;; amdgpu-corpus repo=ggml-org/llama.cpp kind=compiled arch=gfx950 opt=O3
	.amdgcn_target "amdgcn-amd-amdhsa--gfx950"
	.amdhsa_code_object_version 6
	.text
	.p2align	2                               ; -- Begin function __ockl_printf_append_string_n
	.type	__ockl_printf_append_string_n,@function
__ockl_printf_append_string_n:          ; @__ockl_printf_append_string_n
; %bb.0:
	s_waitcnt vmcnt(0) expcnt(0) lgkmcnt(0)
	v_mov_b32_e32 v7, v3
	v_mov_b32_e32 v6, v2
                                        ; kill: def $vgpr1 killed $vgpr1 def $vgpr0
	v_mov_b32_e32 v2, v0
	s_mov_b64 s[2:3], 0
	v_cmp_ne_u64_e32 vcc, 0, v[6:7]
	v_mbcnt_lo_u32_b32 v3, -1, 0
	s_and_saveexec_b64 s[0:1], vcc
	s_xor_b64 s[4:5], exec, s[0:1]
	s_cbranch_execz .LBB0_86
; %bb.1:
	s_load_dwordx2 s[6:7], s[8:9], 0x50
	v_and_b32_e32 v28, 2, v2
	s_mov_b32 s18, 0
	v_mov_b32_e32 v31, 0
	v_and_b32_e32 v0, -3, v2
	v_mbcnt_hi_u32_b32 v32, -1, v3
	s_movk_i32 s19, 0x1e0
	v_mov_b32_e32 v10, 2
	v_mov_b32_e32 v11, 1
	s_branch .LBB0_3
.LBB0_2:                                ;   in Loop: Header=BB0_3 Depth=1
	s_or_b64 exec, exec, s[12:13]
	v_sub_co_u32_e32 v4, vcc, v4, v34
	v_lshl_add_u64 v[6:7], v[6:7], 0, v[34:35]
	s_nop 0
	v_subb_co_u32_e32 v5, vcc, v5, v35, vcc
	v_cmp_eq_u64_e32 vcc, 0, v[4:5]
	s_or_b64 s[2:3], vcc, s[2:3]
	s_andn2_b64 exec, exec, s[2:3]
	s_cbranch_execz .LBB0_85
.LBB0_3:                                ; =>This Loop Header: Depth=1
                                        ;     Child Loop BB0_6 Depth 2
                                        ;     Child Loop BB0_14 Depth 2
	;; [unrolled: 1-line block ×11, first 2 shown]
	v_cmp_gt_u64_e32 vcc, 56, v[4:5]
	v_lshl_add_u64 v[14:15], v[6:7], 0, 8
	s_nop 0
	v_cndmask_b32_e32 v35, 0, v5, vcc
	v_cndmask_b32_e32 v34, 56, v4, vcc
	v_cmp_gt_u64_e32 vcc, 8, v[4:5]
	s_and_saveexec_b64 s[0:1], vcc
	s_xor_b64 s[0:1], exec, s[0:1]
	s_cbranch_execz .LBB0_9
; %bb.4:                                ;   in Loop: Header=BB0_3 Depth=1
	v_mov_b64_e32 v[2:3], 0
	v_cmp_ne_u64_e32 vcc, 0, v[4:5]
	s_and_saveexec_b64 s[10:11], vcc
	s_cbranch_execz .LBB0_8
; %bb.5:                                ;   in Loop: Header=BB0_3 Depth=1
	v_lshlrev_b64 v[8:9], 3, v[34:35]
	s_mov_b64 s[12:13], 0
	v_mov_b64_e32 v[2:3], 0
	v_mov_b64_e32 v[12:13], v[6:7]
	s_mov_b64 s[14:15], 0
.LBB0_6:                                ;   Parent Loop BB0_3 Depth=1
                                        ; =>  This Inner Loop Header: Depth=2
	global_load_ubyte v9, v[12:13], off
	v_mov_b32_e32 v15, s18
	v_lshl_add_u64 v[12:13], v[12:13], 0, 1
	s_waitcnt vmcnt(0)
	v_and_b32_e32 v14, 0xffff, v9
	v_lshlrev_b64 v[14:15], s14, v[14:15]
	s_add_u32 s14, s14, 8
	s_addc_u32 s15, s15, 0
	v_cmp_eq_u32_e32 vcc, s14, v8
	v_or_b32_e32 v3, v15, v3
	s_or_b64 s[12:13], vcc, s[12:13]
	v_or_b32_e32 v2, v14, v2
	s_andn2_b64 exec, exec, s[12:13]
	s_cbranch_execnz .LBB0_6
; %bb.7:                                ;   in Loop: Header=BB0_3 Depth=1
	s_or_b64 exec, exec, s[12:13]
.LBB0_8:                                ;   in Loop: Header=BB0_3 Depth=1
	s_or_b64 exec, exec, s[10:11]
	v_mov_b64_e32 v[14:15], v[6:7]
.LBB0_9:                                ;   in Loop: Header=BB0_3 Depth=1
	s_or_saveexec_b64 s[0:1], s[0:1]
	v_mov_b32_e32 v16, 0
	s_xor_b64 exec, exec, s[0:1]
	s_cbranch_execz .LBB0_11
; %bb.10:                               ;   in Loop: Header=BB0_3 Depth=1
	global_load_dwordx2 v[2:3], v[6:7], off
	v_add_u32_e32 v16, -8, v34
.LBB0_11:                               ;   in Loop: Header=BB0_3 Depth=1
	s_or_b64 exec, exec, s[0:1]
	v_cmp_gt_u32_e32 vcc, 8, v16
	v_lshl_add_u64 v[8:9], v[14:15], 0, 8
                                        ; implicit-def: $vgpr12_vgpr13
	s_and_saveexec_b64 s[0:1], vcc
	s_xor_b64 s[0:1], exec, s[0:1]
	s_cbranch_execz .LBB0_17
; %bb.12:                               ;   in Loop: Header=BB0_3 Depth=1
	v_cmp_ne_u32_e32 vcc, 0, v16
	v_mov_b64_e32 v[12:13], 0
	s_and_saveexec_b64 s[10:11], vcc
	s_cbranch_execz .LBB0_16
; %bb.13:                               ;   in Loop: Header=BB0_3 Depth=1
	s_mov_b64 s[12:13], 0
	v_mov_b64_e32 v[12:13], 0
	s_mov_b64 s[14:15], 0
	s_mov_b64 s[16:17], 0
.LBB0_14:                               ;   Parent Loop BB0_3 Depth=1
                                        ; =>  This Inner Loop Header: Depth=2
	v_lshl_add_u64 v[8:9], v[14:15], 0, s[16:17]
	global_load_ubyte v8, v[8:9], off
	s_add_u32 s16, s16, 1
	v_mov_b32_e32 v9, s18
	s_addc_u32 s17, s17, 0
	v_cmp_eq_u32_e32 vcc, s16, v16
	s_waitcnt vmcnt(0)
	v_and_b32_e32 v8, 0xffff, v8
	v_lshlrev_b64 v[8:9], s14, v[8:9]
	s_add_u32 s14, s14, 8
	s_addc_u32 s15, s15, 0
	v_or_b32_e32 v13, v9, v13
	s_or_b64 s[12:13], vcc, s[12:13]
	v_or_b32_e32 v12, v8, v12
	s_andn2_b64 exec, exec, s[12:13]
	s_cbranch_execnz .LBB0_14
; %bb.15:                               ;   in Loop: Header=BB0_3 Depth=1
	s_or_b64 exec, exec, s[12:13]
.LBB0_16:                               ;   in Loop: Header=BB0_3 Depth=1
	s_or_b64 exec, exec, s[10:11]
	v_mov_b64_e32 v[8:9], v[14:15]
                                        ; implicit-def: $vgpr16
.LBB0_17:                               ;   in Loop: Header=BB0_3 Depth=1
	s_or_saveexec_b64 s[0:1], s[0:1]
	v_mov_b32_e32 v17, 0
	s_xor_b64 exec, exec, s[0:1]
	s_cbranch_execz .LBB0_19
; %bb.18:                               ;   in Loop: Header=BB0_3 Depth=1
	global_load_dwordx2 v[12:13], v[14:15], off
	v_add_u32_e32 v17, -8, v16
.LBB0_19:                               ;   in Loop: Header=BB0_3 Depth=1
	s_or_b64 exec, exec, s[0:1]
	v_cmp_gt_u32_e32 vcc, 8, v17
	v_lshl_add_u64 v[18:19], v[8:9], 0, 8
	s_and_saveexec_b64 s[0:1], vcc
	s_xor_b64 s[0:1], exec, s[0:1]
	s_cbranch_execz .LBB0_25
; %bb.20:                               ;   in Loop: Header=BB0_3 Depth=1
	v_cmp_ne_u32_e32 vcc, 0, v17
	v_mov_b64_e32 v[14:15], 0
	s_and_saveexec_b64 s[10:11], vcc
	s_cbranch_execz .LBB0_24
; %bb.21:                               ;   in Loop: Header=BB0_3 Depth=1
	s_mov_b64 s[12:13], 0
	v_mov_b64_e32 v[14:15], 0
	s_mov_b64 s[14:15], 0
	s_mov_b64 s[16:17], 0
.LBB0_22:                               ;   Parent Loop BB0_3 Depth=1
                                        ; =>  This Inner Loop Header: Depth=2
	v_lshl_add_u64 v[18:19], v[8:9], 0, s[16:17]
	global_load_ubyte v16, v[18:19], off
	s_add_u32 s16, s16, 1
	v_mov_b32_e32 v19, s18
	s_addc_u32 s17, s17, 0
	v_cmp_eq_u32_e32 vcc, s16, v17
	s_waitcnt vmcnt(0)
	v_and_b32_e32 v18, 0xffff, v16
	v_lshlrev_b64 v[18:19], s14, v[18:19]
	s_add_u32 s14, s14, 8
	s_addc_u32 s15, s15, 0
	v_or_b32_e32 v15, v19, v15
	s_or_b64 s[12:13], vcc, s[12:13]
	v_or_b32_e32 v14, v18, v14
	s_andn2_b64 exec, exec, s[12:13]
	s_cbranch_execnz .LBB0_22
; %bb.23:                               ;   in Loop: Header=BB0_3 Depth=1
	s_or_b64 exec, exec, s[12:13]
.LBB0_24:                               ;   in Loop: Header=BB0_3 Depth=1
	s_or_b64 exec, exec, s[10:11]
	v_mov_b64_e32 v[18:19], v[8:9]
                                        ; implicit-def: $vgpr17
.LBB0_25:                               ;   in Loop: Header=BB0_3 Depth=1
	s_or_saveexec_b64 s[0:1], s[0:1]
	v_mov_b32_e32 v20, 0
	s_xor_b64 exec, exec, s[0:1]
	s_cbranch_execz .LBB0_27
; %bb.26:                               ;   in Loop: Header=BB0_3 Depth=1
	global_load_dwordx2 v[14:15], v[8:9], off
	v_add_u32_e32 v20, -8, v17
.LBB0_27:                               ;   in Loop: Header=BB0_3 Depth=1
	s_or_b64 exec, exec, s[0:1]
	v_cmp_gt_u32_e32 vcc, 8, v20
	v_lshl_add_u64 v[8:9], v[18:19], 0, 8
                                        ; implicit-def: $vgpr16_vgpr17
	s_and_saveexec_b64 s[0:1], vcc
	s_xor_b64 s[0:1], exec, s[0:1]
	s_cbranch_execz .LBB0_33
; %bb.28:                               ;   in Loop: Header=BB0_3 Depth=1
	v_cmp_ne_u32_e32 vcc, 0, v20
	v_mov_b64_e32 v[16:17], 0
	s_and_saveexec_b64 s[10:11], vcc
	s_cbranch_execz .LBB0_32
; %bb.29:                               ;   in Loop: Header=BB0_3 Depth=1
	s_mov_b64 s[12:13], 0
	v_mov_b64_e32 v[16:17], 0
	s_mov_b64 s[14:15], 0
	s_mov_b64 s[16:17], 0
.LBB0_30:                               ;   Parent Loop BB0_3 Depth=1
                                        ; =>  This Inner Loop Header: Depth=2
	v_lshl_add_u64 v[8:9], v[18:19], 0, s[16:17]
	global_load_ubyte v8, v[8:9], off
	s_add_u32 s16, s16, 1
	v_mov_b32_e32 v9, s18
	s_addc_u32 s17, s17, 0
	v_cmp_eq_u32_e32 vcc, s16, v20
	s_waitcnt vmcnt(0)
	v_and_b32_e32 v8, 0xffff, v8
	v_lshlrev_b64 v[8:9], s14, v[8:9]
	s_add_u32 s14, s14, 8
	s_addc_u32 s15, s15, 0
	v_or_b32_e32 v17, v9, v17
	s_or_b64 s[12:13], vcc, s[12:13]
	v_or_b32_e32 v16, v8, v16
	s_andn2_b64 exec, exec, s[12:13]
	s_cbranch_execnz .LBB0_30
; %bb.31:                               ;   in Loop: Header=BB0_3 Depth=1
	s_or_b64 exec, exec, s[12:13]
.LBB0_32:                               ;   in Loop: Header=BB0_3 Depth=1
	s_or_b64 exec, exec, s[10:11]
	v_mov_b64_e32 v[8:9], v[18:19]
                                        ; implicit-def: $vgpr20
.LBB0_33:                               ;   in Loop: Header=BB0_3 Depth=1
	s_or_saveexec_b64 s[0:1], s[0:1]
	v_mov_b32_e32 v21, 0
	s_xor_b64 exec, exec, s[0:1]
	s_cbranch_execz .LBB0_35
; %bb.34:                               ;   in Loop: Header=BB0_3 Depth=1
	global_load_dwordx2 v[16:17], v[18:19], off
	v_add_u32_e32 v21, -8, v20
.LBB0_35:                               ;   in Loop: Header=BB0_3 Depth=1
	s_or_b64 exec, exec, s[0:1]
	v_cmp_gt_u32_e32 vcc, 8, v21
	v_lshl_add_u64 v[22:23], v[8:9], 0, 8
	s_and_saveexec_b64 s[0:1], vcc
	s_xor_b64 s[0:1], exec, s[0:1]
	s_cbranch_execz .LBB0_41
; %bb.36:                               ;   in Loop: Header=BB0_3 Depth=1
	v_cmp_ne_u32_e32 vcc, 0, v21
	v_mov_b64_e32 v[18:19], 0
	s_and_saveexec_b64 s[10:11], vcc
	s_cbranch_execz .LBB0_40
; %bb.37:                               ;   in Loop: Header=BB0_3 Depth=1
	s_mov_b64 s[12:13], 0
	v_mov_b64_e32 v[18:19], 0
	s_mov_b64 s[14:15], 0
	s_mov_b64 s[16:17], 0
.LBB0_38:                               ;   Parent Loop BB0_3 Depth=1
                                        ; =>  This Inner Loop Header: Depth=2
	v_lshl_add_u64 v[22:23], v[8:9], 0, s[16:17]
	global_load_ubyte v20, v[22:23], off
	s_add_u32 s16, s16, 1
	v_mov_b32_e32 v23, s18
	s_addc_u32 s17, s17, 0
	v_cmp_eq_u32_e32 vcc, s16, v21
	s_waitcnt vmcnt(0)
	v_and_b32_e32 v22, 0xffff, v20
	v_lshlrev_b64 v[22:23], s14, v[22:23]
	s_add_u32 s14, s14, 8
	s_addc_u32 s15, s15, 0
	v_or_b32_e32 v19, v23, v19
	s_or_b64 s[12:13], vcc, s[12:13]
	v_or_b32_e32 v18, v22, v18
	s_andn2_b64 exec, exec, s[12:13]
	s_cbranch_execnz .LBB0_38
; %bb.39:                               ;   in Loop: Header=BB0_3 Depth=1
	s_or_b64 exec, exec, s[12:13]
.LBB0_40:                               ;   in Loop: Header=BB0_3 Depth=1
	s_or_b64 exec, exec, s[10:11]
	v_mov_b64_e32 v[22:23], v[8:9]
                                        ; implicit-def: $vgpr21
.LBB0_41:                               ;   in Loop: Header=BB0_3 Depth=1
	s_or_saveexec_b64 s[0:1], s[0:1]
	v_mov_b32_e32 v24, 0
	s_xor_b64 exec, exec, s[0:1]
	s_cbranch_execz .LBB0_43
; %bb.42:                               ;   in Loop: Header=BB0_3 Depth=1
	global_load_dwordx2 v[18:19], v[8:9], off
	v_add_u32_e32 v24, -8, v21
.LBB0_43:                               ;   in Loop: Header=BB0_3 Depth=1
	s_or_b64 exec, exec, s[0:1]
	v_cmp_gt_u32_e32 vcc, 8, v24
	v_lshl_add_u64 v[8:9], v[22:23], 0, 8
                                        ; implicit-def: $vgpr20_vgpr21
	s_and_saveexec_b64 s[0:1], vcc
	s_xor_b64 s[0:1], exec, s[0:1]
	s_cbranch_execz .LBB0_49
; %bb.44:                               ;   in Loop: Header=BB0_3 Depth=1
	v_cmp_ne_u32_e32 vcc, 0, v24
	v_mov_b64_e32 v[20:21], 0
	s_and_saveexec_b64 s[10:11], vcc
	s_cbranch_execz .LBB0_48
; %bb.45:                               ;   in Loop: Header=BB0_3 Depth=1
	s_mov_b64 s[12:13], 0
	v_mov_b64_e32 v[20:21], 0
	s_mov_b64 s[14:15], 0
	s_mov_b64 s[16:17], 0
.LBB0_46:                               ;   Parent Loop BB0_3 Depth=1
                                        ; =>  This Inner Loop Header: Depth=2
	v_lshl_add_u64 v[8:9], v[22:23], 0, s[16:17]
	global_load_ubyte v8, v[8:9], off
	s_add_u32 s16, s16, 1
	v_mov_b32_e32 v9, s18
	s_addc_u32 s17, s17, 0
	v_cmp_eq_u32_e32 vcc, s16, v24
	s_waitcnt vmcnt(0)
	v_and_b32_e32 v8, 0xffff, v8
	v_lshlrev_b64 v[8:9], s14, v[8:9]
	s_add_u32 s14, s14, 8
	s_addc_u32 s15, s15, 0
	v_or_b32_e32 v21, v9, v21
	s_or_b64 s[12:13], vcc, s[12:13]
	v_or_b32_e32 v20, v8, v20
	s_andn2_b64 exec, exec, s[12:13]
	s_cbranch_execnz .LBB0_46
; %bb.47:                               ;   in Loop: Header=BB0_3 Depth=1
	s_or_b64 exec, exec, s[12:13]
.LBB0_48:                               ;   in Loop: Header=BB0_3 Depth=1
	s_or_b64 exec, exec, s[10:11]
	v_mov_b64_e32 v[8:9], v[22:23]
                                        ; implicit-def: $vgpr24
.LBB0_49:                               ;   in Loop: Header=BB0_3 Depth=1
	s_or_saveexec_b64 s[0:1], s[0:1]
	v_mov_b32_e32 v25, 0
	s_xor_b64 exec, exec, s[0:1]
	s_cbranch_execz .LBB0_51
; %bb.50:                               ;   in Loop: Header=BB0_3 Depth=1
	global_load_dwordx2 v[20:21], v[22:23], off
	v_add_u32_e32 v25, -8, v24
.LBB0_51:                               ;   in Loop: Header=BB0_3 Depth=1
	s_or_b64 exec, exec, s[0:1]
	v_cmp_gt_u32_e32 vcc, 8, v25
	s_and_saveexec_b64 s[0:1], vcc
	s_xor_b64 s[0:1], exec, s[0:1]
	s_cbranch_execz .LBB0_57
; %bb.52:                               ;   in Loop: Header=BB0_3 Depth=1
	v_cmp_ne_u32_e32 vcc, 0, v25
	v_mov_b64_e32 v[22:23], 0
	s_and_saveexec_b64 s[10:11], vcc
	s_cbranch_execz .LBB0_56
; %bb.53:                               ;   in Loop: Header=BB0_3 Depth=1
	s_mov_b64 s[12:13], 0
	v_mov_b64_e32 v[22:23], 0
	s_mov_b64 s[14:15], 0
.LBB0_54:                               ;   Parent Loop BB0_3 Depth=1
                                        ; =>  This Inner Loop Header: Depth=2
	global_load_ubyte v24, v[8:9], off
	v_mov_b32_e32 v27, s18
	v_add_u32_e32 v25, -1, v25
	v_cmp_eq_u32_e32 vcc, 0, v25
	v_lshl_add_u64 v[8:9], v[8:9], 0, 1
	s_waitcnt vmcnt(0)
	v_and_b32_e32 v26, 0xffff, v24
	v_lshlrev_b64 v[26:27], s14, v[26:27]
	s_add_u32 s14, s14, 8
	s_addc_u32 s15, s15, 0
	v_or_b32_e32 v23, v27, v23
	s_or_b64 s[12:13], vcc, s[12:13]
	v_or_b32_e32 v22, v26, v22
	s_andn2_b64 exec, exec, s[12:13]
	s_cbranch_execnz .LBB0_54
; %bb.55:                               ;   in Loop: Header=BB0_3 Depth=1
	s_or_b64 exec, exec, s[12:13]
.LBB0_56:                               ;   in Loop: Header=BB0_3 Depth=1
	s_or_b64 exec, exec, s[10:11]
                                        ; implicit-def: $vgpr8_vgpr9
.LBB0_57:                               ;   in Loop: Header=BB0_3 Depth=1
	s_andn2_saveexec_b64 s[0:1], s[0:1]
	s_cbranch_execz .LBB0_59
; %bb.58:                               ;   in Loop: Header=BB0_3 Depth=1
	global_load_dwordx2 v[22:23], v[8:9], off
.LBB0_59:                               ;   in Loop: Header=BB0_3 Depth=1
	s_or_b64 exec, exec, s[0:1]
	v_readfirstlane_b32 s0, v32
	v_mov_b64_e32 v[8:9], 0
	s_nop 0
	v_cmp_eq_u32_e64 s[0:1], s0, v32
	s_and_saveexec_b64 s[10:11], s[0:1]
	s_cbranch_execz .LBB0_65
; %bb.60:                               ;   in Loop: Header=BB0_3 Depth=1
	s_waitcnt lgkmcnt(0)
	global_load_dwordx2 v[26:27], v31, s[6:7] offset:24 sc0 sc1
	s_waitcnt vmcnt(0)
	buffer_inv sc0 sc1
	global_load_dwordx2 v[8:9], v31, s[6:7] offset:40
	global_load_dwordx2 v[24:25], v31, s[6:7]
	s_waitcnt vmcnt(1)
	v_and_b32_e32 v8, v8, v26
	v_and_b32_e32 v9, v9, v27
	v_mul_lo_u32 v9, v9, 24
	v_mul_hi_u32 v29, v8, 24
	v_add_u32_e32 v9, v29, v9
	v_mul_lo_u32 v8, v8, 24
	s_waitcnt vmcnt(0)
	v_lshl_add_u64 v[8:9], v[24:25], 0, v[8:9]
	global_load_dwordx2 v[24:25], v[8:9], off sc0 sc1
	s_waitcnt vmcnt(0)
	global_atomic_cmpswap_x2 v[8:9], v31, v[24:27], s[6:7] offset:24 sc0 sc1
	s_waitcnt vmcnt(0)
	buffer_inv sc0 sc1
	v_cmp_ne_u64_e32 vcc, v[8:9], v[26:27]
	s_and_saveexec_b64 s[12:13], vcc
	s_cbranch_execz .LBB0_64
; %bb.61:                               ;   in Loop: Header=BB0_3 Depth=1
	s_mov_b64 s[14:15], 0
.LBB0_62:                               ;   Parent Loop BB0_3 Depth=1
                                        ; =>  This Inner Loop Header: Depth=2
	s_sleep 1
	global_load_dwordx2 v[24:25], v31, s[6:7] offset:40
	global_load_dwordx2 v[36:37], v31, s[6:7]
	v_mov_b64_e32 v[26:27], v[8:9]
	s_waitcnt vmcnt(1)
	v_and_b32_e32 v8, v24, v26
	s_waitcnt vmcnt(0)
	v_mad_u64_u32 v[8:9], s[16:17], v8, 24, v[36:37]
	v_and_b32_e32 v25, v25, v27
	v_mov_b32_e32 v24, v9
	v_mad_u64_u32 v[24:25], s[16:17], v25, 24, v[24:25]
	v_mov_b32_e32 v9, v24
	global_load_dwordx2 v[24:25], v[8:9], off sc0 sc1
	s_waitcnt vmcnt(0)
	global_atomic_cmpswap_x2 v[8:9], v31, v[24:27], s[6:7] offset:24 sc0 sc1
	s_waitcnt vmcnt(0)
	buffer_inv sc0 sc1
	v_cmp_eq_u64_e32 vcc, v[8:9], v[26:27]
	s_or_b64 s[14:15], vcc, s[14:15]
	s_andn2_b64 exec, exec, s[14:15]
	s_cbranch_execnz .LBB0_62
; %bb.63:                               ;   in Loop: Header=BB0_3 Depth=1
	s_or_b64 exec, exec, s[14:15]
.LBB0_64:                               ;   in Loop: Header=BB0_3 Depth=1
	s_or_b64 exec, exec, s[12:13]
.LBB0_65:                               ;   in Loop: Header=BB0_3 Depth=1
	s_or_b64 exec, exec, s[10:11]
	s_waitcnt lgkmcnt(0)
	global_load_dwordx2 v[36:37], v31, s[6:7] offset:40
	global_load_dwordx4 v[24:27], v31, s[6:7]
	v_readfirstlane_b32 s11, v9
	v_readfirstlane_b32 s10, v8
	s_mov_b64 s[12:13], exec
	s_waitcnt vmcnt(1)
	v_readfirstlane_b32 s14, v36
	v_readfirstlane_b32 s15, v37
	s_and_b64 s[14:15], s[14:15], s[10:11]
	s_mul_i32 s16, s15, 24
	s_mul_hi_u32 s17, s14, 24
	s_add_i32 s17, s17, s16
	s_mul_i32 s16, s14, 24
	s_waitcnt vmcnt(0)
	v_lshl_add_u64 v[36:37], v[24:25], 0, s[16:17]
	s_and_saveexec_b64 s[16:17], s[0:1]
	s_cbranch_execz .LBB0_67
; %bb.66:                               ;   in Loop: Header=BB0_3 Depth=1
	v_mov_b64_e32 v[8:9], s[12:13]
	global_store_dwordx4 v[36:37], v[8:11], off offset:8
.LBB0_67:                               ;   in Loop: Header=BB0_3 Depth=1
	s_or_b64 exec, exec, s[16:17]
	s_lshl_b64 s[12:13], s[14:15], 12
	v_cmp_gt_u64_e32 vcc, 57, v[4:5]
	v_lshl_add_u64 v[8:9], v[26:27], 0, s[12:13]
	v_and_b32_e32 v0, 0xffffff1f, v0
	v_cndmask_b32_e32 v26, 0, v28, vcc
	v_lshl_add_u32 v27, v34, 2, 28
	v_or_b32_e32 v0, v0, v26
	v_and_or_b32 v0, v27, s19, v0
	v_lshlrev_b32_e32 v30, 6, v32
	v_readfirstlane_b32 s12, v8
	v_readfirstlane_b32 s13, v9
	s_nop 4
	global_store_dwordx4 v30, v[0:3], s[12:13]
	global_store_dwordx4 v30, v[12:15], s[12:13] offset:16
	global_store_dwordx4 v30, v[16:19], s[12:13] offset:32
	;; [unrolled: 1-line block ×3, first 2 shown]
	s_and_saveexec_b64 s[12:13], s[0:1]
	s_cbranch_execz .LBB0_75
; %bb.68:                               ;   in Loop: Header=BB0_3 Depth=1
	global_load_dwordx2 v[16:17], v31, s[6:7] offset:32 sc0 sc1
	global_load_dwordx2 v[0:1], v31, s[6:7] offset:40
	v_mov_b32_e32 v14, s10
	v_mov_b32_e32 v15, s11
	s_waitcnt vmcnt(0)
	v_readfirstlane_b32 s14, v0
	v_readfirstlane_b32 s15, v1
	s_and_b64 s[14:15], s[14:15], s[10:11]
	s_mul_i32 s15, s15, 24
	s_mul_hi_u32 s16, s14, 24
	s_mul_i32 s14, s14, 24
	s_add_i32 s15, s16, s15
	v_lshl_add_u64 v[12:13], v[24:25], 0, s[14:15]
	global_store_dwordx2 v[12:13], v[16:17], off
	buffer_wbl2 sc0 sc1
	s_waitcnt vmcnt(0)
	global_atomic_cmpswap_x2 v[2:3], v31, v[14:17], s[6:7] offset:32 sc0 sc1
	s_waitcnt vmcnt(0)
	v_cmp_ne_u64_e32 vcc, v[2:3], v[16:17]
	s_and_saveexec_b64 s[14:15], vcc
	s_cbranch_execz .LBB0_71
; %bb.69:                               ;   in Loop: Header=BB0_3 Depth=1
	s_mov_b64 s[16:17], 0
.LBB0_70:                               ;   Parent Loop BB0_3 Depth=1
                                        ; =>  This Inner Loop Header: Depth=2
	s_sleep 1
	global_store_dwordx2 v[12:13], v[2:3], off
	v_mov_b32_e32 v0, s10
	v_mov_b32_e32 v1, s11
	buffer_wbl2 sc0 sc1
	s_waitcnt vmcnt(0)
	global_atomic_cmpswap_x2 v[0:1], v31, v[0:3], s[6:7] offset:32 sc0 sc1
	s_waitcnt vmcnt(0)
	v_cmp_eq_u64_e32 vcc, v[0:1], v[2:3]
	s_or_b64 s[16:17], vcc, s[16:17]
	v_mov_b64_e32 v[2:3], v[0:1]
	s_andn2_b64 exec, exec, s[16:17]
	s_cbranch_execnz .LBB0_70
.LBB0_71:                               ;   in Loop: Header=BB0_3 Depth=1
	s_or_b64 exec, exec, s[14:15]
	global_load_dwordx2 v[0:1], v31, s[6:7] offset:16
	s_mov_b64 s[16:17], exec
	v_mbcnt_lo_u32_b32 v2, s16, 0
	v_mbcnt_hi_u32_b32 v2, s17, v2
	v_cmp_eq_u32_e32 vcc, 0, v2
	s_and_saveexec_b64 s[14:15], vcc
	s_cbranch_execz .LBB0_73
; %bb.72:                               ;   in Loop: Header=BB0_3 Depth=1
	s_bcnt1_i32_b64 s16, s[16:17]
	v_mov_b32_e32 v2, s16
	v_mov_b32_e32 v3, v31
	buffer_wbl2 sc0 sc1
	s_waitcnt vmcnt(0)
	global_atomic_add_x2 v[0:1], v[2:3], off offset:8 sc1
.LBB0_73:                               ;   in Loop: Header=BB0_3 Depth=1
	s_or_b64 exec, exec, s[14:15]
	s_waitcnt vmcnt(0)
	global_load_dwordx2 v[2:3], v[0:1], off offset:16
	s_waitcnt vmcnt(0)
	v_cmp_eq_u64_e32 vcc, 0, v[2:3]
	s_cbranch_vccnz .LBB0_75
; %bb.74:                               ;   in Loop: Header=BB0_3 Depth=1
	global_load_dword v0, v[0:1], off offset:24
	v_mov_b32_e32 v1, v31
	s_waitcnt vmcnt(0)
	v_readfirstlane_b32 s14, v0
	s_and_b32 m0, s14, 0xffffff
	buffer_wbl2 sc0 sc1
	global_store_dwordx2 v[2:3], v[0:1], off sc0 sc1
	s_sendmsg sendmsg(MSG_INTERRUPT)
.LBB0_75:                               ;   in Loop: Header=BB0_3 Depth=1
	s_or_b64 exec, exec, s[12:13]
	v_lshl_add_u64 v[0:1], v[8:9], 0, v[30:31]
	s_branch .LBB0_79
.LBB0_76:                               ;   in Loop: Header=BB0_79 Depth=2
	s_or_b64 exec, exec, s[12:13]
	v_readfirstlane_b32 s12, v2
	s_cmp_eq_u32 s12, 0
	s_cbranch_scc1 .LBB0_78
; %bb.77:                               ;   in Loop: Header=BB0_79 Depth=2
	s_sleep 1
	s_cbranch_execnz .LBB0_79
	s_branch .LBB0_81
.LBB0_78:                               ;   in Loop: Header=BB0_3 Depth=1
	s_branch .LBB0_81
.LBB0_79:                               ;   Parent Loop BB0_3 Depth=1
                                        ; =>  This Inner Loop Header: Depth=2
	v_mov_b32_e32 v2, 1
	s_and_saveexec_b64 s[12:13], s[0:1]
	s_cbranch_execz .LBB0_76
; %bb.80:                               ;   in Loop: Header=BB0_79 Depth=2
	global_load_dword v2, v[36:37], off offset:20 sc0 sc1
	s_waitcnt vmcnt(0)
	buffer_inv sc0 sc1
	v_and_b32_e32 v2, 1, v2
	s_branch .LBB0_76
.LBB0_81:                               ;   in Loop: Header=BB0_3 Depth=1
	global_load_dwordx2 v[0:1], v[0:1], off
	s_and_saveexec_b64 s[12:13], s[0:1]
	s_cbranch_execz .LBB0_2
; %bb.82:                               ;   in Loop: Header=BB0_3 Depth=1
	global_load_dwordx2 v[2:3], v31, s[6:7] offset:40
	global_load_dwordx2 v[16:17], v31, s[6:7] offset:24 sc0 sc1
	global_load_dwordx2 v[8:9], v31, s[6:7]
	s_waitcnt vmcnt(2)
	v_readfirstlane_b32 s14, v2
	v_readfirstlane_b32 s15, v3
	s_add_u32 s16, s14, 1
	s_addc_u32 s17, s15, 0
	s_add_u32 s0, s16, s10
	s_addc_u32 s1, s17, s11
	s_cmp_eq_u64 s[0:1], 0
	s_cselect_b32 s1, s17, s1
	s_cselect_b32 s0, s16, s0
	s_and_b64 s[10:11], s[0:1], s[14:15]
	s_mul_i32 s11, s11, 24
	s_mul_hi_u32 s14, s10, 24
	s_mul_i32 s10, s10, 24
	s_add_i32 s11, s14, s11
	s_waitcnt vmcnt(0)
	v_lshl_add_u64 v[2:3], v[8:9], 0, s[10:11]
	v_mov_b32_e32 v14, s0
	global_store_dwordx2 v[2:3], v[16:17], off
	v_mov_b32_e32 v15, s1
	buffer_wbl2 sc0 sc1
	s_waitcnt vmcnt(0)
	global_atomic_cmpswap_x2 v[14:15], v31, v[14:17], s[6:7] offset:24 sc0 sc1
	s_waitcnt vmcnt(0)
	v_cmp_ne_u64_e32 vcc, v[14:15], v[16:17]
	s_and_b64 exec, exec, vcc
	s_cbranch_execz .LBB0_2
; %bb.83:                               ;   in Loop: Header=BB0_3 Depth=1
	s_mov_b64 s[10:11], 0
.LBB0_84:                               ;   Parent Loop BB0_3 Depth=1
                                        ; =>  This Inner Loop Header: Depth=2
	s_sleep 1
	global_store_dwordx2 v[2:3], v[14:15], off
	v_mov_b32_e32 v12, s0
	v_mov_b32_e32 v13, s1
	buffer_wbl2 sc0 sc1
	s_waitcnt vmcnt(0)
	global_atomic_cmpswap_x2 v[8:9], v31, v[12:15], s[6:7] offset:24 sc0 sc1
	s_waitcnt vmcnt(0)
	v_cmp_eq_u64_e32 vcc, v[8:9], v[14:15]
	s_or_b64 s[10:11], vcc, s[10:11]
	v_mov_b64_e32 v[14:15], v[8:9]
	s_andn2_b64 exec, exec, s[10:11]
	s_cbranch_execnz .LBB0_84
	s_branch .LBB0_2
.LBB0_85:
	s_or_b64 exec, exec, s[2:3]
                                        ; implicit-def: $vgpr2
                                        ; implicit-def: $vgpr3
.LBB0_86:
	s_andn2_saveexec_b64 s[2:3], s[4:5]
	s_cbranch_execz .LBB0_109
; %bb.87:
	s_load_dwordx2 s[4:5], s[8:9], 0x50
	v_mbcnt_hi_u32_b32 v3, -1, v3
	v_mov_b64_e32 v[8:9], 0
	v_readfirstlane_b32 s0, v3
	s_nop 1
	v_cmp_eq_u32_e64 s[0:1], s0, v3
	s_and_saveexec_b64 s[6:7], s[0:1]
	s_cbranch_execz .LBB0_93
; %bb.88:
	s_waitcnt vmcnt(0)
	v_mov_b32_e32 v0, 0
	s_waitcnt lgkmcnt(0)
	global_load_dwordx2 v[6:7], v0, s[4:5] offset:24 sc0 sc1
	s_waitcnt vmcnt(0)
	buffer_inv sc0 sc1
	global_load_dwordx2 v[4:5], v0, s[4:5] offset:40
	global_load_dwordx2 v[8:9], v0, s[4:5]
	s_waitcnt vmcnt(1)
	v_and_b32_e32 v4, v4, v6
	v_and_b32_e32 v5, v5, v7
	v_mul_lo_u32 v5, v5, 24
	v_mul_hi_u32 v10, v4, 24
	v_add_u32_e32 v5, v10, v5
	v_mul_lo_u32 v4, v4, 24
	s_waitcnt vmcnt(0)
	v_lshl_add_u64 v[4:5], v[8:9], 0, v[4:5]
	global_load_dwordx2 v[4:5], v[4:5], off sc0 sc1
	s_waitcnt vmcnt(0)
	global_atomic_cmpswap_x2 v[8:9], v0, v[4:7], s[4:5] offset:24 sc0 sc1
	s_waitcnt vmcnt(0)
	buffer_inv sc0 sc1
	v_cmp_ne_u64_e32 vcc, v[8:9], v[6:7]
	s_and_saveexec_b64 s[8:9], vcc
	s_cbranch_execz .LBB0_92
; %bb.89:
	s_mov_b64 s[10:11], 0
.LBB0_90:                               ; =>This Inner Loop Header: Depth=1
	s_sleep 1
	global_load_dwordx2 v[4:5], v0, s[4:5] offset:40
	global_load_dwordx2 v[10:11], v0, s[4:5]
	v_mov_b64_e32 v[6:7], v[8:9]
	s_waitcnt vmcnt(1)
	v_and_b32_e32 v4, v4, v6
	v_and_b32_e32 v9, v5, v7
	s_waitcnt vmcnt(0)
	v_mad_u64_u32 v[4:5], s[12:13], v4, 24, v[10:11]
	v_mov_b32_e32 v8, v5
	v_mad_u64_u32 v[8:9], s[12:13], v9, 24, v[8:9]
	v_mov_b32_e32 v5, v8
	global_load_dwordx2 v[4:5], v[4:5], off sc0 sc1
	s_waitcnt vmcnt(0)
	global_atomic_cmpswap_x2 v[8:9], v0, v[4:7], s[4:5] offset:24 sc0 sc1
	s_waitcnt vmcnt(0)
	buffer_inv sc0 sc1
	v_cmp_eq_u64_e32 vcc, v[8:9], v[6:7]
	s_or_b64 s[10:11], vcc, s[10:11]
	s_andn2_b64 exec, exec, s[10:11]
	s_cbranch_execnz .LBB0_90
; %bb.91:
	s_or_b64 exec, exec, s[10:11]
.LBB0_92:
	s_or_b64 exec, exec, s[8:9]
.LBB0_93:
	s_or_b64 exec, exec, s[6:7]
	v_mov_b32_e32 v11, 0
	s_waitcnt lgkmcnt(0)
	global_load_dwordx2 v[12:13], v11, s[4:5] offset:40
	global_load_dwordx4 v[4:7], v11, s[4:5]
	v_readfirstlane_b32 s7, v9
	v_readfirstlane_b32 s6, v8
	s_mov_b64 s[8:9], exec
	s_waitcnt vmcnt(1)
	v_readfirstlane_b32 s10, v12
	v_readfirstlane_b32 s11, v13
	s_and_b64 s[10:11], s[10:11], s[6:7]
	s_mul_i32 s12, s11, 24
	s_mul_hi_u32 s13, s10, 24
	s_add_i32 s13, s13, s12
	s_mul_i32 s12, s10, 24
	s_waitcnt vmcnt(0)
	v_lshl_add_u64 v[8:9], v[4:5], 0, s[12:13]
	s_and_saveexec_b64 s[12:13], s[0:1]
	s_cbranch_execz .LBB0_95
; %bb.94:
	v_mov_b64_e32 v[12:13], s[8:9]
	v_mov_b32_e32 v14, 2
	v_mov_b32_e32 v15, 1
	global_store_dwordx4 v[8:9], v[12:15], off offset:8
.LBB0_95:
	s_or_b64 exec, exec, s[12:13]
	s_lshl_b64 s[8:9], s[10:11], 12
	v_lshl_add_u64 v[6:7], v[6:7], 0, s[8:9]
	s_movk_i32 s8, 0xff1f
	v_and_or_b32 v0, v2, s8, 32
	s_mov_b32 s8, 0
	v_lshlrev_b32_e32 v10, 6, v3
	v_mov_b32_e32 v2, v11
	v_mov_b32_e32 v3, v11
	v_readfirstlane_b32 s12, v6
	v_readfirstlane_b32 s13, v7
	s_mov_b32 s9, s8
	s_mov_b32 s10, s8
	;; [unrolled: 1-line block ×3, first 2 shown]
	s_nop 1
	global_store_dwordx4 v10, v[0:3], s[12:13]
	s_nop 1
	v_mov_b64_e32 v[0:1], s[8:9]
	v_mov_b64_e32 v[2:3], s[10:11]
	global_store_dwordx4 v10, v[0:3], s[12:13] offset:16
	global_store_dwordx4 v10, v[0:3], s[12:13] offset:32
	;; [unrolled: 1-line block ×3, first 2 shown]
	s_and_saveexec_b64 s[8:9], s[0:1]
	s_cbranch_execz .LBB0_103
; %bb.96:
	v_mov_b32_e32 v12, 0
	global_load_dwordx2 v[16:17], v12, s[4:5] offset:32 sc0 sc1
	global_load_dwordx2 v[0:1], v12, s[4:5] offset:40
	v_mov_b32_e32 v14, s6
	v_mov_b32_e32 v15, s7
	s_waitcnt vmcnt(0)
	v_and_b32_e32 v0, s6, v0
	v_and_b32_e32 v1, s7, v1
	v_mul_lo_u32 v1, v1, 24
	v_mul_hi_u32 v2, v0, 24
	v_mul_lo_u32 v0, v0, 24
	v_add_u32_e32 v1, v2, v1
	v_lshl_add_u64 v[4:5], v[4:5], 0, v[0:1]
	global_store_dwordx2 v[4:5], v[16:17], off
	buffer_wbl2 sc0 sc1
	s_waitcnt vmcnt(0)
	global_atomic_cmpswap_x2 v[2:3], v12, v[14:17], s[4:5] offset:32 sc0 sc1
	s_waitcnt vmcnt(0)
	v_cmp_ne_u64_e32 vcc, v[2:3], v[16:17]
	s_and_saveexec_b64 s[10:11], vcc
	s_cbranch_execz .LBB0_99
; %bb.97:
	s_mov_b64 s[12:13], 0
.LBB0_98:                               ; =>This Inner Loop Header: Depth=1
	s_sleep 1
	global_store_dwordx2 v[4:5], v[2:3], off
	v_mov_b32_e32 v0, s6
	v_mov_b32_e32 v1, s7
	buffer_wbl2 sc0 sc1
	s_waitcnt vmcnt(0)
	global_atomic_cmpswap_x2 v[0:1], v12, v[0:3], s[4:5] offset:32 sc0 sc1
	s_waitcnt vmcnt(0)
	v_cmp_eq_u64_e32 vcc, v[0:1], v[2:3]
	s_or_b64 s[12:13], vcc, s[12:13]
	v_mov_b64_e32 v[2:3], v[0:1]
	s_andn2_b64 exec, exec, s[12:13]
	s_cbranch_execnz .LBB0_98
.LBB0_99:
	s_or_b64 exec, exec, s[10:11]
	v_mov_b32_e32 v3, 0
	global_load_dwordx2 v[0:1], v3, s[4:5] offset:16
	s_mov_b64 s[10:11], exec
	v_mbcnt_lo_u32_b32 v2, s10, 0
	v_mbcnt_hi_u32_b32 v2, s11, v2
	v_cmp_eq_u32_e32 vcc, 0, v2
	s_and_saveexec_b64 s[12:13], vcc
	s_cbranch_execz .LBB0_101
; %bb.100:
	s_bcnt1_i32_b64 s10, s[10:11]
	v_mov_b32_e32 v2, s10
	buffer_wbl2 sc0 sc1
	s_waitcnt vmcnt(0)
	global_atomic_add_x2 v[0:1], v[2:3], off offset:8 sc1
.LBB0_101:
	s_or_b64 exec, exec, s[12:13]
	s_waitcnt vmcnt(0)
	global_load_dwordx2 v[2:3], v[0:1], off offset:16
	s_waitcnt vmcnt(0)
	v_cmp_eq_u64_e32 vcc, 0, v[2:3]
	s_cbranch_vccnz .LBB0_103
; %bb.102:
	global_load_dword v0, v[0:1], off offset:24
	v_mov_b32_e32 v1, 0
	s_waitcnt vmcnt(0)
	v_readfirstlane_b32 s10, v0
	s_and_b32 m0, s10, 0xffffff
	buffer_wbl2 sc0 sc1
	global_store_dwordx2 v[2:3], v[0:1], off sc0 sc1
	s_sendmsg sendmsg(MSG_INTERRUPT)
.LBB0_103:
	s_or_b64 exec, exec, s[8:9]
	v_lshl_add_u64 v[0:1], v[6:7], 0, v[10:11]
	s_branch .LBB0_107
.LBB0_104:                              ;   in Loop: Header=BB0_107 Depth=1
	s_or_b64 exec, exec, s[8:9]
	v_readfirstlane_b32 s8, v2
	s_cmp_eq_u32 s8, 0
	s_cbranch_scc1 .LBB0_106
; %bb.105:                              ;   in Loop: Header=BB0_107 Depth=1
	s_sleep 1
	s_cbranch_execnz .LBB0_107
	s_branch .LBB0_110
.LBB0_106:
	s_branch .LBB0_110
.LBB0_107:                              ; =>This Inner Loop Header: Depth=1
	v_mov_b32_e32 v2, 1
	s_and_saveexec_b64 s[8:9], s[0:1]
	s_cbranch_execz .LBB0_104
; %bb.108:                              ;   in Loop: Header=BB0_107 Depth=1
	global_load_dword v2, v[8:9], off offset:20 sc0 sc1
	s_waitcnt vmcnt(0)
	buffer_inv sc0 sc1
	v_and_b32_e32 v2, 1, v2
	s_branch .LBB0_104
.LBB0_109:
	s_or_b64 exec, exec, s[2:3]
	s_waitcnt vmcnt(0) lgkmcnt(0)
	s_setpc_b64 s[30:31]
.LBB0_110:
	global_load_dwordx2 v[0:1], v[0:1], off
	s_and_saveexec_b64 s[8:9], s[0:1]
	s_cbranch_execz .LBB0_113
; %bb.111:
	v_mov_b32_e32 v8, 0
	global_load_dwordx2 v[2:3], v8, s[4:5] offset:40
	global_load_dwordx2 v[12:13], v8, s[4:5] offset:24 sc0 sc1
	global_load_dwordx2 v[4:5], v8, s[4:5]
	s_waitcnt vmcnt(2)
	v_readfirstlane_b32 s10, v2
	v_readfirstlane_b32 s11, v3
	s_add_u32 s12, s10, 1
	s_addc_u32 s13, s11, 0
	s_add_u32 s0, s12, s6
	s_addc_u32 s1, s13, s7
	s_cmp_eq_u64 s[0:1], 0
	s_cselect_b32 s1, s13, s1
	s_cselect_b32 s0, s12, s0
	s_and_b64 s[6:7], s[0:1], s[10:11]
	s_mul_i32 s7, s7, 24
	s_mul_hi_u32 s10, s6, 24
	s_mul_i32 s6, s6, 24
	s_add_i32 s7, s10, s7
	s_waitcnt vmcnt(0)
	v_lshl_add_u64 v[6:7], v[4:5], 0, s[6:7]
	v_mov_b32_e32 v10, s0
	global_store_dwordx2 v[6:7], v[12:13], off
	v_mov_b32_e32 v11, s1
	buffer_wbl2 sc0 sc1
	s_waitcnt vmcnt(0)
	global_atomic_cmpswap_x2 v[4:5], v8, v[10:13], s[4:5] offset:24 sc0 sc1
	s_mov_b64 s[6:7], 0
	s_waitcnt vmcnt(0)
	v_cmp_ne_u64_e32 vcc, v[4:5], v[12:13]
	s_and_b64 exec, exec, vcc
	s_cbranch_execz .LBB0_113
.LBB0_112:                              ; =>This Inner Loop Header: Depth=1
	s_sleep 1
	global_store_dwordx2 v[6:7], v[4:5], off
	v_mov_b32_e32 v2, s0
	v_mov_b32_e32 v3, s1
	buffer_wbl2 sc0 sc1
	s_waitcnt vmcnt(0)
	global_atomic_cmpswap_x2 v[2:3], v8, v[2:5], s[4:5] offset:24 sc0 sc1
	s_waitcnt vmcnt(0)
	v_cmp_eq_u64_e32 vcc, v[2:3], v[4:5]
	s_or_b64 s[6:7], vcc, s[6:7]
	v_mov_b64_e32 v[4:5], v[2:3]
	s_andn2_b64 exec, exec, s[6:7]
	s_cbranch_execnz .LBB0_112
.LBB0_113:
	s_or_b64 exec, exec, s[8:9]
	s_or_b64 exec, exec, s[2:3]
	s_waitcnt vmcnt(0) lgkmcnt(0)
	s_setpc_b64 s[30:31]
.Lfunc_end0:
	.size	__ockl_printf_append_string_n, .Lfunc_end0-__ockl_printf_append_string_n
                                        ; -- End function
	.set .L__ockl_printf_append_string_n.num_vgpr, 38
	.set .L__ockl_printf_append_string_n.num_agpr, 0
	.set .L__ockl_printf_append_string_n.numbered_sgpr, 32
	.set .L__ockl_printf_append_string_n.num_named_barrier, 0
	.set .L__ockl_printf_append_string_n.private_seg_size, 0
	.set .L__ockl_printf_append_string_n.uses_vcc, 1
	.set .L__ockl_printf_append_string_n.uses_flat_scratch, 0
	.set .L__ockl_printf_append_string_n.has_dyn_sized_stack, 0
	.set .L__ockl_printf_append_string_n.has_recursion, 0
	.set .L__ockl_printf_append_string_n.has_indirect_call, 0
	.section	.AMDGPU.csdata,"",@progbits
; Function info:
; codeLenInByte = 3772
; TotalNumSgprs: 38
; NumVgprs: 38
; NumAgprs: 0
; TotalNumVgprs: 38
; ScratchSize: 0
; MemoryBound: 0
	.text
	.p2align	2                               ; -- Begin function __ockl_printf_append_args
	.type	__ockl_printf_append_args,@function
__ockl_printf_append_args:              ; @__ockl_printf_append_args
; %bb.0:
	s_waitcnt vmcnt(0) expcnt(0) lgkmcnt(0)
	s_load_dwordx2 s[2:3], s[8:9], 0x50
	v_mbcnt_lo_u32_b32 v5, -1, 0
	v_mbcnt_hi_u32_b32 v5, -1, v5
	v_mov_b64_e32 v[10:11], 0
	v_readfirstlane_b32 s0, v5
	s_nop 1
	v_cmp_eq_u32_e64 s[0:1], s0, v5
	s_and_saveexec_b64 s[4:5], s[0:1]
	s_cbranch_execz .LBB1_6
; %bb.1:
	v_mov_b32_e32 v6, 0
	s_waitcnt lgkmcnt(0)
	global_load_dwordx2 v[12:13], v6, s[2:3] offset:24 sc0 sc1
	s_waitcnt vmcnt(0)
	buffer_inv sc0 sc1
	global_load_dwordx2 v[8:9], v6, s[2:3] offset:40
	global_load_dwordx2 v[10:11], v6, s[2:3]
	s_waitcnt vmcnt(1)
	v_and_b32_e32 v7, v8, v12
	v_and_b32_e32 v8, v9, v13
	v_mul_lo_u32 v8, v8, 24
	v_mul_hi_u32 v9, v7, 24
	v_add_u32_e32 v9, v9, v8
	v_mul_lo_u32 v8, v7, 24
	s_waitcnt vmcnt(0)
	v_lshl_add_u64 v[8:9], v[10:11], 0, v[8:9]
	global_load_dwordx2 v[10:11], v[8:9], off sc0 sc1
	s_waitcnt vmcnt(0)
	global_atomic_cmpswap_x2 v[10:11], v6, v[10:13], s[2:3] offset:24 sc0 sc1
	s_waitcnt vmcnt(0)
	buffer_inv sc0 sc1
	v_cmp_ne_u64_e32 vcc, v[10:11], v[12:13]
	s_and_saveexec_b64 s[6:7], vcc
	s_cbranch_execz .LBB1_5
; %bb.2:
	s_mov_b64 s[8:9], 0
.LBB1_3:                                ; =>This Inner Loop Header: Depth=1
	s_sleep 1
	global_load_dwordx2 v[8:9], v6, s[2:3] offset:40
	global_load_dwordx2 v[14:15], v6, s[2:3]
	v_mov_b64_e32 v[12:13], v[10:11]
	s_waitcnt vmcnt(1)
	v_and_b32_e32 v8, v8, v12
	v_and_b32_e32 v7, v9, v13
	s_waitcnt vmcnt(0)
	v_mad_u64_u32 v[8:9], s[10:11], v8, 24, v[14:15]
	v_mov_b32_e32 v10, v9
	v_mad_u64_u32 v[10:11], s[10:11], v7, 24, v[10:11]
	v_mov_b32_e32 v9, v10
	global_load_dwordx2 v[10:11], v[8:9], off sc0 sc1
	s_waitcnt vmcnt(0)
	global_atomic_cmpswap_x2 v[10:11], v6, v[10:13], s[2:3] offset:24 sc0 sc1
	s_waitcnt vmcnt(0)
	buffer_inv sc0 sc1
	v_cmp_eq_u64_e32 vcc, v[10:11], v[12:13]
	s_or_b64 s[8:9], vcc, s[8:9]
	s_andn2_b64 exec, exec, s[8:9]
	s_cbranch_execnz .LBB1_3
; %bb.4:
	s_or_b64 exec, exec, s[8:9]
.LBB1_5:
	s_or_b64 exec, exec, s[6:7]
.LBB1_6:
	s_or_b64 exec, exec, s[4:5]
	v_mov_b32_e32 v14, 0
	s_waitcnt lgkmcnt(0)
	global_load_dwordx2 v[12:13], v14, s[2:3] offset:40
	global_load_dwordx4 v[6:9], v14, s[2:3]
	v_readfirstlane_b32 s5, v11
	v_readfirstlane_b32 s4, v10
	s_mov_b64 s[6:7], exec
	s_waitcnt vmcnt(1)
	v_readfirstlane_b32 s8, v12
	v_readfirstlane_b32 s9, v13
	s_and_b64 s[8:9], s[8:9], s[4:5]
	s_mul_i32 s10, s9, 24
	s_mul_hi_u32 s11, s8, 24
	s_add_i32 s11, s11, s10
	s_mul_i32 s10, s8, 24
	s_waitcnt vmcnt(0)
	v_lshl_add_u64 v[10:11], v[6:7], 0, s[10:11]
	s_and_saveexec_b64 s[10:11], s[0:1]
	s_cbranch_execz .LBB1_8
; %bb.7:
	v_mov_b64_e32 v[12:13], s[6:7]
	v_mov_b32_e32 v14, 2
	v_mov_b32_e32 v15, 1
	global_store_dwordx4 v[10:11], v[12:15], off offset:8
.LBB1_8:
	s_or_b64 exec, exec, s[10:11]
	s_lshl_b64 s[6:7], s[8:9], 12
	v_or_b32_e32 v12, 2, v0
	v_cmp_eq_u32_e32 vcc, 0, v4
	v_lshl_add_u64 v[8:9], v[8:9], 0, s[6:7]
	s_mov_b32 s8, 0
	v_cndmask_b32_e32 v0, v12, v0, vcc
	s_movk_i32 s6, 0xff1f
	v_and_or_b32 v0, v0, s6, 32
	v_lshlrev_b32_e32 v4, 6, v5
	v_readfirstlane_b32 s6, v8
	v_readfirstlane_b32 s7, v9
	s_mov_b32 s9, s8
	s_mov_b32 s10, s8
	s_mov_b32 s11, s8
	s_nop 1
	global_store_dwordx4 v4, v[0:3], s[6:7]
	s_nop 1
	v_mov_b64_e32 v[0:1], s[8:9]
	v_mov_b64_e32 v[2:3], s[10:11]
	global_store_dwordx4 v4, v[0:3], s[6:7] offset:16
	global_store_dwordx4 v4, v[0:3], s[6:7] offset:32
	;; [unrolled: 1-line block ×3, first 2 shown]
	s_and_saveexec_b64 s[6:7], s[0:1]
	s_cbranch_execz .LBB1_16
; %bb.9:
	v_mov_b32_e32 v8, 0
	global_load_dwordx2 v[14:15], v8, s[2:3] offset:32 sc0 sc1
	global_load_dwordx2 v[0:1], v8, s[2:3] offset:40
	v_mov_b32_e32 v12, s4
	v_mov_b32_e32 v13, s5
	s_waitcnt vmcnt(0)
	v_and_b32_e32 v0, s4, v0
	v_and_b32_e32 v1, s5, v1
	v_mul_lo_u32 v1, v1, 24
	v_mul_hi_u32 v2, v0, 24
	v_mul_lo_u32 v0, v0, 24
	v_add_u32_e32 v1, v2, v1
	v_lshl_add_u64 v[4:5], v[6:7], 0, v[0:1]
	global_store_dwordx2 v[4:5], v[14:15], off
	buffer_wbl2 sc0 sc1
	s_waitcnt vmcnt(0)
	global_atomic_cmpswap_x2 v[2:3], v8, v[12:15], s[2:3] offset:32 sc0 sc1
	s_waitcnt vmcnt(0)
	v_cmp_ne_u64_e32 vcc, v[2:3], v[14:15]
	s_and_saveexec_b64 s[8:9], vcc
	s_cbranch_execz .LBB1_12
; %bb.10:
	s_mov_b64 s[10:11], 0
.LBB1_11:                               ; =>This Inner Loop Header: Depth=1
	s_sleep 1
	global_store_dwordx2 v[4:5], v[2:3], off
	v_mov_b32_e32 v0, s4
	v_mov_b32_e32 v1, s5
	buffer_wbl2 sc0 sc1
	s_waitcnt vmcnt(0)
	global_atomic_cmpswap_x2 v[0:1], v8, v[0:3], s[2:3] offset:32 sc0 sc1
	s_waitcnt vmcnt(0)
	v_cmp_eq_u64_e32 vcc, v[0:1], v[2:3]
	s_or_b64 s[10:11], vcc, s[10:11]
	v_mov_b64_e32 v[2:3], v[0:1]
	s_andn2_b64 exec, exec, s[10:11]
	s_cbranch_execnz .LBB1_11
.LBB1_12:
	s_or_b64 exec, exec, s[8:9]
	v_mov_b32_e32 v3, 0
	global_load_dwordx2 v[0:1], v3, s[2:3] offset:16
	s_mov_b64 s[8:9], exec
	v_mbcnt_lo_u32_b32 v2, s8, 0
	v_mbcnt_hi_u32_b32 v2, s9, v2
	v_cmp_eq_u32_e32 vcc, 0, v2
	s_and_saveexec_b64 s[10:11], vcc
	s_cbranch_execz .LBB1_14
; %bb.13:
	s_bcnt1_i32_b64 s8, s[8:9]
	v_mov_b32_e32 v2, s8
	buffer_wbl2 sc0 sc1
	s_waitcnt vmcnt(0)
	global_atomic_add_x2 v[0:1], v[2:3], off offset:8 sc1
.LBB1_14:
	s_or_b64 exec, exec, s[10:11]
	s_waitcnt vmcnt(0)
	global_load_dwordx2 v[2:3], v[0:1], off offset:16
	s_waitcnt vmcnt(0)
	v_cmp_eq_u64_e32 vcc, 0, v[2:3]
	s_cbranch_vccnz .LBB1_16
; %bb.15:
	global_load_dword v0, v[0:1], off offset:24
	v_mov_b32_e32 v1, 0
	s_waitcnt vmcnt(0)
	v_readfirstlane_b32 s8, v0
	s_and_b32 m0, s8, 0xffffff
	buffer_wbl2 sc0 sc1
	global_store_dwordx2 v[2:3], v[0:1], off sc0 sc1
	s_sendmsg sendmsg(MSG_INTERRUPT)
.LBB1_16:
	s_or_b64 exec, exec, s[6:7]
	s_branch .LBB1_20
.LBB1_17:                               ;   in Loop: Header=BB1_20 Depth=1
	s_or_b64 exec, exec, s[6:7]
	v_readfirstlane_b32 s6, v0
	s_cmp_eq_u32 s6, 0
	s_cbranch_scc1 .LBB1_19
; %bb.18:                               ;   in Loop: Header=BB1_20 Depth=1
	s_sleep 1
	s_cbranch_execnz .LBB1_20
	s_branch .LBB1_22
.LBB1_19:
	s_branch .LBB1_22
.LBB1_20:                               ; =>This Inner Loop Header: Depth=1
	v_mov_b32_e32 v0, 1
	s_and_saveexec_b64 s[6:7], s[0:1]
	s_cbranch_execz .LBB1_17
; %bb.21:                               ;   in Loop: Header=BB1_20 Depth=1
	global_load_dword v0, v[10:11], off offset:20 sc0 sc1
	s_waitcnt vmcnt(0)
	buffer_inv sc0 sc1
	v_and_b32_e32 v0, 1, v0
	s_branch .LBB1_17
.LBB1_22:
	s_and_saveexec_b64 s[6:7], s[0:1]
	s_cbranch_execz .LBB1_25
; %bb.23:
	v_mov_b32_e32 v6, 0
	global_load_dwordx2 v[0:1], v6, s[2:3] offset:40
	global_load_dwordx2 v[10:11], v6, s[2:3] offset:24 sc0 sc1
	global_load_dwordx2 v[2:3], v6, s[2:3]
	s_waitcnt vmcnt(2)
	v_readfirstlane_b32 s8, v0
	v_readfirstlane_b32 s9, v1
	s_add_u32 s10, s8, 1
	s_addc_u32 s11, s9, 0
	s_add_u32 s0, s10, s4
	s_addc_u32 s1, s11, s5
	s_cmp_eq_u64 s[0:1], 0
	s_cselect_b32 s1, s11, s1
	s_cselect_b32 s0, s10, s0
	s_and_b64 s[4:5], s[0:1], s[8:9]
	s_mul_i32 s5, s5, 24
	s_mul_hi_u32 s8, s4, 24
	s_mul_i32 s4, s4, 24
	s_add_i32 s5, s8, s5
	s_waitcnt vmcnt(0)
	v_lshl_add_u64 v[4:5], v[2:3], 0, s[4:5]
	v_mov_b32_e32 v8, s0
	global_store_dwordx2 v[4:5], v[10:11], off
	v_mov_b32_e32 v9, s1
	buffer_wbl2 sc0 sc1
	s_waitcnt vmcnt(0)
	global_atomic_cmpswap_x2 v[2:3], v6, v[8:11], s[2:3] offset:24 sc0 sc1
	s_mov_b64 s[4:5], 0
	s_waitcnt vmcnt(0)
	v_cmp_ne_u64_e32 vcc, v[2:3], v[10:11]
	s_and_b64 exec, exec, vcc
	s_cbranch_execz .LBB1_25
.LBB1_24:                               ; =>This Inner Loop Header: Depth=1
	s_sleep 1
	global_store_dwordx2 v[4:5], v[2:3], off
	v_mov_b32_e32 v0, s0
	v_mov_b32_e32 v1, s1
	buffer_wbl2 sc0 sc1
	s_waitcnt vmcnt(0)
	global_atomic_cmpswap_x2 v[0:1], v6, v[0:3], s[2:3] offset:24 sc0 sc1
	s_waitcnt vmcnt(0)
	v_cmp_eq_u64_e32 vcc, v[0:1], v[2:3]
	s_or_b64 s[4:5], vcc, s[4:5]
	v_mov_b64_e32 v[2:3], v[0:1]
	s_andn2_b64 exec, exec, s[4:5]
	s_cbranch_execnz .LBB1_24
.LBB1_25:
	s_or_b64 exec, exec, s[6:7]
	s_waitcnt vmcnt(0) lgkmcnt(0)
	s_setpc_b64 s[30:31]
.Lfunc_end1:
	.size	__ockl_printf_append_args, .Lfunc_end1-__ockl_printf_append_args
                                        ; -- End function
	.set .L__ockl_printf_append_args.num_vgpr, 16
	.set .L__ockl_printf_append_args.num_agpr, 0
	.set .L__ockl_printf_append_args.numbered_sgpr, 32
	.set .L__ockl_printf_append_args.num_named_barrier, 0
	.set .L__ockl_printf_append_args.private_seg_size, 0
	.set .L__ockl_printf_append_args.uses_vcc, 1
	.set .L__ockl_printf_append_args.uses_flat_scratch, 0
	.set .L__ockl_printf_append_args.has_dyn_sized_stack, 0
	.set .L__ockl_printf_append_args.has_recursion, 0
	.set .L__ockl_printf_append_args.has_indirect_call, 0
	.section	.AMDGPU.csdata,"",@progbits
; Function info:
; codeLenInByte = 1216
; TotalNumSgprs: 38
; NumVgprs: 16
; NumAgprs: 0
; TotalNumVgprs: 16
; ScratchSize: 0
; MemoryBound: 0
	.text
	.p2align	2                               ; -- Begin function _ZL14no_device_codePKciS0_iS0_
	.type	_ZL14no_device_codePKciS0_iS0_,@function
_ZL14no_device_codePKciS0_iS0_:         ; @_ZL14no_device_codePKciS0_iS0_
; %bb.0:
	s_waitcnt vmcnt(0) expcnt(0) lgkmcnt(0)
	s_mov_b32 s22, s33
	s_mov_b32 s33, s32
	s_xor_saveexec_b64 s[0:1], -1
	scratch_store_dword off, v33, s33       ; 4-byte Folded Spill
	s_mov_b64 exec, s[0:1]
	v_writelane_b32 v33, s30, 0
	s_add_i32 s32, s32, 16
	s_nop 0
	v_writelane_b32 v33, s31, 1
	s_load_dwordx2 s[2:3], s[8:9], 0x50
	v_mov_b32_e32 v3, v2
	v_mov_b32_e32 v2, v1
	v_mbcnt_lo_u32_b32 v1, -1, 0
	v_mbcnt_hi_u32_b32 v1, -1, v1
	v_mov_b64_e32 v[8:9], 0
	v_readfirstlane_b32 s0, v1
	s_nop 1
	v_cmp_eq_u32_e64 s[0:1], s0, v1
	s_and_saveexec_b64 s[4:5], s[0:1]
	s_cbranch_execz .LBB2_6
; %bb.1:
	v_mov_b32_e32 v4, 0
	s_waitcnt lgkmcnt(0)
	global_load_dwordx2 v[10:11], v4, s[2:3] offset:24 sc0 sc1
	s_waitcnt vmcnt(0)
	buffer_inv sc0 sc1
	global_load_dwordx2 v[6:7], v4, s[2:3] offset:40
	global_load_dwordx2 v[8:9], v4, s[2:3]
	s_waitcnt vmcnt(1)
	v_and_b32_e32 v5, v6, v10
	v_and_b32_e32 v6, v7, v11
	v_mul_lo_u32 v6, v6, 24
	v_mul_hi_u32 v7, v5, 24
	v_add_u32_e32 v7, v7, v6
	v_mul_lo_u32 v6, v5, 24
	s_waitcnt vmcnt(0)
	v_lshl_add_u64 v[6:7], v[8:9], 0, v[6:7]
	global_load_dwordx2 v[8:9], v[6:7], off sc0 sc1
	s_waitcnt vmcnt(0)
	global_atomic_cmpswap_x2 v[8:9], v4, v[8:11], s[2:3] offset:24 sc0 sc1
	s_waitcnt vmcnt(0)
	buffer_inv sc0 sc1
	v_cmp_ne_u64_e32 vcc, v[8:9], v[10:11]
	s_and_saveexec_b64 s[6:7], vcc
	s_cbranch_execz .LBB2_5
; %bb.2:
	s_mov_b64 s[10:11], 0
.LBB2_3:                                ; =>This Inner Loop Header: Depth=1
	s_sleep 1
	global_load_dwordx2 v[6:7], v4, s[2:3] offset:40
	global_load_dwordx2 v[12:13], v4, s[2:3]
	v_mov_b64_e32 v[10:11], v[8:9]
	s_waitcnt vmcnt(1)
	v_and_b32_e32 v6, v6, v10
	v_and_b32_e32 v5, v7, v11
	s_waitcnt vmcnt(0)
	v_mad_u64_u32 v[6:7], s[12:13], v6, 24, v[12:13]
	v_mov_b32_e32 v8, v7
	v_mad_u64_u32 v[8:9], s[12:13], v5, 24, v[8:9]
	v_mov_b32_e32 v7, v8
	global_load_dwordx2 v[8:9], v[6:7], off sc0 sc1
	s_waitcnt vmcnt(0)
	global_atomic_cmpswap_x2 v[8:9], v4, v[8:11], s[2:3] offset:24 sc0 sc1
	s_waitcnt vmcnt(0)
	buffer_inv sc0 sc1
	v_cmp_eq_u64_e32 vcc, v[8:9], v[10:11]
	s_or_b64 s[10:11], vcc, s[10:11]
	s_andn2_b64 exec, exec, s[10:11]
	s_cbranch_execnz .LBB2_3
; %bb.4:
	s_or_b64 exec, exec, s[10:11]
.LBB2_5:
	s_or_b64 exec, exec, s[6:7]
.LBB2_6:
	s_or_b64 exec, exec, s[4:5]
	v_mov_b32_e32 v31, 0
	s_waitcnt lgkmcnt(0)
	global_load_dwordx2 v[10:11], v31, s[2:3] offset:40
	global_load_dwordx4 v[4:7], v31, s[2:3]
	v_readfirstlane_b32 s5, v9
	v_readfirstlane_b32 s4, v8
	s_mov_b64 s[6:7], exec
	s_waitcnt vmcnt(1)
	v_readfirstlane_b32 s10, v10
	v_readfirstlane_b32 s11, v11
	s_and_b64 s[10:11], s[10:11], s[4:5]
	s_mul_i32 s12, s11, 24
	s_mul_hi_u32 s13, s10, 24
	s_add_i32 s13, s13, s12
	s_mul_i32 s12, s10, 24
	s_waitcnt vmcnt(0)
	v_lshl_add_u64 v[8:9], v[4:5], 0, s[12:13]
	s_and_saveexec_b64 s[12:13], s[0:1]
	s_cbranch_execz .LBB2_8
; %bb.7:
	v_mov_b64_e32 v[10:11], s[6:7]
	v_mov_b32_e32 v12, 2
	v_mov_b32_e32 v13, 1
	global_store_dwordx4 v[8:9], v[10:13], off offset:8
.LBB2_8:
	s_or_b64 exec, exec, s[12:13]
	s_lshl_b64 s[6:7], s[10:11], 12
	v_lshl_add_u64 v[10:11], v[6:7], 0, s[6:7]
	s_mov_b32 s12, 0
	v_lshlrev_b32_e32 v30, 6, v1
	v_mov_b32_e32 v12, 33
	v_mov_b32_e32 v13, v31
	v_mov_b32_e32 v14, v31
	v_mov_b32_e32 v15, v31
	v_readfirstlane_b32 s6, v10
	v_readfirstlane_b32 s7, v11
	s_mov_b32 s13, s12
	s_mov_b32 s14, s12
	;; [unrolled: 1-line block ×3, first 2 shown]
	s_nop 1
	global_store_dwordx4 v30, v[12:15], s[6:7]
	s_nop 1
	v_mov_b64_e32 v[12:13], s[12:13]
	v_mov_b64_e32 v[14:15], s[14:15]
	global_store_dwordx4 v30, v[12:15], s[6:7] offset:16
	global_store_dwordx4 v30, v[12:15], s[6:7] offset:32
	;; [unrolled: 1-line block ×3, first 2 shown]
	s_and_saveexec_b64 s[6:7], s[0:1]
	s_cbranch_execz .LBB2_16
; %bb.9:
	v_mov_b32_e32 v14, 0
	global_load_dwordx2 v[18:19], v14, s[2:3] offset:32 sc0 sc1
	global_load_dwordx2 v[6:7], v14, s[2:3] offset:40
	v_mov_b32_e32 v16, s4
	v_mov_b32_e32 v17, s5
	s_waitcnt vmcnt(0)
	v_and_b32_e32 v6, s4, v6
	v_and_b32_e32 v7, s5, v7
	v_mul_lo_u32 v7, v7, 24
	v_mul_hi_u32 v12, v6, 24
	v_mul_lo_u32 v6, v6, 24
	v_add_u32_e32 v7, v12, v7
	v_lshl_add_u64 v[12:13], v[4:5], 0, v[6:7]
	global_store_dwordx2 v[12:13], v[18:19], off
	buffer_wbl2 sc0 sc1
	s_waitcnt vmcnt(0)
	global_atomic_cmpswap_x2 v[6:7], v14, v[16:19], s[2:3] offset:32 sc0 sc1
	s_waitcnt vmcnt(0)
	v_cmp_ne_u64_e32 vcc, v[6:7], v[18:19]
	s_and_saveexec_b64 s[10:11], vcc
	s_cbranch_execz .LBB2_12
; %bb.10:
	s_mov_b64 s[12:13], 0
.LBB2_11:                               ; =>This Inner Loop Header: Depth=1
	s_sleep 1
	global_store_dwordx2 v[12:13], v[6:7], off
	v_mov_b32_e32 v4, s4
	v_mov_b32_e32 v5, s5
	buffer_wbl2 sc0 sc1
	s_waitcnt vmcnt(0)
	global_atomic_cmpswap_x2 v[4:5], v14, v[4:7], s[2:3] offset:32 sc0 sc1
	s_waitcnt vmcnt(0)
	v_cmp_eq_u64_e32 vcc, v[4:5], v[6:7]
	s_or_b64 s[12:13], vcc, s[12:13]
	v_mov_b64_e32 v[6:7], v[4:5]
	s_andn2_b64 exec, exec, s[12:13]
	s_cbranch_execnz .LBB2_11
.LBB2_12:
	s_or_b64 exec, exec, s[10:11]
	v_mov_b32_e32 v7, 0
	global_load_dwordx2 v[4:5], v7, s[2:3] offset:16
	s_mov_b64 s[10:11], exec
	v_mbcnt_lo_u32_b32 v6, s10, 0
	v_mbcnt_hi_u32_b32 v6, s11, v6
	v_cmp_eq_u32_e32 vcc, 0, v6
	s_and_saveexec_b64 s[12:13], vcc
	s_cbranch_execz .LBB2_14
; %bb.13:
	s_bcnt1_i32_b64 s10, s[10:11]
	v_mov_b32_e32 v6, s10
	buffer_wbl2 sc0 sc1
	s_waitcnt vmcnt(0)
	global_atomic_add_x2 v[4:5], v[6:7], off offset:8 sc1
.LBB2_14:
	s_or_b64 exec, exec, s[12:13]
	s_waitcnt vmcnt(0)
	global_load_dwordx2 v[6:7], v[4:5], off offset:16
	s_waitcnt vmcnt(0)
	v_cmp_eq_u64_e32 vcc, 0, v[6:7]
	s_cbranch_vccnz .LBB2_16
; %bb.15:
	global_load_dword v4, v[4:5], off offset:24
	v_mov_b32_e32 v5, 0
	s_waitcnt vmcnt(0)
	v_readfirstlane_b32 s10, v4
	s_and_b32 m0, s10, 0xffffff
	buffer_wbl2 sc0 sc1
	global_store_dwordx2 v[6:7], v[4:5], off sc0 sc1
	s_sendmsg sendmsg(MSG_INTERRUPT)
.LBB2_16:
	s_or_b64 exec, exec, s[6:7]
	v_lshl_add_u64 v[4:5], v[10:11], 0, v[30:31]
	s_branch .LBB2_20
.LBB2_17:                               ;   in Loop: Header=BB2_20 Depth=1
	s_or_b64 exec, exec, s[6:7]
	v_readfirstlane_b32 s6, v6
	s_cmp_eq_u32 s6, 0
	s_cbranch_scc1 .LBB2_19
; %bb.18:                               ;   in Loop: Header=BB2_20 Depth=1
	s_sleep 1
	s_cbranch_execnz .LBB2_20
	s_branch .LBB2_22
.LBB2_19:
	s_branch .LBB2_22
.LBB2_20:                               ; =>This Inner Loop Header: Depth=1
	v_mov_b32_e32 v6, 1
	s_and_saveexec_b64 s[6:7], s[0:1]
	s_cbranch_execz .LBB2_17
; %bb.21:                               ;   in Loop: Header=BB2_20 Depth=1
	global_load_dword v6, v[8:9], off offset:20 sc0 sc1
	s_waitcnt vmcnt(0)
	buffer_inv sc0 sc1
	v_and_b32_e32 v6, 1, v6
	s_branch .LBB2_17
.LBB2_22:
	global_load_dwordx2 v[8:9], v[4:5], off
	s_and_saveexec_b64 s[6:7], s[0:1]
	s_cbranch_execz .LBB2_25
; %bb.23:
	v_mov_b32_e32 v12, 0
	global_load_dwordx2 v[4:5], v12, s[2:3] offset:40
	global_load_dwordx2 v[16:17], v12, s[2:3] offset:24 sc0 sc1
	global_load_dwordx2 v[6:7], v12, s[2:3]
	s_waitcnt vmcnt(2)
	v_readfirstlane_b32 s10, v4
	v_readfirstlane_b32 s11, v5
	s_add_u32 s12, s10, 1
	s_addc_u32 s13, s11, 0
	s_add_u32 s0, s12, s4
	s_addc_u32 s1, s13, s5
	s_cmp_eq_u64 s[0:1], 0
	s_cselect_b32 s1, s13, s1
	s_cselect_b32 s0, s12, s0
	s_and_b64 s[4:5], s[0:1], s[10:11]
	s_mul_i32 s5, s5, 24
	s_mul_hi_u32 s10, s4, 24
	s_mul_i32 s4, s4, 24
	s_add_i32 s5, s10, s5
	s_waitcnt vmcnt(0)
	v_lshl_add_u64 v[10:11], v[6:7], 0, s[4:5]
	v_mov_b32_e32 v14, s0
	global_store_dwordx2 v[10:11], v[16:17], off
	v_mov_b32_e32 v15, s1
	buffer_wbl2 sc0 sc1
	s_waitcnt vmcnt(0)
	global_atomic_cmpswap_x2 v[6:7], v12, v[14:17], s[2:3] offset:24 sc0 sc1
	s_mov_b64 s[4:5], 0
	s_waitcnt vmcnt(0)
	v_cmp_ne_u64_e32 vcc, v[6:7], v[16:17]
	s_and_b64 exec, exec, vcc
	s_cbranch_execz .LBB2_25
.LBB2_24:                               ; =>This Inner Loop Header: Depth=1
	s_sleep 1
	global_store_dwordx2 v[10:11], v[6:7], off
	v_mov_b32_e32 v4, s0
	v_mov_b32_e32 v5, s1
	buffer_wbl2 sc0 sc1
	s_waitcnt vmcnt(0)
	global_atomic_cmpswap_x2 v[4:5], v12, v[4:7], s[2:3] offset:24 sc0 sc1
	s_waitcnt vmcnt(0)
	v_cmp_eq_u64_e32 vcc, v[4:5], v[6:7]
	s_or_b64 s[4:5], vcc, s[4:5]
	v_mov_b64_e32 v[6:7], v[4:5]
	s_andn2_b64 exec, exec, s[4:5]
	s_cbranch_execnz .LBB2_24
.LBB2_25:
	s_or_b64 exec, exec, s[6:7]
	s_getpc_b64 s[4:5]
	s_add_u32 s4, s4, .str.2@rel32@lo+4
	s_addc_u32 s5, s5, .str.2@rel32@hi+12
	s_cmp_lg_u64 s[4:5], 0
	s_cbranch_scc0 .LBB2_110
; %bb.26:
	s_waitcnt vmcnt(0)
	v_and_b32_e32 v32, 2, v8
	v_mov_b32_e32 v35, 0
	v_and_b32_e32 v4, -3, v8
	v_mov_b32_e32 v5, v9
	s_mov_b64 s[6:7], 0x4d
	v_mov_b32_e32 v12, 2
	v_mov_b32_e32 v13, 1
	s_branch .LBB2_28
.LBB2_27:                               ;   in Loop: Header=BB2_28 Depth=1
	s_or_b64 exec, exec, s[14:15]
	s_sub_u32 s6, s6, s10
	s_subb_u32 s7, s7, s11
	s_add_u32 s4, s4, s10
	s_addc_u32 s5, s5, s11
	s_cmp_lg_u64 s[6:7], 0
	s_cbranch_scc0 .LBB2_111
.LBB2_28:                               ; =>This Loop Header: Depth=1
                                        ;     Child Loop BB2_31 Depth 2
                                        ;     Child Loop BB2_39 Depth 2
	;; [unrolled: 1-line block ×11, first 2 shown]
	v_cmp_lt_u64_e64 s[0:1], s[6:7], 56
	s_and_b64 s[0:1], s[0:1], exec
	s_cselect_b32 s11, s7, 0
	s_cselect_b32 s10, s6, 56
	v_cmp_gt_u64_e64 s[12:13], s[6:7], 7
	s_add_u32 s0, s4, 8
	s_addc_u32 s1, s5, 0
	s_and_b64 vcc, exec, s[12:13]
	s_cbranch_vccnz .LBB2_32
; %bb.29:                               ;   in Loop: Header=BB2_28 Depth=1
	s_cmp_eq_u64 s[6:7], 0
	s_cbranch_scc1 .LBB2_33
; %bb.30:                               ;   in Loop: Header=BB2_28 Depth=1
	s_lshl_b64 s[0:1], s[10:11], 3
	s_mov_b64 s[12:13], 0
	v_mov_b64_e32 v[6:7], 0
	s_mov_b64 s[14:15], s[4:5]
.LBB2_31:                               ;   Parent Loop BB2_28 Depth=1
                                        ; =>  This Inner Loop Header: Depth=2
	global_load_ubyte v10, v35, s[14:15]
	s_waitcnt vmcnt(0)
	v_and_b32_e32 v34, 0xffff, v10
	v_lshlrev_b64 v[10:11], s12, v[34:35]
	s_add_u32 s12, s12, 8
	s_addc_u32 s13, s13, 0
	s_add_u32 s14, s14, 1
	s_addc_u32 s15, s15, 0
	v_or_b32_e32 v6, v10, v6
	s_cmp_lg_u32 s0, s12
	v_or_b32_e32 v7, v11, v7
	s_cbranch_scc1 .LBB2_31
	s_branch .LBB2_34
.LBB2_32:                               ;   in Loop: Header=BB2_28 Depth=1
	s_mov_b32 s16, 0
	s_branch .LBB2_35
.LBB2_33:                               ;   in Loop: Header=BB2_28 Depth=1
	v_mov_b64_e32 v[6:7], 0
.LBB2_34:                               ;   in Loop: Header=BB2_28 Depth=1
	s_mov_b64 s[0:1], s[4:5]
	s_mov_b32 s16, 0
	s_cbranch_execnz .LBB2_36
.LBB2_35:                               ;   in Loop: Header=BB2_28 Depth=1
	global_load_dwordx2 v[6:7], v35, s[4:5]
	s_add_i32 s16, s10, -8
.LBB2_36:                               ;   in Loop: Header=BB2_28 Depth=1
	s_add_u32 s12, s0, 8
	s_addc_u32 s13, s1, 0
	s_cmp_gt_u32 s16, 7
	s_cbranch_scc1 .LBB2_40
; %bb.37:                               ;   in Loop: Header=BB2_28 Depth=1
	s_cmp_eq_u32 s16, 0
	s_cbranch_scc1 .LBB2_41
; %bb.38:                               ;   in Loop: Header=BB2_28 Depth=1
	s_mov_b64 s[12:13], 0
	v_mov_b64_e32 v[14:15], 0
	s_mov_b64 s[14:15], 0
.LBB2_39:                               ;   Parent Loop BB2_28 Depth=1
                                        ; =>  This Inner Loop Header: Depth=2
	s_add_u32 s18, s0, s14
	s_addc_u32 s19, s1, s15
	global_load_ubyte v10, v35, s[18:19]
	s_add_u32 s14, s14, 1
	s_addc_u32 s15, s15, 0
	s_waitcnt vmcnt(0)
	v_and_b32_e32 v34, 0xffff, v10
	v_lshlrev_b64 v[10:11], s12, v[34:35]
	s_add_u32 s12, s12, 8
	s_addc_u32 s13, s13, 0
	v_or_b32_e32 v14, v10, v14
	s_cmp_lg_u32 s16, s14
	v_or_b32_e32 v15, v11, v15
	s_cbranch_scc1 .LBB2_39
	s_branch .LBB2_42
.LBB2_40:                               ;   in Loop: Header=BB2_28 Depth=1
                                        ; implicit-def: $vgpr14_vgpr15
	s_mov_b32 s17, 0
	s_branch .LBB2_43
.LBB2_41:                               ;   in Loop: Header=BB2_28 Depth=1
	v_mov_b64_e32 v[14:15], 0
.LBB2_42:                               ;   in Loop: Header=BB2_28 Depth=1
	s_mov_b64 s[12:13], s[0:1]
	s_mov_b32 s17, 0
	s_cbranch_execnz .LBB2_44
.LBB2_43:                               ;   in Loop: Header=BB2_28 Depth=1
	global_load_dwordx2 v[14:15], v35, s[0:1]
	s_add_i32 s17, s16, -8
.LBB2_44:                               ;   in Loop: Header=BB2_28 Depth=1
	s_add_u32 s0, s12, 8
	s_addc_u32 s1, s13, 0
	s_cmp_gt_u32 s17, 7
	s_cbranch_scc1 .LBB2_48
; %bb.45:                               ;   in Loop: Header=BB2_28 Depth=1
	s_cmp_eq_u32 s17, 0
	s_cbranch_scc1 .LBB2_49
; %bb.46:                               ;   in Loop: Header=BB2_28 Depth=1
	s_mov_b64 s[0:1], 0
	v_mov_b64_e32 v[16:17], 0
	s_mov_b64 s[14:15], 0
.LBB2_47:                               ;   Parent Loop BB2_28 Depth=1
                                        ; =>  This Inner Loop Header: Depth=2
	s_add_u32 s18, s12, s14
	s_addc_u32 s19, s13, s15
	global_load_ubyte v10, v35, s[18:19]
	s_add_u32 s14, s14, 1
	s_addc_u32 s15, s15, 0
	s_waitcnt vmcnt(0)
	v_and_b32_e32 v34, 0xffff, v10
	v_lshlrev_b64 v[10:11], s0, v[34:35]
	s_add_u32 s0, s0, 8
	s_addc_u32 s1, s1, 0
	v_or_b32_e32 v16, v10, v16
	s_cmp_lg_u32 s17, s14
	v_or_b32_e32 v17, v11, v17
	s_cbranch_scc1 .LBB2_47
	s_branch .LBB2_50
.LBB2_48:                               ;   in Loop: Header=BB2_28 Depth=1
	s_mov_b32 s16, 0
	s_branch .LBB2_51
.LBB2_49:                               ;   in Loop: Header=BB2_28 Depth=1
	v_mov_b64_e32 v[16:17], 0
.LBB2_50:                               ;   in Loop: Header=BB2_28 Depth=1
	s_mov_b64 s[0:1], s[12:13]
	s_mov_b32 s16, 0
	s_cbranch_execnz .LBB2_52
.LBB2_51:                               ;   in Loop: Header=BB2_28 Depth=1
	global_load_dwordx2 v[16:17], v35, s[12:13]
	s_add_i32 s16, s17, -8
.LBB2_52:                               ;   in Loop: Header=BB2_28 Depth=1
	s_add_u32 s12, s0, 8
	s_addc_u32 s13, s1, 0
	s_cmp_gt_u32 s16, 7
	s_cbranch_scc1 .LBB2_56
; %bb.53:                               ;   in Loop: Header=BB2_28 Depth=1
	s_cmp_eq_u32 s16, 0
	s_cbranch_scc1 .LBB2_57
; %bb.54:                               ;   in Loop: Header=BB2_28 Depth=1
	s_mov_b64 s[12:13], 0
	v_mov_b64_e32 v[18:19], 0
	s_mov_b64 s[14:15], 0
.LBB2_55:                               ;   Parent Loop BB2_28 Depth=1
                                        ; =>  This Inner Loop Header: Depth=2
	s_add_u32 s18, s0, s14
	s_addc_u32 s19, s1, s15
	global_load_ubyte v10, v35, s[18:19]
	s_add_u32 s14, s14, 1
	s_addc_u32 s15, s15, 0
	s_waitcnt vmcnt(0)
	v_and_b32_e32 v34, 0xffff, v10
	v_lshlrev_b64 v[10:11], s12, v[34:35]
	s_add_u32 s12, s12, 8
	s_addc_u32 s13, s13, 0
	v_or_b32_e32 v18, v10, v18
	s_cmp_lg_u32 s16, s14
	v_or_b32_e32 v19, v11, v19
	s_cbranch_scc1 .LBB2_55
	s_branch .LBB2_58
.LBB2_56:                               ;   in Loop: Header=BB2_28 Depth=1
                                        ; implicit-def: $vgpr18_vgpr19
	s_mov_b32 s17, 0
	s_branch .LBB2_59
.LBB2_57:                               ;   in Loop: Header=BB2_28 Depth=1
	v_mov_b64_e32 v[18:19], 0
.LBB2_58:                               ;   in Loop: Header=BB2_28 Depth=1
	s_mov_b64 s[12:13], s[0:1]
	s_mov_b32 s17, 0
	s_cbranch_execnz .LBB2_60
.LBB2_59:                               ;   in Loop: Header=BB2_28 Depth=1
	global_load_dwordx2 v[18:19], v35, s[0:1]
	s_add_i32 s17, s16, -8
.LBB2_60:                               ;   in Loop: Header=BB2_28 Depth=1
	s_add_u32 s0, s12, 8
	s_addc_u32 s1, s13, 0
	s_cmp_gt_u32 s17, 7
	s_cbranch_scc1 .LBB2_64
; %bb.61:                               ;   in Loop: Header=BB2_28 Depth=1
	s_cmp_eq_u32 s17, 0
	s_cbranch_scc1 .LBB2_65
; %bb.62:                               ;   in Loop: Header=BB2_28 Depth=1
	s_mov_b64 s[0:1], 0
	v_mov_b64_e32 v[20:21], 0
	s_mov_b64 s[14:15], 0
.LBB2_63:                               ;   Parent Loop BB2_28 Depth=1
                                        ; =>  This Inner Loop Header: Depth=2
	s_add_u32 s18, s12, s14
	s_addc_u32 s19, s13, s15
	global_load_ubyte v10, v35, s[18:19]
	s_add_u32 s14, s14, 1
	s_addc_u32 s15, s15, 0
	s_waitcnt vmcnt(0)
	v_and_b32_e32 v34, 0xffff, v10
	v_lshlrev_b64 v[10:11], s0, v[34:35]
	s_add_u32 s0, s0, 8
	s_addc_u32 s1, s1, 0
	v_or_b32_e32 v20, v10, v20
	s_cmp_lg_u32 s17, s14
	v_or_b32_e32 v21, v11, v21
	s_cbranch_scc1 .LBB2_63
	s_branch .LBB2_66
.LBB2_64:                               ;   in Loop: Header=BB2_28 Depth=1
	s_mov_b32 s16, 0
	s_branch .LBB2_67
.LBB2_65:                               ;   in Loop: Header=BB2_28 Depth=1
	v_mov_b64_e32 v[20:21], 0
.LBB2_66:                               ;   in Loop: Header=BB2_28 Depth=1
	s_mov_b64 s[0:1], s[12:13]
	s_mov_b32 s16, 0
	s_cbranch_execnz .LBB2_68
.LBB2_67:                               ;   in Loop: Header=BB2_28 Depth=1
	global_load_dwordx2 v[20:21], v35, s[12:13]
	s_add_i32 s16, s17, -8
.LBB2_68:                               ;   in Loop: Header=BB2_28 Depth=1
	s_add_u32 s12, s0, 8
	s_addc_u32 s13, s1, 0
	s_cmp_gt_u32 s16, 7
	s_cbranch_scc1 .LBB2_72
; %bb.69:                               ;   in Loop: Header=BB2_28 Depth=1
	s_cmp_eq_u32 s16, 0
	s_cbranch_scc1 .LBB2_73
; %bb.70:                               ;   in Loop: Header=BB2_28 Depth=1
	s_mov_b64 s[12:13], 0
	v_mov_b64_e32 v[22:23], 0
	s_mov_b64 s[14:15], 0
.LBB2_71:                               ;   Parent Loop BB2_28 Depth=1
                                        ; =>  This Inner Loop Header: Depth=2
	s_add_u32 s18, s0, s14
	s_addc_u32 s19, s1, s15
	global_load_ubyte v10, v35, s[18:19]
	s_add_u32 s14, s14, 1
	s_addc_u32 s15, s15, 0
	s_waitcnt vmcnt(0)
	v_and_b32_e32 v34, 0xffff, v10
	v_lshlrev_b64 v[10:11], s12, v[34:35]
	s_add_u32 s12, s12, 8
	s_addc_u32 s13, s13, 0
	v_or_b32_e32 v22, v10, v22
	s_cmp_lg_u32 s16, s14
	v_or_b32_e32 v23, v11, v23
	s_cbranch_scc1 .LBB2_71
	s_branch .LBB2_74
.LBB2_72:                               ;   in Loop: Header=BB2_28 Depth=1
                                        ; implicit-def: $vgpr22_vgpr23
	s_mov_b32 s17, 0
	s_branch .LBB2_75
.LBB2_73:                               ;   in Loop: Header=BB2_28 Depth=1
	v_mov_b64_e32 v[22:23], 0
.LBB2_74:                               ;   in Loop: Header=BB2_28 Depth=1
	s_mov_b64 s[12:13], s[0:1]
	s_mov_b32 s17, 0
	s_cbranch_execnz .LBB2_76
.LBB2_75:                               ;   in Loop: Header=BB2_28 Depth=1
	global_load_dwordx2 v[22:23], v35, s[0:1]
	s_add_i32 s17, s16, -8
.LBB2_76:                               ;   in Loop: Header=BB2_28 Depth=1
	s_cmp_gt_u32 s17, 7
	s_cbranch_scc1 .LBB2_80
; %bb.77:                               ;   in Loop: Header=BB2_28 Depth=1
	s_cmp_eq_u32 s17, 0
	s_cbranch_scc1 .LBB2_81
; %bb.78:                               ;   in Loop: Header=BB2_28 Depth=1
	s_mov_b64 s[0:1], 0
	v_mov_b64_e32 v[24:25], 0
	s_mov_b64 s[14:15], s[12:13]
.LBB2_79:                               ;   Parent Loop BB2_28 Depth=1
                                        ; =>  This Inner Loop Header: Depth=2
	global_load_ubyte v10, v35, s[14:15]
	s_add_i32 s17, s17, -1
	s_waitcnt vmcnt(0)
	v_and_b32_e32 v34, 0xffff, v10
	v_lshlrev_b64 v[10:11], s0, v[34:35]
	s_add_u32 s0, s0, 8
	s_addc_u32 s1, s1, 0
	s_add_u32 s14, s14, 1
	s_addc_u32 s15, s15, 0
	v_or_b32_e32 v24, v10, v24
	s_cmp_lg_u32 s17, 0
	v_or_b32_e32 v25, v11, v25
	s_cbranch_scc1 .LBB2_79
	s_branch .LBB2_82
.LBB2_80:                               ;   in Loop: Header=BB2_28 Depth=1
	s_branch .LBB2_83
.LBB2_81:                               ;   in Loop: Header=BB2_28 Depth=1
	v_mov_b64_e32 v[24:25], 0
.LBB2_82:                               ;   in Loop: Header=BB2_28 Depth=1
	s_cbranch_execnz .LBB2_84
.LBB2_83:                               ;   in Loop: Header=BB2_28 Depth=1
	global_load_dwordx2 v[24:25], v35, s[12:13]
.LBB2_84:                               ;   in Loop: Header=BB2_28 Depth=1
	v_readfirstlane_b32 s0, v1
	v_mov_b64_e32 v[10:11], 0
	s_nop 0
	v_cmp_eq_u32_e64 s[0:1], s0, v1
	s_and_saveexec_b64 s[12:13], s[0:1]
	s_cbranch_execz .LBB2_90
; %bb.85:                               ;   in Loop: Header=BB2_28 Depth=1
	global_load_dwordx2 v[28:29], v35, s[2:3] offset:24 sc0 sc1
	s_waitcnt vmcnt(0)
	buffer_inv sc0 sc1
	global_load_dwordx2 v[10:11], v35, s[2:3] offset:40
	global_load_dwordx2 v[26:27], v35, s[2:3]
	s_waitcnt vmcnt(1)
	v_and_b32_e32 v10, v10, v28
	v_and_b32_e32 v11, v11, v29
	v_mul_lo_u32 v11, v11, 24
	v_mul_hi_u32 v31, v10, 24
	v_add_u32_e32 v11, v31, v11
	v_mul_lo_u32 v10, v10, 24
	s_waitcnt vmcnt(0)
	v_lshl_add_u64 v[10:11], v[26:27], 0, v[10:11]
	global_load_dwordx2 v[26:27], v[10:11], off sc0 sc1
	s_waitcnt vmcnt(0)
	global_atomic_cmpswap_x2 v[10:11], v35, v[26:29], s[2:3] offset:24 sc0 sc1
	s_waitcnt vmcnt(0)
	buffer_inv sc0 sc1
	v_cmp_ne_u64_e32 vcc, v[10:11], v[28:29]
	s_and_saveexec_b64 s[14:15], vcc
	s_cbranch_execz .LBB2_89
; %bb.86:                               ;   in Loop: Header=BB2_28 Depth=1
	s_mov_b64 s[16:17], 0
.LBB2_87:                               ;   Parent Loop BB2_28 Depth=1
                                        ; =>  This Inner Loop Header: Depth=2
	s_sleep 1
	global_load_dwordx2 v[26:27], v35, s[2:3] offset:40
	global_load_dwordx2 v[36:37], v35, s[2:3]
	v_mov_b64_e32 v[28:29], v[10:11]
	s_waitcnt vmcnt(1)
	v_and_b32_e32 v10, v26, v28
	s_waitcnt vmcnt(0)
	v_mad_u64_u32 v[10:11], s[18:19], v10, 24, v[36:37]
	v_and_b32_e32 v27, v27, v29
	v_mov_b32_e32 v26, v11
	v_mad_u64_u32 v[26:27], s[18:19], v27, 24, v[26:27]
	v_mov_b32_e32 v11, v26
	global_load_dwordx2 v[26:27], v[10:11], off sc0 sc1
	s_waitcnt vmcnt(0)
	global_atomic_cmpswap_x2 v[10:11], v35, v[26:29], s[2:3] offset:24 sc0 sc1
	s_waitcnt vmcnt(0)
	buffer_inv sc0 sc1
	v_cmp_eq_u64_e32 vcc, v[10:11], v[28:29]
	s_or_b64 s[16:17], vcc, s[16:17]
	s_andn2_b64 exec, exec, s[16:17]
	s_cbranch_execnz .LBB2_87
; %bb.88:                               ;   in Loop: Header=BB2_28 Depth=1
	s_or_b64 exec, exec, s[16:17]
.LBB2_89:                               ;   in Loop: Header=BB2_28 Depth=1
	s_or_b64 exec, exec, s[14:15]
.LBB2_90:                               ;   in Loop: Header=BB2_28 Depth=1
	s_or_b64 exec, exec, s[12:13]
	global_load_dwordx2 v[36:37], v35, s[2:3] offset:40
	global_load_dwordx4 v[26:29], v35, s[2:3]
	v_readfirstlane_b32 s13, v11
	v_readfirstlane_b32 s12, v10
	s_mov_b64 s[14:15], exec
	s_waitcnt vmcnt(1)
	v_readfirstlane_b32 s16, v36
	v_readfirstlane_b32 s17, v37
	s_and_b64 s[16:17], s[16:17], s[12:13]
	s_mul_i32 s18, s17, 24
	s_mul_hi_u32 s19, s16, 24
	s_add_i32 s19, s19, s18
	s_mul_i32 s18, s16, 24
	s_waitcnt vmcnt(0)
	v_lshl_add_u64 v[36:37], v[26:27], 0, s[18:19]
	s_and_saveexec_b64 s[18:19], s[0:1]
	s_cbranch_execz .LBB2_92
; %bb.91:                               ;   in Loop: Header=BB2_28 Depth=1
	v_mov_b64_e32 v[10:11], s[14:15]
	global_store_dwordx4 v[36:37], v[10:13], off offset:8
.LBB2_92:                               ;   in Loop: Header=BB2_28 Depth=1
	s_or_b64 exec, exec, s[18:19]
	s_lshl_b64 s[14:15], s[16:17], 12
	v_lshl_add_u64 v[10:11], v[28:29], 0, s[14:15]
	v_cmp_lt_u64_e64 vcc, s[6:7], 57
	s_lshl_b32 s14, s10, 2
	s_add_i32 s14, s14, 28
	v_cndmask_b32_e32 v28, 0, v32, vcc
	v_and_b32_e32 v4, 0xffffff1f, v4
	s_and_b32 s14, s14, 0x1e0
	v_or_b32_e32 v4, v4, v28
	v_or_b32_e32 v4, s14, v4
	v_readfirstlane_b32 s14, v10
	v_readfirstlane_b32 s15, v11
	s_nop 4
	global_store_dwordx4 v30, v[4:7], s[14:15]
	global_store_dwordx4 v30, v[14:17], s[14:15] offset:16
	global_store_dwordx4 v30, v[18:21], s[14:15] offset:32
	;; [unrolled: 1-line block ×3, first 2 shown]
	s_and_saveexec_b64 s[14:15], s[0:1]
	s_cbranch_execz .LBB2_100
; %bb.93:                               ;   in Loop: Header=BB2_28 Depth=1
	global_load_dwordx2 v[18:19], v35, s[2:3] offset:32 sc0 sc1
	global_load_dwordx2 v[4:5], v35, s[2:3] offset:40
	v_mov_b32_e32 v16, s12
	v_mov_b32_e32 v17, s13
	s_waitcnt vmcnt(0)
	v_readfirstlane_b32 s16, v4
	v_readfirstlane_b32 s17, v5
	s_and_b64 s[16:17], s[16:17], s[12:13]
	s_mul_i32 s17, s17, 24
	s_mul_hi_u32 s18, s16, 24
	s_mul_i32 s16, s16, 24
	s_add_i32 s17, s18, s17
	v_lshl_add_u64 v[14:15], v[26:27], 0, s[16:17]
	global_store_dwordx2 v[14:15], v[18:19], off
	buffer_wbl2 sc0 sc1
	s_waitcnt vmcnt(0)
	global_atomic_cmpswap_x2 v[6:7], v35, v[16:19], s[2:3] offset:32 sc0 sc1
	s_waitcnt vmcnt(0)
	v_cmp_ne_u64_e32 vcc, v[6:7], v[18:19]
	s_and_saveexec_b64 s[16:17], vcc
	s_cbranch_execz .LBB2_96
; %bb.94:                               ;   in Loop: Header=BB2_28 Depth=1
	s_mov_b64 s[18:19], 0
.LBB2_95:                               ;   Parent Loop BB2_28 Depth=1
                                        ; =>  This Inner Loop Header: Depth=2
	s_sleep 1
	global_store_dwordx2 v[14:15], v[6:7], off
	v_mov_b32_e32 v4, s12
	v_mov_b32_e32 v5, s13
	buffer_wbl2 sc0 sc1
	s_waitcnt vmcnt(0)
	global_atomic_cmpswap_x2 v[4:5], v35, v[4:7], s[2:3] offset:32 sc0 sc1
	s_waitcnt vmcnt(0)
	v_cmp_eq_u64_e32 vcc, v[4:5], v[6:7]
	s_or_b64 s[18:19], vcc, s[18:19]
	v_mov_b64_e32 v[6:7], v[4:5]
	s_andn2_b64 exec, exec, s[18:19]
	s_cbranch_execnz .LBB2_95
.LBB2_96:                               ;   in Loop: Header=BB2_28 Depth=1
	s_or_b64 exec, exec, s[16:17]
	global_load_dwordx2 v[4:5], v35, s[2:3] offset:16
	s_mov_b64 s[18:19], exec
	v_mbcnt_lo_u32_b32 v6, s18, 0
	v_mbcnt_hi_u32_b32 v6, s19, v6
	v_cmp_eq_u32_e32 vcc, 0, v6
	s_and_saveexec_b64 s[16:17], vcc
	s_cbranch_execz .LBB2_98
; %bb.97:                               ;   in Loop: Header=BB2_28 Depth=1
	s_bcnt1_i32_b64 s18, s[18:19]
	v_mov_b32_e32 v34, s18
	buffer_wbl2 sc0 sc1
	s_waitcnt vmcnt(0)
	global_atomic_add_x2 v[4:5], v[34:35], off offset:8 sc1
.LBB2_98:                               ;   in Loop: Header=BB2_28 Depth=1
	s_or_b64 exec, exec, s[16:17]
	s_waitcnt vmcnt(0)
	global_load_dwordx2 v[6:7], v[4:5], off offset:16
	s_waitcnt vmcnt(0)
	v_cmp_eq_u64_e32 vcc, 0, v[6:7]
	s_cbranch_vccnz .LBB2_100
; %bb.99:                               ;   in Loop: Header=BB2_28 Depth=1
	global_load_dword v34, v[4:5], off offset:24
	s_waitcnt vmcnt(0)
	v_readfirstlane_b32 s16, v34
	s_and_b32 m0, s16, 0xffffff
	buffer_wbl2 sc0 sc1
	global_store_dwordx2 v[6:7], v[34:35], off sc0 sc1
	s_sendmsg sendmsg(MSG_INTERRUPT)
.LBB2_100:                              ;   in Loop: Header=BB2_28 Depth=1
	s_or_b64 exec, exec, s[14:15]
	v_mov_b32_e32 v31, v35
	v_lshl_add_u64 v[4:5], v[10:11], 0, v[30:31]
	s_branch .LBB2_104
.LBB2_101:                              ;   in Loop: Header=BB2_104 Depth=2
	s_or_b64 exec, exec, s[14:15]
	v_readfirstlane_b32 s14, v6
	s_cmp_eq_u32 s14, 0
	s_cbranch_scc1 .LBB2_103
; %bb.102:                              ;   in Loop: Header=BB2_104 Depth=2
	s_sleep 1
	s_cbranch_execnz .LBB2_104
	s_branch .LBB2_106
.LBB2_103:                              ;   in Loop: Header=BB2_28 Depth=1
	s_branch .LBB2_106
.LBB2_104:                              ;   Parent Loop BB2_28 Depth=1
                                        ; =>  This Inner Loop Header: Depth=2
	v_mov_b32_e32 v6, 1
	s_and_saveexec_b64 s[14:15], s[0:1]
	s_cbranch_execz .LBB2_101
; %bb.105:                              ;   in Loop: Header=BB2_104 Depth=2
	global_load_dword v6, v[36:37], off offset:20 sc0 sc1
	s_waitcnt vmcnt(0)
	buffer_inv sc0 sc1
	v_and_b32_e32 v6, 1, v6
	s_branch .LBB2_101
.LBB2_106:                              ;   in Loop: Header=BB2_28 Depth=1
	global_load_dwordx2 v[4:5], v[4:5], off
	s_and_saveexec_b64 s[14:15], s[0:1]
	s_cbranch_execz .LBB2_27
; %bb.107:                              ;   in Loop: Header=BB2_28 Depth=1
	global_load_dwordx2 v[6:7], v35, s[2:3] offset:40
	global_load_dwordx2 v[18:19], v35, s[2:3] offset:24 sc0 sc1
	global_load_dwordx2 v[10:11], v35, s[2:3]
	s_waitcnt vmcnt(2)
	v_readfirstlane_b32 s16, v6
	v_readfirstlane_b32 s17, v7
	s_add_u32 s18, s16, 1
	s_addc_u32 s19, s17, 0
	s_add_u32 s0, s18, s12
	s_addc_u32 s1, s19, s13
	s_cmp_eq_u64 s[0:1], 0
	s_cselect_b32 s1, s19, s1
	s_cselect_b32 s0, s18, s0
	s_and_b64 s[12:13], s[0:1], s[16:17]
	s_mul_i32 s13, s13, 24
	s_mul_hi_u32 s16, s12, 24
	s_mul_i32 s12, s12, 24
	s_add_i32 s13, s16, s13
	s_waitcnt vmcnt(0)
	v_lshl_add_u64 v[6:7], v[10:11], 0, s[12:13]
	v_mov_b32_e32 v16, s0
	global_store_dwordx2 v[6:7], v[18:19], off
	v_mov_b32_e32 v17, s1
	buffer_wbl2 sc0 sc1
	s_waitcnt vmcnt(0)
	global_atomic_cmpswap_x2 v[16:17], v35, v[16:19], s[2:3] offset:24 sc0 sc1
	s_waitcnt vmcnt(0)
	v_cmp_ne_u64_e32 vcc, v[16:17], v[18:19]
	s_and_b64 exec, exec, vcc
	s_cbranch_execz .LBB2_27
; %bb.108:                              ;   in Loop: Header=BB2_28 Depth=1
	s_mov_b64 s[12:13], 0
.LBB2_109:                              ;   Parent Loop BB2_28 Depth=1
                                        ; =>  This Inner Loop Header: Depth=2
	s_sleep 1
	global_store_dwordx2 v[6:7], v[16:17], off
	v_mov_b32_e32 v14, s0
	v_mov_b32_e32 v15, s1
	buffer_wbl2 sc0 sc1
	s_waitcnt vmcnt(0)
	global_atomic_cmpswap_x2 v[10:11], v35, v[14:17], s[2:3] offset:24 sc0 sc1
	s_waitcnt vmcnt(0)
	v_cmp_eq_u64_e32 vcc, v[10:11], v[16:17]
	s_or_b64 s[12:13], vcc, s[12:13]
	v_mov_b64_e32 v[16:17], v[10:11]
	s_andn2_b64 exec, exec, s[12:13]
	s_cbranch_execnz .LBB2_109
	s_branch .LBB2_27
.LBB2_110:
                                        ; implicit-def: $vgpr4_vgpr5
	s_cbranch_execnz .LBB2_112
	s_branch .LBB2_138
.LBB2_111:
	s_branch .LBB2_138
.LBB2_112:
	v_readfirstlane_b32 s0, v1
	v_mov_b64_e32 v[10:11], 0
	s_nop 0
	v_cmp_eq_u32_e64 s[0:1], s0, v1
	s_and_saveexec_b64 s[4:5], s[0:1]
	s_cbranch_execz .LBB2_118
; %bb.113:
	s_waitcnt vmcnt(0)
	v_mov_b32_e32 v4, 0
	global_load_dwordx2 v[12:13], v4, s[2:3] offset:24 sc0 sc1
	s_waitcnt vmcnt(0)
	buffer_inv sc0 sc1
	global_load_dwordx2 v[6:7], v4, s[2:3] offset:40
	global_load_dwordx2 v[10:11], v4, s[2:3]
	s_waitcnt vmcnt(1)
	v_and_b32_e32 v5, v6, v12
	v_and_b32_e32 v6, v7, v13
	v_mul_lo_u32 v6, v6, 24
	v_mul_hi_u32 v7, v5, 24
	v_add_u32_e32 v7, v7, v6
	v_mul_lo_u32 v6, v5, 24
	s_waitcnt vmcnt(0)
	v_lshl_add_u64 v[6:7], v[10:11], 0, v[6:7]
	global_load_dwordx2 v[10:11], v[6:7], off sc0 sc1
	s_waitcnt vmcnt(0)
	global_atomic_cmpswap_x2 v[10:11], v4, v[10:13], s[2:3] offset:24 sc0 sc1
	s_waitcnt vmcnt(0)
	buffer_inv sc0 sc1
	v_cmp_ne_u64_e32 vcc, v[10:11], v[12:13]
	s_and_saveexec_b64 s[6:7], vcc
	s_cbranch_execz .LBB2_117
; %bb.114:
	s_mov_b64 s[10:11], 0
.LBB2_115:                              ; =>This Inner Loop Header: Depth=1
	s_sleep 1
	global_load_dwordx2 v[6:7], v4, s[2:3] offset:40
	global_load_dwordx2 v[14:15], v4, s[2:3]
	v_mov_b64_e32 v[12:13], v[10:11]
	s_waitcnt vmcnt(1)
	v_and_b32_e32 v6, v6, v12
	v_and_b32_e32 v5, v7, v13
	s_waitcnt vmcnt(0)
	v_mad_u64_u32 v[6:7], s[12:13], v6, 24, v[14:15]
	v_mov_b32_e32 v10, v7
	v_mad_u64_u32 v[10:11], s[12:13], v5, 24, v[10:11]
	v_mov_b32_e32 v7, v10
	global_load_dwordx2 v[10:11], v[6:7], off sc0 sc1
	s_waitcnt vmcnt(0)
	global_atomic_cmpswap_x2 v[10:11], v4, v[10:13], s[2:3] offset:24 sc0 sc1
	s_waitcnt vmcnt(0)
	buffer_inv sc0 sc1
	v_cmp_eq_u64_e32 vcc, v[10:11], v[12:13]
	s_or_b64 s[10:11], vcc, s[10:11]
	s_andn2_b64 exec, exec, s[10:11]
	s_cbranch_execnz .LBB2_115
; %bb.116:
	s_or_b64 exec, exec, s[10:11]
.LBB2_117:
	s_or_b64 exec, exec, s[6:7]
.LBB2_118:
	s_or_b64 exec, exec, s[4:5]
	v_mov_b32_e32 v31, 0
	global_load_dwordx2 v[12:13], v31, s[2:3] offset:40
	global_load_dwordx4 v[4:7], v31, s[2:3]
	v_readfirstlane_b32 s5, v11
	v_readfirstlane_b32 s4, v10
	s_mov_b64 s[6:7], exec
	s_waitcnt vmcnt(1)
	v_readfirstlane_b32 s10, v12
	v_readfirstlane_b32 s11, v13
	s_and_b64 s[10:11], s[10:11], s[4:5]
	s_mul_i32 s12, s11, 24
	s_mul_hi_u32 s13, s10, 24
	s_add_i32 s13, s13, s12
	s_mul_i32 s12, s10, 24
	s_waitcnt vmcnt(0)
	v_lshl_add_u64 v[12:13], v[4:5], 0, s[12:13]
	s_and_saveexec_b64 s[12:13], s[0:1]
	s_cbranch_execz .LBB2_120
; %bb.119:
	v_mov_b64_e32 v[14:15], s[6:7]
	v_mov_b32_e32 v16, 2
	v_mov_b32_e32 v17, 1
	global_store_dwordx4 v[12:13], v[14:17], off offset:8
.LBB2_120:
	s_or_b64 exec, exec, s[12:13]
	s_lshl_b64 s[6:7], s[10:11], 12
	v_lshl_add_u64 v[14:15], v[6:7], 0, s[6:7]
	s_movk_i32 s6, 0xff1f
	s_mov_b32 s12, 0
	v_and_or_b32 v8, v8, s6, 32
	v_mov_b32_e32 v10, v31
	v_mov_b32_e32 v11, v31
	v_readfirstlane_b32 s6, v14
	v_readfirstlane_b32 s7, v15
	s_mov_b32 s13, s12
	s_mov_b32 s14, s12
	;; [unrolled: 1-line block ×3, first 2 shown]
	s_nop 1
	global_store_dwordx4 v30, v[8:11], s[6:7]
	v_mov_b64_e32 v[6:7], s[12:13]
	s_nop 0
	v_mov_b64_e32 v[8:9], s[14:15]
	global_store_dwordx4 v30, v[6:9], s[6:7] offset:16
	global_store_dwordx4 v30, v[6:9], s[6:7] offset:32
	;; [unrolled: 1-line block ×3, first 2 shown]
	s_and_saveexec_b64 s[6:7], s[0:1]
	s_cbranch_execz .LBB2_128
; %bb.121:
	v_mov_b32_e32 v10, 0
	global_load_dwordx2 v[18:19], v10, s[2:3] offset:32 sc0 sc1
	global_load_dwordx2 v[6:7], v10, s[2:3] offset:40
	v_mov_b32_e32 v16, s4
	v_mov_b32_e32 v17, s5
	s_waitcnt vmcnt(0)
	v_readfirstlane_b32 s10, v6
	v_readfirstlane_b32 s11, v7
	s_and_b64 s[10:11], s[10:11], s[4:5]
	s_mul_i32 s11, s11, 24
	s_mul_hi_u32 s12, s10, 24
	s_mul_i32 s10, s10, 24
	s_add_i32 s11, s12, s11
	v_lshl_add_u64 v[8:9], v[4:5], 0, s[10:11]
	global_store_dwordx2 v[8:9], v[18:19], off
	buffer_wbl2 sc0 sc1
	s_waitcnt vmcnt(0)
	global_atomic_cmpswap_x2 v[6:7], v10, v[16:19], s[2:3] offset:32 sc0 sc1
	s_waitcnt vmcnt(0)
	v_cmp_ne_u64_e32 vcc, v[6:7], v[18:19]
	s_and_saveexec_b64 s[10:11], vcc
	s_cbranch_execz .LBB2_124
; %bb.122:
	s_mov_b64 s[12:13], 0
.LBB2_123:                              ; =>This Inner Loop Header: Depth=1
	s_sleep 1
	global_store_dwordx2 v[8:9], v[6:7], off
	v_mov_b32_e32 v4, s4
	v_mov_b32_e32 v5, s5
	buffer_wbl2 sc0 sc1
	s_waitcnt vmcnt(0)
	global_atomic_cmpswap_x2 v[4:5], v10, v[4:7], s[2:3] offset:32 sc0 sc1
	s_waitcnt vmcnt(0)
	v_cmp_eq_u64_e32 vcc, v[4:5], v[6:7]
	s_or_b64 s[12:13], vcc, s[12:13]
	v_mov_b64_e32 v[6:7], v[4:5]
	s_andn2_b64 exec, exec, s[12:13]
	s_cbranch_execnz .LBB2_123
.LBB2_124:
	s_or_b64 exec, exec, s[10:11]
	v_mov_b32_e32 v7, 0
	global_load_dwordx2 v[4:5], v7, s[2:3] offset:16
	s_mov_b64 s[10:11], exec
	v_mbcnt_lo_u32_b32 v6, s10, 0
	v_mbcnt_hi_u32_b32 v6, s11, v6
	v_cmp_eq_u32_e32 vcc, 0, v6
	s_and_saveexec_b64 s[12:13], vcc
	s_cbranch_execz .LBB2_126
; %bb.125:
	s_bcnt1_i32_b64 s10, s[10:11]
	v_mov_b32_e32 v6, s10
	buffer_wbl2 sc0 sc1
	s_waitcnt vmcnt(0)
	global_atomic_add_x2 v[4:5], v[6:7], off offset:8 sc1
.LBB2_126:
	s_or_b64 exec, exec, s[12:13]
	s_waitcnt vmcnt(0)
	global_load_dwordx2 v[6:7], v[4:5], off offset:16
	s_waitcnt vmcnt(0)
	v_cmp_eq_u64_e32 vcc, 0, v[6:7]
	s_cbranch_vccnz .LBB2_128
; %bb.127:
	global_load_dword v4, v[4:5], off offset:24
	v_mov_b32_e32 v5, 0
	s_waitcnt vmcnt(0)
	v_readfirstlane_b32 s10, v4
	s_and_b32 m0, s10, 0xffffff
	buffer_wbl2 sc0 sc1
	global_store_dwordx2 v[6:7], v[4:5], off sc0 sc1
	s_sendmsg sendmsg(MSG_INTERRUPT)
.LBB2_128:
	s_or_b64 exec, exec, s[6:7]
	v_lshl_add_u64 v[4:5], v[14:15], 0, v[30:31]
	s_branch .LBB2_132
.LBB2_129:                              ;   in Loop: Header=BB2_132 Depth=1
	s_or_b64 exec, exec, s[6:7]
	v_readfirstlane_b32 s6, v6
	s_cmp_eq_u32 s6, 0
	s_cbranch_scc1 .LBB2_131
; %bb.130:                              ;   in Loop: Header=BB2_132 Depth=1
	s_sleep 1
	s_cbranch_execnz .LBB2_132
	s_branch .LBB2_134
.LBB2_131:
	s_branch .LBB2_134
.LBB2_132:                              ; =>This Inner Loop Header: Depth=1
	v_mov_b32_e32 v6, 1
	s_and_saveexec_b64 s[6:7], s[0:1]
	s_cbranch_execz .LBB2_129
; %bb.133:                              ;   in Loop: Header=BB2_132 Depth=1
	global_load_dword v6, v[12:13], off offset:20 sc0 sc1
	s_waitcnt vmcnt(0)
	buffer_inv sc0 sc1
	v_and_b32_e32 v6, 1, v6
	s_branch .LBB2_129
.LBB2_134:
	global_load_dwordx2 v[4:5], v[4:5], off
	s_and_saveexec_b64 s[6:7], s[0:1]
	s_cbranch_execz .LBB2_137
; %bb.135:
	v_mov_b32_e32 v12, 0
	global_load_dwordx2 v[6:7], v12, s[2:3] offset:40
	global_load_dwordx2 v[16:17], v12, s[2:3] offset:24 sc0 sc1
	global_load_dwordx2 v[8:9], v12, s[2:3]
	s_waitcnt vmcnt(2)
	v_readfirstlane_b32 s10, v6
	v_readfirstlane_b32 s11, v7
	s_add_u32 s12, s10, 1
	s_addc_u32 s13, s11, 0
	s_add_u32 s0, s12, s4
	s_addc_u32 s1, s13, s5
	s_cmp_eq_u64 s[0:1], 0
	s_cselect_b32 s1, s13, s1
	s_cselect_b32 s0, s12, s0
	s_and_b64 s[4:5], s[0:1], s[10:11]
	s_mul_i32 s5, s5, 24
	s_mul_hi_u32 s10, s4, 24
	s_mul_i32 s4, s4, 24
	s_add_i32 s5, s10, s5
	s_waitcnt vmcnt(0)
	v_lshl_add_u64 v[10:11], v[8:9], 0, s[4:5]
	v_mov_b32_e32 v14, s0
	global_store_dwordx2 v[10:11], v[16:17], off
	v_mov_b32_e32 v15, s1
	buffer_wbl2 sc0 sc1
	s_waitcnt vmcnt(0)
	global_atomic_cmpswap_x2 v[8:9], v12, v[14:17], s[2:3] offset:24 sc0 sc1
	s_mov_b64 s[4:5], 0
	s_waitcnt vmcnt(0)
	v_cmp_ne_u64_e32 vcc, v[8:9], v[16:17]
	s_and_b64 exec, exec, vcc
	s_cbranch_execz .LBB2_137
.LBB2_136:                              ; =>This Inner Loop Header: Depth=1
	s_sleep 1
	global_store_dwordx2 v[10:11], v[8:9], off
	v_mov_b32_e32 v6, s0
	v_mov_b32_e32 v7, s1
	buffer_wbl2 sc0 sc1
	s_waitcnt vmcnt(0)
	global_atomic_cmpswap_x2 v[6:7], v12, v[6:9], s[2:3] offset:24 sc0 sc1
	s_waitcnt vmcnt(0)
	v_cmp_eq_u64_e32 vcc, v[6:7], v[8:9]
	s_or_b64 s[4:5], vcc, s[4:5]
	v_mov_b64_e32 v[8:9], v[6:7]
	s_andn2_b64 exec, exec, s[4:5]
	s_cbranch_execnz .LBB2_136
.LBB2_137:
	s_or_b64 exec, exec, s[6:7]
.LBB2_138:
	s_getpc_b64 s[4:5]
	s_add_u32 s4, s4, .str@rel32@lo+4
	s_addc_u32 s5, s5, .str@rel32@hi+12
	s_cmp_lg_u64 s[4:5], 0
	s_cselect_b64 s[0:1], -1, 0
	s_cmp_eq_u64 s[4:5], 0
	s_mov_b64 s[4:5], 0
	s_cbranch_scc1 .LBB2_142
; %bb.139:
	v_mov_b32_e32 v6, 0
	s_getpc_b64 s[4:5]
	s_add_u32 s4, s4, .str@rel32@lo+3
	s_addc_u32 s5, s5, .str@rel32@hi+11
.LBB2_140:                              ; =>This Inner Loop Header: Depth=1
	global_load_ubyte v7, v6, s[4:5] offset:1
	s_add_u32 s6, s4, 1
	s_addc_u32 s7, s5, 0
	s_mov_b64 s[4:5], s[6:7]
	s_waitcnt vmcnt(0)
	v_cmp_ne_u32_e32 vcc, 0, v7
	s_cbranch_vccnz .LBB2_140
; %bb.141:
	s_getpc_b64 s[4:5]
	s_add_u32 s4, s4, .str@rel32@lo+4
	s_addc_u32 s5, s5, .str@rel32@hi+12
	s_sub_u32 s4, s6, s4
	s_subb_u32 s5, s7, s5
	s_add_u32 s4, s4, 1
	s_addc_u32 s5, s5, 0
.LBB2_142:
	s_and_b64 vcc, exec, s[0:1]
	s_cbranch_vccz .LBB2_227
; %bb.143:
	s_waitcnt vmcnt(0)
	v_and_b32_e32 v32, 2, v4
	v_mov_b32_e32 v35, 0
	v_and_b32_e32 v6, -3, v4
	v_mov_b32_e32 v7, v5
	v_mov_b32_e32 v12, 2
	;; [unrolled: 1-line block ×3, first 2 shown]
	s_getpc_b64 s[6:7]
	s_add_u32 s6, s6, .str@rel32@lo+4
	s_addc_u32 s7, s7, .str@rel32@hi+12
	s_branch .LBB2_145
.LBB2_144:                              ;   in Loop: Header=BB2_145 Depth=1
	s_or_b64 exec, exec, s[14:15]
	s_sub_u32 s4, s4, s10
	s_subb_u32 s5, s5, s11
	s_add_u32 s6, s6, s10
	s_addc_u32 s7, s7, s11
	s_cmp_lg_u64 s[4:5], 0
	s_cbranch_scc0 .LBB2_228
.LBB2_145:                              ; =>This Loop Header: Depth=1
                                        ;     Child Loop BB2_148 Depth 2
                                        ;     Child Loop BB2_156 Depth 2
	;; [unrolled: 1-line block ×11, first 2 shown]
	v_cmp_lt_u64_e64 s[0:1], s[4:5], 56
	s_and_b64 s[0:1], s[0:1], exec
	s_cselect_b32 s11, s5, 0
	s_cselect_b32 s10, s4, 56
	v_cmp_gt_u64_e64 s[12:13], s[4:5], 7
	s_add_u32 s0, s6, 8
	s_addc_u32 s1, s7, 0
	s_and_b64 vcc, exec, s[12:13]
	s_cbranch_vccnz .LBB2_149
; %bb.146:                              ;   in Loop: Header=BB2_145 Depth=1
	s_cmp_eq_u64 s[4:5], 0
	s_cbranch_scc1 .LBB2_150
; %bb.147:                              ;   in Loop: Header=BB2_145 Depth=1
	s_lshl_b64 s[0:1], s[10:11], 3
	s_mov_b64 s[12:13], 0
	v_mov_b64_e32 v[8:9], 0
	s_mov_b64 s[14:15], s[6:7]
.LBB2_148:                              ;   Parent Loop BB2_145 Depth=1
                                        ; =>  This Inner Loop Header: Depth=2
	global_load_ubyte v10, v35, s[14:15]
	s_waitcnt vmcnt(0)
	v_and_b32_e32 v34, 0xffff, v10
	v_lshlrev_b64 v[10:11], s12, v[34:35]
	s_add_u32 s12, s12, 8
	s_addc_u32 s13, s13, 0
	s_add_u32 s14, s14, 1
	s_addc_u32 s15, s15, 0
	v_or_b32_e32 v8, v10, v8
	s_cmp_lg_u32 s0, s12
	v_or_b32_e32 v9, v11, v9
	s_cbranch_scc1 .LBB2_148
	s_branch .LBB2_151
.LBB2_149:                              ;   in Loop: Header=BB2_145 Depth=1
	s_mov_b32 s16, 0
	s_branch .LBB2_152
.LBB2_150:                              ;   in Loop: Header=BB2_145 Depth=1
	v_mov_b64_e32 v[8:9], 0
.LBB2_151:                              ;   in Loop: Header=BB2_145 Depth=1
	s_mov_b64 s[0:1], s[6:7]
	s_mov_b32 s16, 0
	s_cbranch_execnz .LBB2_153
.LBB2_152:                              ;   in Loop: Header=BB2_145 Depth=1
	global_load_dwordx2 v[8:9], v35, s[6:7]
	s_add_i32 s16, s10, -8
.LBB2_153:                              ;   in Loop: Header=BB2_145 Depth=1
	s_add_u32 s12, s0, 8
	s_addc_u32 s13, s1, 0
	s_cmp_gt_u32 s16, 7
	s_cbranch_scc1 .LBB2_157
; %bb.154:                              ;   in Loop: Header=BB2_145 Depth=1
	s_cmp_eq_u32 s16, 0
	s_cbranch_scc1 .LBB2_158
; %bb.155:                              ;   in Loop: Header=BB2_145 Depth=1
	s_mov_b64 s[12:13], 0
	v_mov_b64_e32 v[14:15], 0
	s_mov_b64 s[14:15], 0
.LBB2_156:                              ;   Parent Loop BB2_145 Depth=1
                                        ; =>  This Inner Loop Header: Depth=2
	s_add_u32 s18, s0, s14
	s_addc_u32 s19, s1, s15
	global_load_ubyte v10, v35, s[18:19]
	s_add_u32 s14, s14, 1
	s_addc_u32 s15, s15, 0
	s_waitcnt vmcnt(0)
	v_and_b32_e32 v34, 0xffff, v10
	v_lshlrev_b64 v[10:11], s12, v[34:35]
	s_add_u32 s12, s12, 8
	s_addc_u32 s13, s13, 0
	v_or_b32_e32 v14, v10, v14
	s_cmp_lg_u32 s16, s14
	v_or_b32_e32 v15, v11, v15
	s_cbranch_scc1 .LBB2_156
	s_branch .LBB2_159
.LBB2_157:                              ;   in Loop: Header=BB2_145 Depth=1
                                        ; implicit-def: $vgpr14_vgpr15
	s_mov_b32 s17, 0
	s_branch .LBB2_160
.LBB2_158:                              ;   in Loop: Header=BB2_145 Depth=1
	v_mov_b64_e32 v[14:15], 0
.LBB2_159:                              ;   in Loop: Header=BB2_145 Depth=1
	s_mov_b64 s[12:13], s[0:1]
	s_mov_b32 s17, 0
	s_cbranch_execnz .LBB2_161
.LBB2_160:                              ;   in Loop: Header=BB2_145 Depth=1
	global_load_dwordx2 v[14:15], v35, s[0:1]
	s_add_i32 s17, s16, -8
.LBB2_161:                              ;   in Loop: Header=BB2_145 Depth=1
	s_add_u32 s0, s12, 8
	s_addc_u32 s1, s13, 0
	s_cmp_gt_u32 s17, 7
	s_cbranch_scc1 .LBB2_165
; %bb.162:                              ;   in Loop: Header=BB2_145 Depth=1
	s_cmp_eq_u32 s17, 0
	s_cbranch_scc1 .LBB2_166
; %bb.163:                              ;   in Loop: Header=BB2_145 Depth=1
	s_mov_b64 s[0:1], 0
	v_mov_b64_e32 v[16:17], 0
	s_mov_b64 s[14:15], 0
.LBB2_164:                              ;   Parent Loop BB2_145 Depth=1
                                        ; =>  This Inner Loop Header: Depth=2
	s_add_u32 s18, s12, s14
	s_addc_u32 s19, s13, s15
	global_load_ubyte v10, v35, s[18:19]
	s_add_u32 s14, s14, 1
	s_addc_u32 s15, s15, 0
	s_waitcnt vmcnt(0)
	v_and_b32_e32 v34, 0xffff, v10
	v_lshlrev_b64 v[10:11], s0, v[34:35]
	s_add_u32 s0, s0, 8
	s_addc_u32 s1, s1, 0
	v_or_b32_e32 v16, v10, v16
	s_cmp_lg_u32 s17, s14
	v_or_b32_e32 v17, v11, v17
	s_cbranch_scc1 .LBB2_164
	s_branch .LBB2_167
.LBB2_165:                              ;   in Loop: Header=BB2_145 Depth=1
	s_mov_b32 s16, 0
	s_branch .LBB2_168
.LBB2_166:                              ;   in Loop: Header=BB2_145 Depth=1
	v_mov_b64_e32 v[16:17], 0
.LBB2_167:                              ;   in Loop: Header=BB2_145 Depth=1
	s_mov_b64 s[0:1], s[12:13]
	s_mov_b32 s16, 0
	s_cbranch_execnz .LBB2_169
.LBB2_168:                              ;   in Loop: Header=BB2_145 Depth=1
	global_load_dwordx2 v[16:17], v35, s[12:13]
	s_add_i32 s16, s17, -8
.LBB2_169:                              ;   in Loop: Header=BB2_145 Depth=1
	s_add_u32 s12, s0, 8
	s_addc_u32 s13, s1, 0
	s_cmp_gt_u32 s16, 7
	s_cbranch_scc1 .LBB2_173
; %bb.170:                              ;   in Loop: Header=BB2_145 Depth=1
	s_cmp_eq_u32 s16, 0
	s_cbranch_scc1 .LBB2_174
; %bb.171:                              ;   in Loop: Header=BB2_145 Depth=1
	s_mov_b64 s[12:13], 0
	v_mov_b64_e32 v[18:19], 0
	s_mov_b64 s[14:15], 0
.LBB2_172:                              ;   Parent Loop BB2_145 Depth=1
                                        ; =>  This Inner Loop Header: Depth=2
	s_add_u32 s18, s0, s14
	s_addc_u32 s19, s1, s15
	global_load_ubyte v10, v35, s[18:19]
	s_add_u32 s14, s14, 1
	s_addc_u32 s15, s15, 0
	s_waitcnt vmcnt(0)
	v_and_b32_e32 v34, 0xffff, v10
	v_lshlrev_b64 v[10:11], s12, v[34:35]
	s_add_u32 s12, s12, 8
	s_addc_u32 s13, s13, 0
	v_or_b32_e32 v18, v10, v18
	s_cmp_lg_u32 s16, s14
	v_or_b32_e32 v19, v11, v19
	s_cbranch_scc1 .LBB2_172
	s_branch .LBB2_175
.LBB2_173:                              ;   in Loop: Header=BB2_145 Depth=1
                                        ; implicit-def: $vgpr18_vgpr19
	s_mov_b32 s17, 0
	s_branch .LBB2_176
.LBB2_174:                              ;   in Loop: Header=BB2_145 Depth=1
	v_mov_b64_e32 v[18:19], 0
.LBB2_175:                              ;   in Loop: Header=BB2_145 Depth=1
	s_mov_b64 s[12:13], s[0:1]
	s_mov_b32 s17, 0
	s_cbranch_execnz .LBB2_177
.LBB2_176:                              ;   in Loop: Header=BB2_145 Depth=1
	global_load_dwordx2 v[18:19], v35, s[0:1]
	s_add_i32 s17, s16, -8
.LBB2_177:                              ;   in Loop: Header=BB2_145 Depth=1
	s_add_u32 s0, s12, 8
	s_addc_u32 s1, s13, 0
	s_cmp_gt_u32 s17, 7
	s_cbranch_scc1 .LBB2_181
; %bb.178:                              ;   in Loop: Header=BB2_145 Depth=1
	s_cmp_eq_u32 s17, 0
	s_cbranch_scc1 .LBB2_182
; %bb.179:                              ;   in Loop: Header=BB2_145 Depth=1
	s_mov_b64 s[0:1], 0
	v_mov_b64_e32 v[20:21], 0
	s_mov_b64 s[14:15], 0
.LBB2_180:                              ;   Parent Loop BB2_145 Depth=1
                                        ; =>  This Inner Loop Header: Depth=2
	s_add_u32 s18, s12, s14
	s_addc_u32 s19, s13, s15
	global_load_ubyte v10, v35, s[18:19]
	s_add_u32 s14, s14, 1
	s_addc_u32 s15, s15, 0
	s_waitcnt vmcnt(0)
	v_and_b32_e32 v34, 0xffff, v10
	v_lshlrev_b64 v[10:11], s0, v[34:35]
	s_add_u32 s0, s0, 8
	s_addc_u32 s1, s1, 0
	v_or_b32_e32 v20, v10, v20
	s_cmp_lg_u32 s17, s14
	v_or_b32_e32 v21, v11, v21
	s_cbranch_scc1 .LBB2_180
	s_branch .LBB2_183
.LBB2_181:                              ;   in Loop: Header=BB2_145 Depth=1
	s_mov_b32 s16, 0
	s_branch .LBB2_184
.LBB2_182:                              ;   in Loop: Header=BB2_145 Depth=1
	v_mov_b64_e32 v[20:21], 0
.LBB2_183:                              ;   in Loop: Header=BB2_145 Depth=1
	s_mov_b64 s[0:1], s[12:13]
	s_mov_b32 s16, 0
	s_cbranch_execnz .LBB2_185
.LBB2_184:                              ;   in Loop: Header=BB2_145 Depth=1
	global_load_dwordx2 v[20:21], v35, s[12:13]
	s_add_i32 s16, s17, -8
.LBB2_185:                              ;   in Loop: Header=BB2_145 Depth=1
	s_add_u32 s12, s0, 8
	s_addc_u32 s13, s1, 0
	s_cmp_gt_u32 s16, 7
	s_cbranch_scc1 .LBB2_189
; %bb.186:                              ;   in Loop: Header=BB2_145 Depth=1
	s_cmp_eq_u32 s16, 0
	s_cbranch_scc1 .LBB2_190
; %bb.187:                              ;   in Loop: Header=BB2_145 Depth=1
	s_mov_b64 s[12:13], 0
	v_mov_b64_e32 v[22:23], 0
	s_mov_b64 s[14:15], 0
.LBB2_188:                              ;   Parent Loop BB2_145 Depth=1
                                        ; =>  This Inner Loop Header: Depth=2
	s_add_u32 s18, s0, s14
	s_addc_u32 s19, s1, s15
	global_load_ubyte v10, v35, s[18:19]
	s_add_u32 s14, s14, 1
	s_addc_u32 s15, s15, 0
	s_waitcnt vmcnt(0)
	v_and_b32_e32 v34, 0xffff, v10
	v_lshlrev_b64 v[10:11], s12, v[34:35]
	s_add_u32 s12, s12, 8
	s_addc_u32 s13, s13, 0
	v_or_b32_e32 v22, v10, v22
	s_cmp_lg_u32 s16, s14
	v_or_b32_e32 v23, v11, v23
	s_cbranch_scc1 .LBB2_188
	s_branch .LBB2_191
.LBB2_189:                              ;   in Loop: Header=BB2_145 Depth=1
                                        ; implicit-def: $vgpr22_vgpr23
	s_mov_b32 s17, 0
	s_branch .LBB2_192
.LBB2_190:                              ;   in Loop: Header=BB2_145 Depth=1
	v_mov_b64_e32 v[22:23], 0
.LBB2_191:                              ;   in Loop: Header=BB2_145 Depth=1
	s_mov_b64 s[12:13], s[0:1]
	s_mov_b32 s17, 0
	s_cbranch_execnz .LBB2_193
.LBB2_192:                              ;   in Loop: Header=BB2_145 Depth=1
	global_load_dwordx2 v[22:23], v35, s[0:1]
	s_add_i32 s17, s16, -8
.LBB2_193:                              ;   in Loop: Header=BB2_145 Depth=1
	s_cmp_gt_u32 s17, 7
	s_cbranch_scc1 .LBB2_197
; %bb.194:                              ;   in Loop: Header=BB2_145 Depth=1
	s_cmp_eq_u32 s17, 0
	s_cbranch_scc1 .LBB2_198
; %bb.195:                              ;   in Loop: Header=BB2_145 Depth=1
	s_mov_b64 s[0:1], 0
	v_mov_b64_e32 v[24:25], 0
	s_mov_b64 s[14:15], s[12:13]
.LBB2_196:                              ;   Parent Loop BB2_145 Depth=1
                                        ; =>  This Inner Loop Header: Depth=2
	global_load_ubyte v10, v35, s[14:15]
	s_add_i32 s17, s17, -1
	s_waitcnt vmcnt(0)
	v_and_b32_e32 v34, 0xffff, v10
	v_lshlrev_b64 v[10:11], s0, v[34:35]
	s_add_u32 s0, s0, 8
	s_addc_u32 s1, s1, 0
	s_add_u32 s14, s14, 1
	s_addc_u32 s15, s15, 0
	v_or_b32_e32 v24, v10, v24
	s_cmp_lg_u32 s17, 0
	v_or_b32_e32 v25, v11, v25
	s_cbranch_scc1 .LBB2_196
	s_branch .LBB2_199
.LBB2_197:                              ;   in Loop: Header=BB2_145 Depth=1
	s_branch .LBB2_200
.LBB2_198:                              ;   in Loop: Header=BB2_145 Depth=1
	v_mov_b64_e32 v[24:25], 0
.LBB2_199:                              ;   in Loop: Header=BB2_145 Depth=1
	s_cbranch_execnz .LBB2_201
.LBB2_200:                              ;   in Loop: Header=BB2_145 Depth=1
	global_load_dwordx2 v[24:25], v35, s[12:13]
.LBB2_201:                              ;   in Loop: Header=BB2_145 Depth=1
	v_readfirstlane_b32 s0, v1
	v_mov_b64_e32 v[10:11], 0
	s_nop 0
	v_cmp_eq_u32_e64 s[0:1], s0, v1
	s_and_saveexec_b64 s[12:13], s[0:1]
	s_cbranch_execz .LBB2_207
; %bb.202:                              ;   in Loop: Header=BB2_145 Depth=1
	global_load_dwordx2 v[28:29], v35, s[2:3] offset:24 sc0 sc1
	s_waitcnt vmcnt(0)
	buffer_inv sc0 sc1
	global_load_dwordx2 v[10:11], v35, s[2:3] offset:40
	global_load_dwordx2 v[26:27], v35, s[2:3]
	s_waitcnt vmcnt(1)
	v_and_b32_e32 v10, v10, v28
	v_and_b32_e32 v11, v11, v29
	v_mul_lo_u32 v11, v11, 24
	v_mul_hi_u32 v31, v10, 24
	v_add_u32_e32 v11, v31, v11
	v_mul_lo_u32 v10, v10, 24
	s_waitcnt vmcnt(0)
	v_lshl_add_u64 v[10:11], v[26:27], 0, v[10:11]
	global_load_dwordx2 v[26:27], v[10:11], off sc0 sc1
	s_waitcnt vmcnt(0)
	global_atomic_cmpswap_x2 v[10:11], v35, v[26:29], s[2:3] offset:24 sc0 sc1
	s_waitcnt vmcnt(0)
	buffer_inv sc0 sc1
	v_cmp_ne_u64_e32 vcc, v[10:11], v[28:29]
	s_and_saveexec_b64 s[14:15], vcc
	s_cbranch_execz .LBB2_206
; %bb.203:                              ;   in Loop: Header=BB2_145 Depth=1
	s_mov_b64 s[16:17], 0
.LBB2_204:                              ;   Parent Loop BB2_145 Depth=1
                                        ; =>  This Inner Loop Header: Depth=2
	s_sleep 1
	global_load_dwordx2 v[26:27], v35, s[2:3] offset:40
	global_load_dwordx2 v[36:37], v35, s[2:3]
	v_mov_b64_e32 v[28:29], v[10:11]
	s_waitcnt vmcnt(1)
	v_and_b32_e32 v10, v26, v28
	s_waitcnt vmcnt(0)
	v_mad_u64_u32 v[10:11], s[18:19], v10, 24, v[36:37]
	v_and_b32_e32 v27, v27, v29
	v_mov_b32_e32 v26, v11
	v_mad_u64_u32 v[26:27], s[18:19], v27, 24, v[26:27]
	v_mov_b32_e32 v11, v26
	global_load_dwordx2 v[26:27], v[10:11], off sc0 sc1
	s_waitcnt vmcnt(0)
	global_atomic_cmpswap_x2 v[10:11], v35, v[26:29], s[2:3] offset:24 sc0 sc1
	s_waitcnt vmcnt(0)
	buffer_inv sc0 sc1
	v_cmp_eq_u64_e32 vcc, v[10:11], v[28:29]
	s_or_b64 s[16:17], vcc, s[16:17]
	s_andn2_b64 exec, exec, s[16:17]
	s_cbranch_execnz .LBB2_204
; %bb.205:                              ;   in Loop: Header=BB2_145 Depth=1
	s_or_b64 exec, exec, s[16:17]
.LBB2_206:                              ;   in Loop: Header=BB2_145 Depth=1
	s_or_b64 exec, exec, s[14:15]
.LBB2_207:                              ;   in Loop: Header=BB2_145 Depth=1
	s_or_b64 exec, exec, s[12:13]
	global_load_dwordx2 v[36:37], v35, s[2:3] offset:40
	global_load_dwordx4 v[26:29], v35, s[2:3]
	v_readfirstlane_b32 s13, v11
	v_readfirstlane_b32 s12, v10
	s_mov_b64 s[14:15], exec
	s_waitcnt vmcnt(1)
	v_readfirstlane_b32 s16, v36
	v_readfirstlane_b32 s17, v37
	s_and_b64 s[16:17], s[16:17], s[12:13]
	s_mul_i32 s18, s17, 24
	s_mul_hi_u32 s19, s16, 24
	s_add_i32 s19, s19, s18
	s_mul_i32 s18, s16, 24
	s_waitcnt vmcnt(0)
	v_lshl_add_u64 v[36:37], v[26:27], 0, s[18:19]
	s_and_saveexec_b64 s[18:19], s[0:1]
	s_cbranch_execz .LBB2_209
; %bb.208:                              ;   in Loop: Header=BB2_145 Depth=1
	v_mov_b64_e32 v[10:11], s[14:15]
	global_store_dwordx4 v[36:37], v[10:13], off offset:8
.LBB2_209:                              ;   in Loop: Header=BB2_145 Depth=1
	s_or_b64 exec, exec, s[18:19]
	s_lshl_b64 s[14:15], s[16:17], 12
	v_lshl_add_u64 v[10:11], v[28:29], 0, s[14:15]
	v_cmp_lt_u64_e64 vcc, s[4:5], 57
	s_lshl_b32 s14, s10, 2
	s_add_i32 s14, s14, 28
	v_cndmask_b32_e32 v28, 0, v32, vcc
	v_and_b32_e32 v6, 0xffffff1f, v6
	s_and_b32 s14, s14, 0x1e0
	v_or_b32_e32 v6, v6, v28
	v_or_b32_e32 v6, s14, v6
	v_readfirstlane_b32 s14, v10
	v_readfirstlane_b32 s15, v11
	s_nop 4
	global_store_dwordx4 v30, v[6:9], s[14:15]
	global_store_dwordx4 v30, v[14:17], s[14:15] offset:16
	global_store_dwordx4 v30, v[18:21], s[14:15] offset:32
	;; [unrolled: 1-line block ×3, first 2 shown]
	s_and_saveexec_b64 s[14:15], s[0:1]
	s_cbranch_execz .LBB2_217
; %bb.210:                              ;   in Loop: Header=BB2_145 Depth=1
	global_load_dwordx2 v[18:19], v35, s[2:3] offset:32 sc0 sc1
	global_load_dwordx2 v[6:7], v35, s[2:3] offset:40
	v_mov_b32_e32 v16, s12
	v_mov_b32_e32 v17, s13
	s_waitcnt vmcnt(0)
	v_readfirstlane_b32 s16, v6
	v_readfirstlane_b32 s17, v7
	s_and_b64 s[16:17], s[16:17], s[12:13]
	s_mul_i32 s17, s17, 24
	s_mul_hi_u32 s18, s16, 24
	s_mul_i32 s16, s16, 24
	s_add_i32 s17, s18, s17
	v_lshl_add_u64 v[14:15], v[26:27], 0, s[16:17]
	global_store_dwordx2 v[14:15], v[18:19], off
	buffer_wbl2 sc0 sc1
	s_waitcnt vmcnt(0)
	global_atomic_cmpswap_x2 v[8:9], v35, v[16:19], s[2:3] offset:32 sc0 sc1
	s_waitcnt vmcnt(0)
	v_cmp_ne_u64_e32 vcc, v[8:9], v[18:19]
	s_and_saveexec_b64 s[16:17], vcc
	s_cbranch_execz .LBB2_213
; %bb.211:                              ;   in Loop: Header=BB2_145 Depth=1
	s_mov_b64 s[18:19], 0
.LBB2_212:                              ;   Parent Loop BB2_145 Depth=1
                                        ; =>  This Inner Loop Header: Depth=2
	s_sleep 1
	global_store_dwordx2 v[14:15], v[8:9], off
	v_mov_b32_e32 v6, s12
	v_mov_b32_e32 v7, s13
	buffer_wbl2 sc0 sc1
	s_waitcnt vmcnt(0)
	global_atomic_cmpswap_x2 v[6:7], v35, v[6:9], s[2:3] offset:32 sc0 sc1
	s_waitcnt vmcnt(0)
	v_cmp_eq_u64_e32 vcc, v[6:7], v[8:9]
	s_or_b64 s[18:19], vcc, s[18:19]
	v_mov_b64_e32 v[8:9], v[6:7]
	s_andn2_b64 exec, exec, s[18:19]
	s_cbranch_execnz .LBB2_212
.LBB2_213:                              ;   in Loop: Header=BB2_145 Depth=1
	s_or_b64 exec, exec, s[16:17]
	global_load_dwordx2 v[6:7], v35, s[2:3] offset:16
	s_mov_b64 s[18:19], exec
	v_mbcnt_lo_u32_b32 v8, s18, 0
	v_mbcnt_hi_u32_b32 v8, s19, v8
	v_cmp_eq_u32_e32 vcc, 0, v8
	s_and_saveexec_b64 s[16:17], vcc
	s_cbranch_execz .LBB2_215
; %bb.214:                              ;   in Loop: Header=BB2_145 Depth=1
	s_bcnt1_i32_b64 s18, s[18:19]
	v_mov_b32_e32 v34, s18
	buffer_wbl2 sc0 sc1
	s_waitcnt vmcnt(0)
	global_atomic_add_x2 v[6:7], v[34:35], off offset:8 sc1
.LBB2_215:                              ;   in Loop: Header=BB2_145 Depth=1
	s_or_b64 exec, exec, s[16:17]
	s_waitcnt vmcnt(0)
	global_load_dwordx2 v[8:9], v[6:7], off offset:16
	s_waitcnt vmcnt(0)
	v_cmp_eq_u64_e32 vcc, 0, v[8:9]
	s_cbranch_vccnz .LBB2_217
; %bb.216:                              ;   in Loop: Header=BB2_145 Depth=1
	global_load_dword v34, v[6:7], off offset:24
	s_waitcnt vmcnt(0)
	v_readfirstlane_b32 s16, v34
	s_and_b32 m0, s16, 0xffffff
	buffer_wbl2 sc0 sc1
	global_store_dwordx2 v[8:9], v[34:35], off sc0 sc1
	s_sendmsg sendmsg(MSG_INTERRUPT)
.LBB2_217:                              ;   in Loop: Header=BB2_145 Depth=1
	s_or_b64 exec, exec, s[14:15]
	v_mov_b32_e32 v31, v35
	v_lshl_add_u64 v[6:7], v[10:11], 0, v[30:31]
	s_branch .LBB2_221
.LBB2_218:                              ;   in Loop: Header=BB2_221 Depth=2
	s_or_b64 exec, exec, s[14:15]
	v_readfirstlane_b32 s14, v8
	s_cmp_eq_u32 s14, 0
	s_cbranch_scc1 .LBB2_220
; %bb.219:                              ;   in Loop: Header=BB2_221 Depth=2
	s_sleep 1
	s_cbranch_execnz .LBB2_221
	s_branch .LBB2_223
.LBB2_220:                              ;   in Loop: Header=BB2_145 Depth=1
	s_branch .LBB2_223
.LBB2_221:                              ;   Parent Loop BB2_145 Depth=1
                                        ; =>  This Inner Loop Header: Depth=2
	v_mov_b32_e32 v8, 1
	s_and_saveexec_b64 s[14:15], s[0:1]
	s_cbranch_execz .LBB2_218
; %bb.222:                              ;   in Loop: Header=BB2_221 Depth=2
	global_load_dword v8, v[36:37], off offset:20 sc0 sc1
	s_waitcnt vmcnt(0)
	buffer_inv sc0 sc1
	v_and_b32_e32 v8, 1, v8
	s_branch .LBB2_218
.LBB2_223:                              ;   in Loop: Header=BB2_145 Depth=1
	global_load_dwordx2 v[6:7], v[6:7], off
	s_and_saveexec_b64 s[14:15], s[0:1]
	s_cbranch_execz .LBB2_144
; %bb.224:                              ;   in Loop: Header=BB2_145 Depth=1
	global_load_dwordx2 v[8:9], v35, s[2:3] offset:40
	global_load_dwordx2 v[18:19], v35, s[2:3] offset:24 sc0 sc1
	global_load_dwordx2 v[10:11], v35, s[2:3]
	s_waitcnt vmcnt(2)
	v_readfirstlane_b32 s16, v8
	v_readfirstlane_b32 s17, v9
	s_add_u32 s18, s16, 1
	s_addc_u32 s19, s17, 0
	s_add_u32 s0, s18, s12
	s_addc_u32 s1, s19, s13
	s_cmp_eq_u64 s[0:1], 0
	s_cselect_b32 s1, s19, s1
	s_cselect_b32 s0, s18, s0
	s_and_b64 s[12:13], s[0:1], s[16:17]
	s_mul_i32 s13, s13, 24
	s_mul_hi_u32 s16, s12, 24
	s_mul_i32 s12, s12, 24
	s_add_i32 s13, s16, s13
	s_waitcnt vmcnt(0)
	v_lshl_add_u64 v[14:15], v[10:11], 0, s[12:13]
	v_mov_b32_e32 v16, s0
	global_store_dwordx2 v[14:15], v[18:19], off
	v_mov_b32_e32 v17, s1
	buffer_wbl2 sc0 sc1
	s_waitcnt vmcnt(0)
	global_atomic_cmpswap_x2 v[10:11], v35, v[16:19], s[2:3] offset:24 sc0 sc1
	s_waitcnt vmcnt(0)
	v_cmp_ne_u64_e32 vcc, v[10:11], v[18:19]
	s_and_b64 exec, exec, vcc
	s_cbranch_execz .LBB2_144
; %bb.225:                              ;   in Loop: Header=BB2_145 Depth=1
	s_mov_b64 s[12:13], 0
.LBB2_226:                              ;   Parent Loop BB2_145 Depth=1
                                        ; =>  This Inner Loop Header: Depth=2
	s_sleep 1
	global_store_dwordx2 v[14:15], v[10:11], off
	v_mov_b32_e32 v8, s0
	v_mov_b32_e32 v9, s1
	buffer_wbl2 sc0 sc1
	s_waitcnt vmcnt(0)
	global_atomic_cmpswap_x2 v[8:9], v35, v[8:11], s[2:3] offset:24 sc0 sc1
	s_waitcnt vmcnt(0)
	v_cmp_eq_u64_e32 vcc, v[8:9], v[10:11]
	s_or_b64 s[12:13], vcc, s[12:13]
	v_mov_b64_e32 v[10:11], v[8:9]
	s_andn2_b64 exec, exec, s[12:13]
	s_cbranch_execnz .LBB2_226
	s_branch .LBB2_144
.LBB2_227:
                                        ; implicit-def: $vgpr6_vgpr7
	s_cbranch_execnz .LBB2_229
	s_branch .LBB2_255
.LBB2_228:
	s_branch .LBB2_255
.LBB2_229:
	v_readfirstlane_b32 s0, v1
	s_waitcnt vmcnt(0)
	v_mov_b64_e32 v[6:7], 0
	v_cmp_eq_u32_e64 s[0:1], s0, v1
	s_and_saveexec_b64 s[4:5], s[0:1]
	s_cbranch_execz .LBB2_235
; %bb.230:
	v_mov_b32_e32 v8, 0
	global_load_dwordx2 v[12:13], v8, s[2:3] offset:24 sc0 sc1
	s_waitcnt vmcnt(0)
	buffer_inv sc0 sc1
	global_load_dwordx2 v[6:7], v8, s[2:3] offset:40
	global_load_dwordx2 v[10:11], v8, s[2:3]
	s_waitcnt vmcnt(1)
	v_and_b32_e32 v6, v6, v12
	v_and_b32_e32 v7, v7, v13
	v_mul_lo_u32 v7, v7, 24
	v_mul_hi_u32 v9, v6, 24
	v_add_u32_e32 v7, v9, v7
	v_mul_lo_u32 v6, v6, 24
	s_waitcnt vmcnt(0)
	v_lshl_add_u64 v[6:7], v[10:11], 0, v[6:7]
	global_load_dwordx2 v[10:11], v[6:7], off sc0 sc1
	s_waitcnt vmcnt(0)
	global_atomic_cmpswap_x2 v[6:7], v8, v[10:13], s[2:3] offset:24 sc0 sc1
	s_waitcnt vmcnt(0)
	buffer_inv sc0 sc1
	v_cmp_ne_u64_e32 vcc, v[6:7], v[12:13]
	s_and_saveexec_b64 s[6:7], vcc
	s_cbranch_execz .LBB2_234
; %bb.231:
	s_mov_b64 s[10:11], 0
.LBB2_232:                              ; =>This Inner Loop Header: Depth=1
	s_sleep 1
	global_load_dwordx2 v[10:11], v8, s[2:3] offset:40
	global_load_dwordx2 v[14:15], v8, s[2:3]
	v_mov_b64_e32 v[12:13], v[6:7]
	s_waitcnt vmcnt(1)
	v_and_b32_e32 v6, v10, v12
	s_waitcnt vmcnt(0)
	v_mad_u64_u32 v[6:7], s[12:13], v6, 24, v[14:15]
	v_and_b32_e32 v9, v11, v13
	v_mov_b32_e32 v10, v7
	v_mad_u64_u32 v[10:11], s[12:13], v9, 24, v[10:11]
	v_mov_b32_e32 v7, v10
	global_load_dwordx2 v[10:11], v[6:7], off sc0 sc1
	s_waitcnt vmcnt(0)
	global_atomic_cmpswap_x2 v[6:7], v8, v[10:13], s[2:3] offset:24 sc0 sc1
	s_waitcnt vmcnt(0)
	buffer_inv sc0 sc1
	v_cmp_eq_u64_e32 vcc, v[6:7], v[12:13]
	s_or_b64 s[10:11], vcc, s[10:11]
	s_andn2_b64 exec, exec, s[10:11]
	s_cbranch_execnz .LBB2_232
; %bb.233:
	s_or_b64 exec, exec, s[10:11]
.LBB2_234:
	s_or_b64 exec, exec, s[6:7]
.LBB2_235:
	s_or_b64 exec, exec, s[4:5]
	v_mov_b32_e32 v31, 0
	global_load_dwordx2 v[12:13], v31, s[2:3] offset:40
	global_load_dwordx4 v[8:11], v31, s[2:3]
	v_readfirstlane_b32 s5, v7
	v_readfirstlane_b32 s4, v6
	s_mov_b64 s[6:7], exec
	s_waitcnt vmcnt(1)
	v_readfirstlane_b32 s10, v12
	v_readfirstlane_b32 s11, v13
	s_and_b64 s[10:11], s[10:11], s[4:5]
	s_mul_i32 s12, s11, 24
	s_mul_hi_u32 s13, s10, 24
	s_add_i32 s13, s13, s12
	s_mul_i32 s12, s10, 24
	s_waitcnt vmcnt(0)
	v_lshl_add_u64 v[12:13], v[8:9], 0, s[12:13]
	s_and_saveexec_b64 s[12:13], s[0:1]
	s_cbranch_execz .LBB2_237
; %bb.236:
	v_mov_b64_e32 v[14:15], s[6:7]
	v_mov_b32_e32 v16, 2
	v_mov_b32_e32 v17, 1
	global_store_dwordx4 v[12:13], v[14:17], off offset:8
.LBB2_237:
	s_or_b64 exec, exec, s[12:13]
	s_lshl_b64 s[6:7], s[10:11], 12
	v_lshl_add_u64 v[10:11], v[10:11], 0, s[6:7]
	s_movk_i32 s6, 0xff1f
	s_mov_b32 s12, 0
	v_and_or_b32 v4, v4, s6, 32
	v_mov_b32_e32 v6, v31
	v_mov_b32_e32 v7, v31
	v_readfirstlane_b32 s6, v10
	v_readfirstlane_b32 s7, v11
	s_mov_b32 s13, s12
	s_mov_b32 s14, s12
	;; [unrolled: 1-line block ×3, first 2 shown]
	s_nop 1
	global_store_dwordx4 v30, v[4:7], s[6:7]
	s_nop 1
	v_mov_b64_e32 v[4:5], s[12:13]
	v_mov_b64_e32 v[6:7], s[14:15]
	global_store_dwordx4 v30, v[4:7], s[6:7] offset:16
	global_store_dwordx4 v30, v[4:7], s[6:7] offset:32
	;; [unrolled: 1-line block ×3, first 2 shown]
	s_and_saveexec_b64 s[6:7], s[0:1]
	s_cbranch_execz .LBB2_245
; %bb.238:
	v_mov_b32_e32 v14, 0
	global_load_dwordx2 v[18:19], v14, s[2:3] offset:32 sc0 sc1
	global_load_dwordx2 v[4:5], v14, s[2:3] offset:40
	v_mov_b32_e32 v16, s4
	v_mov_b32_e32 v17, s5
	s_waitcnt vmcnt(0)
	v_readfirstlane_b32 s10, v4
	v_readfirstlane_b32 s11, v5
	s_and_b64 s[10:11], s[10:11], s[4:5]
	s_mul_i32 s11, s11, 24
	s_mul_hi_u32 s12, s10, 24
	s_mul_i32 s10, s10, 24
	s_add_i32 s11, s12, s11
	v_lshl_add_u64 v[8:9], v[8:9], 0, s[10:11]
	global_store_dwordx2 v[8:9], v[18:19], off
	buffer_wbl2 sc0 sc1
	s_waitcnt vmcnt(0)
	global_atomic_cmpswap_x2 v[6:7], v14, v[16:19], s[2:3] offset:32 sc0 sc1
	s_waitcnt vmcnt(0)
	v_cmp_ne_u64_e32 vcc, v[6:7], v[18:19]
	s_and_saveexec_b64 s[10:11], vcc
	s_cbranch_execz .LBB2_241
; %bb.239:
	s_mov_b64 s[12:13], 0
.LBB2_240:                              ; =>This Inner Loop Header: Depth=1
	s_sleep 1
	global_store_dwordx2 v[8:9], v[6:7], off
	v_mov_b32_e32 v4, s4
	v_mov_b32_e32 v5, s5
	buffer_wbl2 sc0 sc1
	s_waitcnt vmcnt(0)
	global_atomic_cmpswap_x2 v[4:5], v14, v[4:7], s[2:3] offset:32 sc0 sc1
	s_waitcnt vmcnt(0)
	v_cmp_eq_u64_e32 vcc, v[4:5], v[6:7]
	s_or_b64 s[12:13], vcc, s[12:13]
	v_mov_b64_e32 v[6:7], v[4:5]
	s_andn2_b64 exec, exec, s[12:13]
	s_cbranch_execnz .LBB2_240
.LBB2_241:
	s_or_b64 exec, exec, s[10:11]
	v_mov_b32_e32 v7, 0
	global_load_dwordx2 v[4:5], v7, s[2:3] offset:16
	s_mov_b64 s[10:11], exec
	v_mbcnt_lo_u32_b32 v6, s10, 0
	v_mbcnt_hi_u32_b32 v6, s11, v6
	v_cmp_eq_u32_e32 vcc, 0, v6
	s_and_saveexec_b64 s[12:13], vcc
	s_cbranch_execz .LBB2_243
; %bb.242:
	s_bcnt1_i32_b64 s10, s[10:11]
	v_mov_b32_e32 v6, s10
	buffer_wbl2 sc0 sc1
	s_waitcnt vmcnt(0)
	global_atomic_add_x2 v[4:5], v[6:7], off offset:8 sc1
.LBB2_243:
	s_or_b64 exec, exec, s[12:13]
	s_waitcnt vmcnt(0)
	global_load_dwordx2 v[6:7], v[4:5], off offset:16
	s_waitcnt vmcnt(0)
	v_cmp_eq_u64_e32 vcc, 0, v[6:7]
	s_cbranch_vccnz .LBB2_245
; %bb.244:
	global_load_dword v4, v[4:5], off offset:24
	v_mov_b32_e32 v5, 0
	s_waitcnt vmcnt(0)
	v_readfirstlane_b32 s10, v4
	s_and_b32 m0, s10, 0xffffff
	buffer_wbl2 sc0 sc1
	global_store_dwordx2 v[6:7], v[4:5], off sc0 sc1
	s_sendmsg sendmsg(MSG_INTERRUPT)
.LBB2_245:
	s_or_b64 exec, exec, s[6:7]
	v_lshl_add_u64 v[4:5], v[10:11], 0, v[30:31]
	s_branch .LBB2_249
.LBB2_246:                              ;   in Loop: Header=BB2_249 Depth=1
	s_or_b64 exec, exec, s[6:7]
	v_readfirstlane_b32 s6, v6
	s_cmp_eq_u32 s6, 0
	s_cbranch_scc1 .LBB2_248
; %bb.247:                              ;   in Loop: Header=BB2_249 Depth=1
	s_sleep 1
	s_cbranch_execnz .LBB2_249
	s_branch .LBB2_251
.LBB2_248:
	s_branch .LBB2_251
.LBB2_249:                              ; =>This Inner Loop Header: Depth=1
	v_mov_b32_e32 v6, 1
	s_and_saveexec_b64 s[6:7], s[0:1]
	s_cbranch_execz .LBB2_246
; %bb.250:                              ;   in Loop: Header=BB2_249 Depth=1
	global_load_dword v6, v[12:13], off offset:20 sc0 sc1
	s_waitcnt vmcnt(0)
	buffer_inv sc0 sc1
	v_and_b32_e32 v6, 1, v6
	s_branch .LBB2_246
.LBB2_251:
	global_load_dwordx2 v[6:7], v[4:5], off
	s_and_saveexec_b64 s[6:7], s[0:1]
	s_cbranch_execz .LBB2_254
; %bb.252:
	v_mov_b32_e32 v12, 0
	global_load_dwordx2 v[4:5], v12, s[2:3] offset:40
	global_load_dwordx2 v[16:17], v12, s[2:3] offset:24 sc0 sc1
	global_load_dwordx2 v[8:9], v12, s[2:3]
	s_waitcnt vmcnt(2)
	v_readfirstlane_b32 s10, v4
	v_readfirstlane_b32 s11, v5
	s_add_u32 s12, s10, 1
	s_addc_u32 s13, s11, 0
	s_add_u32 s0, s12, s4
	s_addc_u32 s1, s13, s5
	s_cmp_eq_u64 s[0:1], 0
	s_cselect_b32 s1, s13, s1
	s_cselect_b32 s0, s12, s0
	s_and_b64 s[4:5], s[0:1], s[10:11]
	s_mul_i32 s5, s5, 24
	s_mul_hi_u32 s10, s4, 24
	s_mul_i32 s4, s4, 24
	s_add_i32 s5, s10, s5
	s_waitcnt vmcnt(0)
	v_lshl_add_u64 v[4:5], v[8:9], 0, s[4:5]
	v_mov_b32_e32 v14, s0
	global_store_dwordx2 v[4:5], v[16:17], off
	v_mov_b32_e32 v15, s1
	buffer_wbl2 sc0 sc1
	s_waitcnt vmcnt(0)
	global_atomic_cmpswap_x2 v[10:11], v12, v[14:17], s[2:3] offset:24 sc0 sc1
	s_mov_b64 s[4:5], 0
	s_waitcnt vmcnt(0)
	v_cmp_ne_u64_e32 vcc, v[10:11], v[16:17]
	s_and_b64 exec, exec, vcc
	s_cbranch_execz .LBB2_254
.LBB2_253:                              ; =>This Inner Loop Header: Depth=1
	s_sleep 1
	global_store_dwordx2 v[4:5], v[10:11], off
	v_mov_b32_e32 v8, s0
	v_mov_b32_e32 v9, s1
	buffer_wbl2 sc0 sc1
	s_waitcnt vmcnt(0)
	global_atomic_cmpswap_x2 v[8:9], v12, v[8:11], s[2:3] offset:24 sc0 sc1
	s_waitcnt vmcnt(0)
	v_cmp_eq_u64_e32 vcc, v[8:9], v[10:11]
	s_or_b64 s[4:5], vcc, s[4:5]
	v_mov_b64_e32 v[10:11], v[8:9]
	s_andn2_b64 exec, exec, s[4:5]
	s_cbranch_execnz .LBB2_253
.LBB2_254:
	s_or_b64 exec, exec, s[6:7]
.LBB2_255:
	v_readfirstlane_b32 s0, v1
	s_waitcnt vmcnt(0)
	v_mov_b64_e32 v[4:5], 0
	v_cmp_eq_u32_e64 s[0:1], s0, v1
	s_and_saveexec_b64 s[4:5], s[0:1]
	s_cbranch_execz .LBB2_261
; %bb.256:
	v_mov_b32_e32 v1, 0
	global_load_dwordx2 v[10:11], v1, s[2:3] offset:24 sc0 sc1
	s_waitcnt vmcnt(0)
	buffer_inv sc0 sc1
	global_load_dwordx2 v[4:5], v1, s[2:3] offset:40
	global_load_dwordx2 v[8:9], v1, s[2:3]
	s_waitcnt vmcnt(1)
	v_and_b32_e32 v4, v4, v10
	v_and_b32_e32 v5, v5, v11
	v_mul_lo_u32 v5, v5, 24
	v_mul_hi_u32 v12, v4, 24
	v_add_u32_e32 v5, v12, v5
	v_mul_lo_u32 v4, v4, 24
	s_waitcnt vmcnt(0)
	v_lshl_add_u64 v[4:5], v[8:9], 0, v[4:5]
	global_load_dwordx2 v[8:9], v[4:5], off sc0 sc1
	s_waitcnt vmcnt(0)
	global_atomic_cmpswap_x2 v[4:5], v1, v[8:11], s[2:3] offset:24 sc0 sc1
	s_waitcnt vmcnt(0)
	buffer_inv sc0 sc1
	v_cmp_ne_u64_e32 vcc, v[4:5], v[10:11]
	s_and_saveexec_b64 s[6:7], vcc
	s_cbranch_execz .LBB2_260
; %bb.257:
	s_mov_b64 s[10:11], 0
.LBB2_258:                              ; =>This Inner Loop Header: Depth=1
	s_sleep 1
	global_load_dwordx2 v[8:9], v1, s[2:3] offset:40
	global_load_dwordx2 v[12:13], v1, s[2:3]
	v_mov_b64_e32 v[10:11], v[4:5]
	s_waitcnt vmcnt(1)
	v_and_b32_e32 v4, v8, v10
	s_waitcnt vmcnt(0)
	v_mad_u64_u32 v[4:5], s[12:13], v4, 24, v[12:13]
	v_and_b32_e32 v9, v9, v11
	v_mov_b32_e32 v8, v5
	v_mad_u64_u32 v[8:9], s[12:13], v9, 24, v[8:9]
	v_mov_b32_e32 v5, v8
	global_load_dwordx2 v[8:9], v[4:5], off sc0 sc1
	s_waitcnt vmcnt(0)
	global_atomic_cmpswap_x2 v[4:5], v1, v[8:11], s[2:3] offset:24 sc0 sc1
	s_waitcnt vmcnt(0)
	buffer_inv sc0 sc1
	v_cmp_eq_u64_e32 vcc, v[4:5], v[10:11]
	s_or_b64 s[10:11], vcc, s[10:11]
	s_andn2_b64 exec, exec, s[10:11]
	s_cbranch_execnz .LBB2_258
; %bb.259:
	s_or_b64 exec, exec, s[10:11]
.LBB2_260:
	s_or_b64 exec, exec, s[6:7]
.LBB2_261:
	s_or_b64 exec, exec, s[4:5]
	v_mov_b32_e32 v31, 0
	global_load_dwordx2 v[8:9], v31, s[2:3] offset:40
	global_load_dwordx4 v[10:13], v31, s[2:3]
	v_readfirstlane_b32 s5, v5
	v_readfirstlane_b32 s4, v4
	s_mov_b64 s[6:7], exec
	s_waitcnt vmcnt(1)
	v_readfirstlane_b32 s10, v8
	v_readfirstlane_b32 s11, v9
	s_and_b64 s[10:11], s[10:11], s[4:5]
	s_mul_i32 s12, s11, 24
	s_mul_hi_u32 s13, s10, 24
	s_add_i32 s13, s13, s12
	s_mul_i32 s12, s10, 24
	s_waitcnt vmcnt(0)
	v_lshl_add_u64 v[14:15], v[10:11], 0, s[12:13]
	s_and_saveexec_b64 s[12:13], s[0:1]
	s_cbranch_execz .LBB2_263
; %bb.262:
	v_mov_b64_e32 v[16:17], s[6:7]
	v_mov_b32_e32 v18, 2
	v_mov_b32_e32 v19, 1
	global_store_dwordx4 v[14:15], v[16:19], off offset:8
.LBB2_263:
	s_or_b64 exec, exec, s[12:13]
	s_lshl_b64 s[6:7], s[10:11], 12
	v_lshl_add_u64 v[12:13], v[12:13], 0, s[6:7]
	s_movk_i32 s6, 0xff1f
	s_mov_b32 s12, 0
	v_and_or_b32 v6, v6, s6, 32
	v_mov_b32_e32 v8, v0
	v_mov_b32_e32 v9, v31
	v_readfirstlane_b32 s6, v12
	v_readfirstlane_b32 s7, v13
	s_mov_b32 s13, s12
	s_mov_b32 s14, s12
	;; [unrolled: 1-line block ×3, first 2 shown]
	s_nop 1
	global_store_dwordx4 v30, v[6:9], s[6:7]
	v_mov_b64_e32 v[4:5], s[12:13]
	s_nop 0
	v_mov_b64_e32 v[6:7], s[14:15]
	global_store_dwordx4 v30, v[4:7], s[6:7] offset:16
	global_store_dwordx4 v30, v[4:7], s[6:7] offset:32
	;; [unrolled: 1-line block ×3, first 2 shown]
	s_and_saveexec_b64 s[6:7], s[0:1]
	s_cbranch_execz .LBB2_271
; %bb.264:
	v_mov_b32_e32 v8, 0
	global_load_dwordx2 v[18:19], v8, s[2:3] offset:32 sc0 sc1
	global_load_dwordx2 v[0:1], v8, s[2:3] offset:40
	v_mov_b32_e32 v16, s4
	v_mov_b32_e32 v17, s5
	s_waitcnt vmcnt(0)
	v_readfirstlane_b32 s10, v0
	v_readfirstlane_b32 s11, v1
	s_and_b64 s[10:11], s[10:11], s[4:5]
	s_mul_i32 s11, s11, 24
	s_mul_hi_u32 s12, s10, 24
	s_mul_i32 s10, s10, 24
	s_add_i32 s11, s12, s11
	v_lshl_add_u64 v[0:1], v[10:11], 0, s[10:11]
	global_store_dwordx2 v[0:1], v[18:19], off
	buffer_wbl2 sc0 sc1
	s_waitcnt vmcnt(0)
	global_atomic_cmpswap_x2 v[6:7], v8, v[16:19], s[2:3] offset:32 sc0 sc1
	s_waitcnt vmcnt(0)
	v_cmp_ne_u64_e32 vcc, v[6:7], v[18:19]
	s_and_saveexec_b64 s[10:11], vcc
	s_cbranch_execz .LBB2_267
; %bb.265:
	s_mov_b64 s[12:13], 0
.LBB2_266:                              ; =>This Inner Loop Header: Depth=1
	s_sleep 1
	global_store_dwordx2 v[0:1], v[6:7], off
	v_mov_b32_e32 v4, s4
	v_mov_b32_e32 v5, s5
	buffer_wbl2 sc0 sc1
	s_waitcnt vmcnt(0)
	global_atomic_cmpswap_x2 v[4:5], v8, v[4:7], s[2:3] offset:32 sc0 sc1
	s_waitcnt vmcnt(0)
	v_cmp_eq_u64_e32 vcc, v[4:5], v[6:7]
	s_or_b64 s[12:13], vcc, s[12:13]
	v_mov_b64_e32 v[6:7], v[4:5]
	s_andn2_b64 exec, exec, s[12:13]
	s_cbranch_execnz .LBB2_266
.LBB2_267:
	s_or_b64 exec, exec, s[10:11]
	v_mov_b32_e32 v5, 0
	global_load_dwordx2 v[0:1], v5, s[2:3] offset:16
	s_mov_b64 s[10:11], exec
	v_mbcnt_lo_u32_b32 v4, s10, 0
	v_mbcnt_hi_u32_b32 v4, s11, v4
	v_cmp_eq_u32_e32 vcc, 0, v4
	s_and_saveexec_b64 s[12:13], vcc
	s_cbranch_execz .LBB2_269
; %bb.268:
	s_bcnt1_i32_b64 s10, s[10:11]
	v_mov_b32_e32 v4, s10
	buffer_wbl2 sc0 sc1
	s_waitcnt vmcnt(0)
	global_atomic_add_x2 v[0:1], v[4:5], off offset:8 sc1
.LBB2_269:
	s_or_b64 exec, exec, s[12:13]
	s_waitcnt vmcnt(0)
	global_load_dwordx2 v[4:5], v[0:1], off offset:16
	s_waitcnt vmcnt(0)
	v_cmp_eq_u64_e32 vcc, 0, v[4:5]
	s_cbranch_vccnz .LBB2_271
; %bb.270:
	global_load_dword v0, v[0:1], off offset:24
	v_mov_b32_e32 v1, 0
	s_waitcnt vmcnt(0)
	v_readfirstlane_b32 s10, v0
	s_and_b32 m0, s10, 0xffffff
	buffer_wbl2 sc0 sc1
	global_store_dwordx2 v[4:5], v[0:1], off sc0 sc1
	s_sendmsg sendmsg(MSG_INTERRUPT)
.LBB2_271:
	s_or_b64 exec, exec, s[6:7]
	v_lshl_add_u64 v[0:1], v[12:13], 0, v[30:31]
	s_branch .LBB2_275
.LBB2_272:                              ;   in Loop: Header=BB2_275 Depth=1
	s_or_b64 exec, exec, s[6:7]
	v_readfirstlane_b32 s6, v4
	s_cmp_eq_u32 s6, 0
	s_cbranch_scc1 .LBB2_274
; %bb.273:                              ;   in Loop: Header=BB2_275 Depth=1
	s_sleep 1
	s_cbranch_execnz .LBB2_275
	s_branch .LBB2_277
.LBB2_274:
	s_branch .LBB2_277
.LBB2_275:                              ; =>This Inner Loop Header: Depth=1
	v_mov_b32_e32 v4, 1
	s_and_saveexec_b64 s[6:7], s[0:1]
	s_cbranch_execz .LBB2_272
; %bb.276:                              ;   in Loop: Header=BB2_275 Depth=1
	global_load_dword v4, v[14:15], off offset:20 sc0 sc1
	s_waitcnt vmcnt(0)
	buffer_inv sc0 sc1
	v_and_b32_e32 v4, 1, v4
	s_branch .LBB2_272
.LBB2_277:
	global_load_dwordx2 v[0:1], v[0:1], off
	s_and_saveexec_b64 s[6:7], s[0:1]
	s_cbranch_execz .LBB2_280
; %bb.278:
	v_mov_b32_e32 v10, 0
	global_load_dwordx2 v[4:5], v10, s[2:3] offset:40
	global_load_dwordx2 v[14:15], v10, s[2:3] offset:24 sc0 sc1
	global_load_dwordx2 v[6:7], v10, s[2:3]
	s_waitcnt vmcnt(2)
	v_readfirstlane_b32 s10, v4
	v_readfirstlane_b32 s11, v5
	s_add_u32 s12, s10, 1
	s_addc_u32 s13, s11, 0
	s_add_u32 s0, s12, s4
	s_addc_u32 s1, s13, s5
	s_cmp_eq_u64 s[0:1], 0
	s_cselect_b32 s1, s13, s1
	s_cselect_b32 s0, s12, s0
	s_and_b64 s[4:5], s[0:1], s[10:11]
	s_mul_i32 s5, s5, 24
	s_mul_hi_u32 s10, s4, 24
	s_mul_i32 s4, s4, 24
	s_add_i32 s5, s10, s5
	s_waitcnt vmcnt(0)
	v_lshl_add_u64 v[8:9], v[6:7], 0, s[4:5]
	v_mov_b32_e32 v12, s0
	global_store_dwordx2 v[8:9], v[14:15], off
	v_mov_b32_e32 v13, s1
	buffer_wbl2 sc0 sc1
	s_waitcnt vmcnt(0)
	global_atomic_cmpswap_x2 v[6:7], v10, v[12:15], s[2:3] offset:24 sc0 sc1
	s_mov_b64 s[4:5], 0
	s_waitcnt vmcnt(0)
	v_cmp_ne_u64_e32 vcc, v[6:7], v[14:15]
	s_and_b64 exec, exec, vcc
	s_cbranch_execz .LBB2_280
.LBB2_279:                              ; =>This Inner Loop Header: Depth=1
	s_sleep 1
	global_store_dwordx2 v[8:9], v[6:7], off
	v_mov_b32_e32 v4, s0
	v_mov_b32_e32 v5, s1
	buffer_wbl2 sc0 sc1
	s_waitcnt vmcnt(0)
	global_atomic_cmpswap_x2 v[4:5], v10, v[4:7], s[2:3] offset:24 sc0 sc1
	s_waitcnt vmcnt(0)
	v_cmp_eq_u64_e32 vcc, v[4:5], v[6:7]
	s_or_b64 s[4:5], vcc, s[4:5]
	v_mov_b64_e32 v[6:7], v[4:5]
	s_andn2_b64 exec, exec, s[4:5]
	s_cbranch_execnz .LBB2_279
.LBB2_280:
	s_or_b64 exec, exec, s[6:7]
	v_mov_b64_e32 v[4:5], 0
	v_cmp_ne_u64_e32 vcc, 0, v[2:3]
	s_and_saveexec_b64 s[0:1], vcc
	s_cbranch_execz .LBB2_284
; %bb.281:
	s_mov_b64 s[2:3], 0
	v_mov_b64_e32 v[4:5], v[2:3]
.LBB2_282:                              ; =>This Inner Loop Header: Depth=1
	global_load_ubyte v6, v[4:5], off
	v_lshl_add_u64 v[4:5], v[4:5], 0, 1
	s_waitcnt vmcnt(0)
	v_cmp_eq_u16_e32 vcc, 0, v6
	s_or_b64 s[2:3], vcc, s[2:3]
	s_andn2_b64 exec, exec, s[2:3]
	s_cbranch_execnz .LBB2_282
; %bb.283:
	s_or_b64 exec, exec, s[2:3]
	v_lshl_add_u64 v[4:5], v[4:5], 0, -1
	v_sub_co_u32_e32 v4, vcc, v4, v2
	s_nop 1
	v_subb_co_u32_e32 v5, vcc, v5, v3, vcc
	v_lshl_add_u64 v[4:5], v[4:5], 0, 1
.LBB2_284:
	s_or_b64 exec, exec, s[0:1]
	s_getpc_b64 s[0:1]
	s_add_u32 s0, s0, __ockl_printf_append_string_n@rel32@lo+4
	s_addc_u32 s1, s1, __ockl_printf_append_string_n@rel32@hi+12
	s_mov_b64 s[20:21], s[8:9]
	s_swappc_b64 s[30:31], s[0:1]
	s_getpc_b64 s[0:1]
	s_add_u32 s0, s0, __ockl_printf_append_args@rel32@lo+4
	s_addc_u32 s1, s1, __ockl_printf_append_args@rel32@hi+12
	s_mov_b64 s[8:9], s[20:21]
	v_mov_b32_e32 v2, 0x514
	v_mov_b32_e32 v3, 0
	;; [unrolled: 1-line block ×3, first 2 shown]
	s_swappc_b64 s[30:31], s[0:1]
	s_trap 2
.Lfunc_end2:
	.size	_ZL14no_device_codePKciS0_iS0_, .Lfunc_end2-_ZL14no_device_codePKciS0_iS0_
                                        ; -- End function
	.set .L_ZL14no_device_codePKciS0_iS0_.num_vgpr, max(38, .L__ockl_printf_append_string_n.num_vgpr, .L__ockl_printf_append_args.num_vgpr)
	.set .L_ZL14no_device_codePKciS0_iS0_.num_agpr, max(0, .L__ockl_printf_append_string_n.num_agpr, .L__ockl_printf_append_args.num_agpr)
	.set .L_ZL14no_device_codePKciS0_iS0_.numbered_sgpr, max(34, .L__ockl_printf_append_string_n.numbered_sgpr, .L__ockl_printf_append_args.numbered_sgpr)
	.set .L_ZL14no_device_codePKciS0_iS0_.num_named_barrier, max(0, .L__ockl_printf_append_string_n.num_named_barrier, .L__ockl_printf_append_args.num_named_barrier)
	.set .L_ZL14no_device_codePKciS0_iS0_.private_seg_size, 16+max(.L__ockl_printf_append_string_n.private_seg_size, .L__ockl_printf_append_args.private_seg_size)
	.set .L_ZL14no_device_codePKciS0_iS0_.uses_vcc, or(1, .L__ockl_printf_append_string_n.uses_vcc, .L__ockl_printf_append_args.uses_vcc)
	.set .L_ZL14no_device_codePKciS0_iS0_.uses_flat_scratch, or(0, .L__ockl_printf_append_string_n.uses_flat_scratch, .L__ockl_printf_append_args.uses_flat_scratch)
	.set .L_ZL14no_device_codePKciS0_iS0_.has_dyn_sized_stack, or(0, .L__ockl_printf_append_string_n.has_dyn_sized_stack, .L__ockl_printf_append_args.has_dyn_sized_stack)
	.set .L_ZL14no_device_codePKciS0_iS0_.has_recursion, or(0, .L__ockl_printf_append_string_n.has_recursion, .L__ockl_printf_append_args.has_recursion)
	.set .L_ZL14no_device_codePKciS0_iS0_.has_indirect_call, or(0, .L__ockl_printf_append_string_n.has_indirect_call, .L__ockl_printf_append_args.has_indirect_call)
	.section	.AMDGPU.csdata,"",@progbits
; Function info:
; codeLenInByte = 9592
; TotalNumSgprs: 40
; NumVgprs: 38
; NumAgprs: 0
; TotalNumVgprs: 38
; ScratchSize: 16
; MemoryBound: 0
	.section	.text._ZL13mul_mat_f_idsIfLi32ELi3ELi1EEvPKT_PKfPKiS6_S6_Pfiiiiiiiiiiiiii15HIP_vector_typeIjLj3EES9_,"axG",@progbits,_ZL13mul_mat_f_idsIfLi32ELi3ELi1EEvPKT_PKfPKiS6_S6_Pfiiiiiiiiiiiiii15HIP_vector_typeIjLj3EES9_,comdat
	.globl	_ZL13mul_mat_f_idsIfLi32ELi3ELi1EEvPKT_PKfPKiS6_S6_Pfiiiiiiiiiiiiii15HIP_vector_typeIjLj3EES9_ ; -- Begin function _ZL13mul_mat_f_idsIfLi32ELi3ELi1EEvPKT_PKfPKiS6_S6_Pfiiiiiiiiiiiiii15HIP_vector_typeIjLj3EES9_
	.p2align	8
	.type	_ZL13mul_mat_f_idsIfLi32ELi3ELi1EEvPKT_PKfPKiS6_S6_Pfiiiiiiiiiiiiii15HIP_vector_typeIjLj3EES9_,@function
_ZL13mul_mat_f_idsIfLi32ELi3ELi1EEvPKT_PKfPKiS6_S6_Pfiiiiiiiiiiiiii15HIP_vector_typeIjLj3EES9_: ; @_ZL13mul_mat_f_idsIfLi32ELi3ELi1EEvPKT_PKfPKiS6_S6_Pfiiiiiiiiiiiiii15HIP_vector_typeIjLj3EES9_
; %bb.0:
	s_add_u32 s8, s0, 0x80
	s_addc_u32 s9, s1, 0
	s_getpc_b64 s[0:1]
	s_add_u32 s0, s0, __FUNCTION__._ZL13mul_mat_f_idsIfLi32ELi3ELi1EEvPKT_PKfPKiS6_S6_Pfiiiiiiiiiiiiii15HIP_vector_typeIjLj3EES9_@rel32@lo+4
	s_addc_u32 s1, s1, __FUNCTION__._ZL13mul_mat_f_idsIfLi32ELi3ELi1EEvPKT_PKfPKiS6_S6_Pfiiiiiiiiiiiiii15HIP_vector_typeIjLj3EES9_@rel32@hi+12
	s_getpc_b64 s[2:3]
	s_add_u32 s2, s2, _ZL14no_device_codePKciS0_iS0_@rel32@lo+4
	s_addc_u32 s3, s3, _ZL14no_device_codePKciS0_iS0_@rel32@hi+12
	v_mov_b32_e32 v0, 0x13b
	v_mov_b32_e32 v1, s0
	;; [unrolled: 1-line block ×3, first 2 shown]
	s_mov_b32 s32, 0
	s_swappc_b64 s[30:31], s[2:3]
	.section	.rodata,"a",@progbits
	.p2align	6, 0x0
	.amdhsa_kernel _ZL13mul_mat_f_idsIfLi32ELi3ELi1EEvPKT_PKfPKiS6_S6_Pfiiiiiiiiiiiiii15HIP_vector_typeIjLj3EES9_
		.amdhsa_group_segment_fixed_size 0
		.amdhsa_private_segment_fixed_size 16
		.amdhsa_kernarg_size 384
		.amdhsa_user_sgpr_count 2
		.amdhsa_user_sgpr_dispatch_ptr 0
		.amdhsa_user_sgpr_queue_ptr 0
		.amdhsa_user_sgpr_kernarg_segment_ptr 1
		.amdhsa_user_sgpr_dispatch_id 0
		.amdhsa_user_sgpr_kernarg_preload_length 0
		.amdhsa_user_sgpr_kernarg_preload_offset 0
		.amdhsa_user_sgpr_private_segment_size 0
		.amdhsa_uses_dynamic_stack 0
		.amdhsa_enable_private_segment 1
		.amdhsa_system_sgpr_workgroup_id_x 1
		.amdhsa_system_sgpr_workgroup_id_y 0
		.amdhsa_system_sgpr_workgroup_id_z 0
		.amdhsa_system_sgpr_workgroup_info 0
		.amdhsa_system_vgpr_workitem_id 0
		.amdhsa_next_free_vgpr 38
		.amdhsa_next_free_sgpr 34
		.amdhsa_accum_offset 40
		.amdhsa_reserve_vcc 1
		.amdhsa_float_round_mode_32 0
		.amdhsa_float_round_mode_16_64 0
		.amdhsa_float_denorm_mode_32 3
		.amdhsa_float_denorm_mode_16_64 3
		.amdhsa_dx10_clamp 1
		.amdhsa_ieee_mode 1
		.amdhsa_fp16_overflow 0
		.amdhsa_tg_split 0
		.amdhsa_exception_fp_ieee_invalid_op 0
		.amdhsa_exception_fp_denorm_src 0
		.amdhsa_exception_fp_ieee_div_zero 0
		.amdhsa_exception_fp_ieee_overflow 0
		.amdhsa_exception_fp_ieee_underflow 0
		.amdhsa_exception_fp_ieee_inexact 0
		.amdhsa_exception_int_div_zero 0
	.end_amdhsa_kernel
	.section	.text._ZL13mul_mat_f_idsIfLi32ELi3ELi1EEvPKT_PKfPKiS6_S6_Pfiiiiiiiiiiiiii15HIP_vector_typeIjLj3EES9_,"axG",@progbits,_ZL13mul_mat_f_idsIfLi32ELi3ELi1EEvPKT_PKfPKiS6_S6_Pfiiiiiiiiiiiiii15HIP_vector_typeIjLj3EES9_,comdat
.Lfunc_end3:
	.size	_ZL13mul_mat_f_idsIfLi32ELi3ELi1EEvPKT_PKfPKiS6_S6_Pfiiiiiiiiiiiiii15HIP_vector_typeIjLj3EES9_, .Lfunc_end3-_ZL13mul_mat_f_idsIfLi32ELi3ELi1EEvPKT_PKfPKiS6_S6_Pfiiiiiiiiiiiiii15HIP_vector_typeIjLj3EES9_
                                        ; -- End function
	.set _ZL13mul_mat_f_idsIfLi32ELi3ELi1EEvPKT_PKfPKiS6_S6_Pfiiiiiiiiiiiiii15HIP_vector_typeIjLj3EES9_.num_vgpr, max(3, .L_ZL14no_device_codePKciS0_iS0_.num_vgpr)
	.set _ZL13mul_mat_f_idsIfLi32ELi3ELi1EEvPKT_PKfPKiS6_S6_Pfiiiiiiiiiiiiii15HIP_vector_typeIjLj3EES9_.num_agpr, max(0, .L_ZL14no_device_codePKciS0_iS0_.num_agpr)
	.set _ZL13mul_mat_f_idsIfLi32ELi3ELi1EEvPKT_PKfPKiS6_S6_Pfiiiiiiiiiiiiii15HIP_vector_typeIjLj3EES9_.numbered_sgpr, max(33, .L_ZL14no_device_codePKciS0_iS0_.numbered_sgpr)
	.set _ZL13mul_mat_f_idsIfLi32ELi3ELi1EEvPKT_PKfPKiS6_S6_Pfiiiiiiiiiiiiii15HIP_vector_typeIjLj3EES9_.num_named_barrier, max(0, .L_ZL14no_device_codePKciS0_iS0_.num_named_barrier)
	.set _ZL13mul_mat_f_idsIfLi32ELi3ELi1EEvPKT_PKfPKiS6_S6_Pfiiiiiiiiiiiiii15HIP_vector_typeIjLj3EES9_.private_seg_size, 0+max(.L_ZL14no_device_codePKciS0_iS0_.private_seg_size)
	.set _ZL13mul_mat_f_idsIfLi32ELi3ELi1EEvPKT_PKfPKiS6_S6_Pfiiiiiiiiiiiiii15HIP_vector_typeIjLj3EES9_.uses_vcc, or(1, .L_ZL14no_device_codePKciS0_iS0_.uses_vcc)
	.set _ZL13mul_mat_f_idsIfLi32ELi3ELi1EEvPKT_PKfPKiS6_S6_Pfiiiiiiiiiiiiii15HIP_vector_typeIjLj3EES9_.uses_flat_scratch, or(0, .L_ZL14no_device_codePKciS0_iS0_.uses_flat_scratch)
	.set _ZL13mul_mat_f_idsIfLi32ELi3ELi1EEvPKT_PKfPKiS6_S6_Pfiiiiiiiiiiiiii15HIP_vector_typeIjLj3EES9_.has_dyn_sized_stack, or(0, .L_ZL14no_device_codePKciS0_iS0_.has_dyn_sized_stack)
	.set _ZL13mul_mat_f_idsIfLi32ELi3ELi1EEvPKT_PKfPKiS6_S6_Pfiiiiiiiiiiiiii15HIP_vector_typeIjLj3EES9_.has_recursion, or(0, .L_ZL14no_device_codePKciS0_iS0_.has_recursion)
	.set _ZL13mul_mat_f_idsIfLi32ELi3ELi1EEvPKT_PKfPKiS6_S6_Pfiiiiiiiiiiiiii15HIP_vector_typeIjLj3EES9_.has_indirect_call, or(0, .L_ZL14no_device_codePKciS0_iS0_.has_indirect_call)
	.section	.AMDGPU.csdata,"",@progbits
; Kernel info:
; codeLenInByte = 76
; TotalNumSgprs: 40
; NumVgprs: 38
; NumAgprs: 0
; TotalNumVgprs: 38
; ScratchSize: 16
; MemoryBound: 0
; FloatMode: 240
; IeeeMode: 1
; LDSByteSize: 0 bytes/workgroup (compile time only)
; SGPRBlocks: 4
; VGPRBlocks: 4
; NumSGPRsForWavesPerEU: 40
; NumVGPRsForWavesPerEU: 38
; AccumOffset: 40
; Occupancy: 8
; WaveLimiterHint : 1
; COMPUTE_PGM_RSRC2:SCRATCH_EN: 1
; COMPUTE_PGM_RSRC2:USER_SGPR: 2
; COMPUTE_PGM_RSRC2:TRAP_HANDLER: 0
; COMPUTE_PGM_RSRC2:TGID_X_EN: 1
; COMPUTE_PGM_RSRC2:TGID_Y_EN: 0
; COMPUTE_PGM_RSRC2:TGID_Z_EN: 0
; COMPUTE_PGM_RSRC2:TIDIG_COMP_CNT: 0
; COMPUTE_PGM_RSRC3_GFX90A:ACCUM_OFFSET: 9
; COMPUTE_PGM_RSRC3_GFX90A:TG_SPLIT: 0
	.section	.text._ZL9mul_mat_fIfLi32ELi3ELi1ELb1EEvPKT_PKfPKiPfiiiiiiiiiiiiiiii,"axG",@progbits,_ZL9mul_mat_fIfLi32ELi3ELi1ELb1EEvPKT_PKfPKiPfiiiiiiiiiiiiiiii,comdat
	.globl	_ZL9mul_mat_fIfLi32ELi3ELi1ELb1EEvPKT_PKfPKiPfiiiiiiiiiiiiiiii ; -- Begin function _ZL9mul_mat_fIfLi32ELi3ELi1ELb1EEvPKT_PKfPKiPfiiiiiiiiiiiiiiii
	.p2align	8
	.type	_ZL9mul_mat_fIfLi32ELi3ELi1ELb1EEvPKT_PKfPKiPfiiiiiiiiiiiiiiii,@function
_ZL9mul_mat_fIfLi32ELi3ELi1ELb1EEvPKT_PKfPKiPfiiiiiiiiiiiiiiii: ; @_ZL9mul_mat_fIfLi32ELi3ELi1ELb1EEvPKT_PKfPKiPfiiiiiiiiiiiiiiii
; %bb.0:
	s_add_u32 s8, s0, 0x60
	s_addc_u32 s9, s1, 0
	s_getpc_b64 s[0:1]
	s_add_u32 s0, s0, __FUNCTION__._ZL9mul_mat_fIfLi32ELi3ELi1ELb1EEvPKT_PKfPKiPfiiiiiiiiiiiiiiii@rel32@lo+4
	s_addc_u32 s1, s1, __FUNCTION__._ZL9mul_mat_fIfLi32ELi3ELi1ELb1EEvPKT_PKfPKiPfiiiiiiiiiiiiiiii@rel32@hi+12
	s_getpc_b64 s[2:3]
	s_add_u32 s2, s2, _ZL14no_device_codePKciS0_iS0_@rel32@lo+4
	s_addc_u32 s3, s3, _ZL14no_device_codePKciS0_iS0_@rel32@hi+12
	v_mov_b32_e32 v0, 64
	v_mov_b32_e32 v1, s0
	v_mov_b32_e32 v2, s1
	s_mov_b32 s32, 0
	s_swappc_b64 s[30:31], s[2:3]
	.section	.rodata,"a",@progbits
	.p2align	6, 0x0
	.amdhsa_kernel _ZL9mul_mat_fIfLi32ELi3ELi1ELb1EEvPKT_PKfPKiPfiiiiiiiiiiiiiiii
		.amdhsa_group_segment_fixed_size 0
		.amdhsa_private_segment_fixed_size 16
		.amdhsa_kernarg_size 352
		.amdhsa_user_sgpr_count 2
		.amdhsa_user_sgpr_dispatch_ptr 0
		.amdhsa_user_sgpr_queue_ptr 0
		.amdhsa_user_sgpr_kernarg_segment_ptr 1
		.amdhsa_user_sgpr_dispatch_id 0
		.amdhsa_user_sgpr_kernarg_preload_length 0
		.amdhsa_user_sgpr_kernarg_preload_offset 0
		.amdhsa_user_sgpr_private_segment_size 0
		.amdhsa_uses_dynamic_stack 0
		.amdhsa_enable_private_segment 1
		.amdhsa_system_sgpr_workgroup_id_x 1
		.amdhsa_system_sgpr_workgroup_id_y 0
		.amdhsa_system_sgpr_workgroup_id_z 0
		.amdhsa_system_sgpr_workgroup_info 0
		.amdhsa_system_vgpr_workitem_id 0
		.amdhsa_next_free_vgpr 38
		.amdhsa_next_free_sgpr 34
		.amdhsa_accum_offset 40
		.amdhsa_reserve_vcc 1
		.amdhsa_float_round_mode_32 0
		.amdhsa_float_round_mode_16_64 0
		.amdhsa_float_denorm_mode_32 3
		.amdhsa_float_denorm_mode_16_64 3
		.amdhsa_dx10_clamp 1
		.amdhsa_ieee_mode 1
		.amdhsa_fp16_overflow 0
		.amdhsa_tg_split 0
		.amdhsa_exception_fp_ieee_invalid_op 0
		.amdhsa_exception_fp_denorm_src 0
		.amdhsa_exception_fp_ieee_div_zero 0
		.amdhsa_exception_fp_ieee_overflow 0
		.amdhsa_exception_fp_ieee_underflow 0
		.amdhsa_exception_fp_ieee_inexact 0
		.amdhsa_exception_int_div_zero 0
	.end_amdhsa_kernel
	.section	.text._ZL9mul_mat_fIfLi32ELi3ELi1ELb1EEvPKT_PKfPKiPfiiiiiiiiiiiiiiii,"axG",@progbits,_ZL9mul_mat_fIfLi32ELi3ELi1ELb1EEvPKT_PKfPKiPfiiiiiiiiiiiiiiii,comdat
.Lfunc_end4:
	.size	_ZL9mul_mat_fIfLi32ELi3ELi1ELb1EEvPKT_PKfPKiPfiiiiiiiiiiiiiiii, .Lfunc_end4-_ZL9mul_mat_fIfLi32ELi3ELi1ELb1EEvPKT_PKfPKiPfiiiiiiiiiiiiiiii
                                        ; -- End function
	.set _ZL9mul_mat_fIfLi32ELi3ELi1ELb1EEvPKT_PKfPKiPfiiiiiiiiiiiiiiii.num_vgpr, max(3, .L_ZL14no_device_codePKciS0_iS0_.num_vgpr)
	.set _ZL9mul_mat_fIfLi32ELi3ELi1ELb1EEvPKT_PKfPKiPfiiiiiiiiiiiiiiii.num_agpr, max(0, .L_ZL14no_device_codePKciS0_iS0_.num_agpr)
	.set _ZL9mul_mat_fIfLi32ELi3ELi1ELb1EEvPKT_PKfPKiPfiiiiiiiiiiiiiiii.numbered_sgpr, max(33, .L_ZL14no_device_codePKciS0_iS0_.numbered_sgpr)
	.set _ZL9mul_mat_fIfLi32ELi3ELi1ELb1EEvPKT_PKfPKiPfiiiiiiiiiiiiiiii.num_named_barrier, max(0, .L_ZL14no_device_codePKciS0_iS0_.num_named_barrier)
	.set _ZL9mul_mat_fIfLi32ELi3ELi1ELb1EEvPKT_PKfPKiPfiiiiiiiiiiiiiiii.private_seg_size, 0+max(.L_ZL14no_device_codePKciS0_iS0_.private_seg_size)
	.set _ZL9mul_mat_fIfLi32ELi3ELi1ELb1EEvPKT_PKfPKiPfiiiiiiiiiiiiiiii.uses_vcc, or(1, .L_ZL14no_device_codePKciS0_iS0_.uses_vcc)
	.set _ZL9mul_mat_fIfLi32ELi3ELi1ELb1EEvPKT_PKfPKiPfiiiiiiiiiiiiiiii.uses_flat_scratch, or(0, .L_ZL14no_device_codePKciS0_iS0_.uses_flat_scratch)
	.set _ZL9mul_mat_fIfLi32ELi3ELi1ELb1EEvPKT_PKfPKiPfiiiiiiiiiiiiiiii.has_dyn_sized_stack, or(0, .L_ZL14no_device_codePKciS0_iS0_.has_dyn_sized_stack)
	.set _ZL9mul_mat_fIfLi32ELi3ELi1ELb1EEvPKT_PKfPKiPfiiiiiiiiiiiiiiii.has_recursion, or(0, .L_ZL14no_device_codePKciS0_iS0_.has_recursion)
	.set _ZL9mul_mat_fIfLi32ELi3ELi1ELb1EEvPKT_PKfPKiPfiiiiiiiiiiiiiiii.has_indirect_call, or(0, .L_ZL14no_device_codePKciS0_iS0_.has_indirect_call)
	.section	.AMDGPU.csdata,"",@progbits
; Kernel info:
; codeLenInByte = 72
; TotalNumSgprs: 40
; NumVgprs: 38
; NumAgprs: 0
; TotalNumVgprs: 38
; ScratchSize: 16
; MemoryBound: 0
; FloatMode: 240
; IeeeMode: 1
; LDSByteSize: 0 bytes/workgroup (compile time only)
; SGPRBlocks: 4
; VGPRBlocks: 4
; NumSGPRsForWavesPerEU: 40
; NumVGPRsForWavesPerEU: 38
; AccumOffset: 40
; Occupancy: 8
; WaveLimiterHint : 1
; COMPUTE_PGM_RSRC2:SCRATCH_EN: 1
; COMPUTE_PGM_RSRC2:USER_SGPR: 2
; COMPUTE_PGM_RSRC2:TRAP_HANDLER: 0
; COMPUTE_PGM_RSRC2:TGID_X_EN: 1
; COMPUTE_PGM_RSRC2:TGID_Y_EN: 0
; COMPUTE_PGM_RSRC2:TGID_Z_EN: 0
; COMPUTE_PGM_RSRC2:TIDIG_COMP_CNT: 0
; COMPUTE_PGM_RSRC3_GFX90A:ACCUM_OFFSET: 9
; COMPUTE_PGM_RSRC3_GFX90A:TG_SPLIT: 0
	.section	.text._ZL9mul_mat_fIfLi32ELi3ELi1ELb0EEvPKT_PKfPKiPfiiiiiiiiiiiiiiii,"axG",@progbits,_ZL9mul_mat_fIfLi32ELi3ELi1ELb0EEvPKT_PKfPKiPfiiiiiiiiiiiiiiii,comdat
	.globl	_ZL9mul_mat_fIfLi32ELi3ELi1ELb0EEvPKT_PKfPKiPfiiiiiiiiiiiiiiii ; -- Begin function _ZL9mul_mat_fIfLi32ELi3ELi1ELb0EEvPKT_PKfPKiPfiiiiiiiiiiiiiiii
	.p2align	8
	.type	_ZL9mul_mat_fIfLi32ELi3ELi1ELb0EEvPKT_PKfPKiPfiiiiiiiiiiiiiiii,@function
_ZL9mul_mat_fIfLi32ELi3ELi1ELb0EEvPKT_PKfPKiPfiiiiiiiiiiiiiiii: ; @_ZL9mul_mat_fIfLi32ELi3ELi1ELb0EEvPKT_PKfPKiPfiiiiiiiiiiiiiiii
; %bb.0:
	s_add_u32 s8, s0, 0x60
	s_addc_u32 s9, s1, 0
	s_getpc_b64 s[0:1]
	s_add_u32 s0, s0, __FUNCTION__._ZL9mul_mat_fIfLi32ELi3ELi1ELb1EEvPKT_PKfPKiPfiiiiiiiiiiiiiiii@rel32@lo+4
	s_addc_u32 s1, s1, __FUNCTION__._ZL9mul_mat_fIfLi32ELi3ELi1ELb1EEvPKT_PKfPKiPfiiiiiiiiiiiiiiii@rel32@hi+12
	s_getpc_b64 s[2:3]
	s_add_u32 s2, s2, _ZL14no_device_codePKciS0_iS0_@rel32@lo+4
	s_addc_u32 s3, s3, _ZL14no_device_codePKciS0_iS0_@rel32@hi+12
	v_mov_b32_e32 v0, 64
	v_mov_b32_e32 v1, s0
	;; [unrolled: 1-line block ×3, first 2 shown]
	s_mov_b32 s32, 0
	s_swappc_b64 s[30:31], s[2:3]
	.section	.rodata,"a",@progbits
	.p2align	6, 0x0
	.amdhsa_kernel _ZL9mul_mat_fIfLi32ELi3ELi1ELb0EEvPKT_PKfPKiPfiiiiiiiiiiiiiiii
		.amdhsa_group_segment_fixed_size 0
		.amdhsa_private_segment_fixed_size 16
		.amdhsa_kernarg_size 352
		.amdhsa_user_sgpr_count 2
		.amdhsa_user_sgpr_dispatch_ptr 0
		.amdhsa_user_sgpr_queue_ptr 0
		.amdhsa_user_sgpr_kernarg_segment_ptr 1
		.amdhsa_user_sgpr_dispatch_id 0
		.amdhsa_user_sgpr_kernarg_preload_length 0
		.amdhsa_user_sgpr_kernarg_preload_offset 0
		.amdhsa_user_sgpr_private_segment_size 0
		.amdhsa_uses_dynamic_stack 0
		.amdhsa_enable_private_segment 1
		.amdhsa_system_sgpr_workgroup_id_x 1
		.amdhsa_system_sgpr_workgroup_id_y 0
		.amdhsa_system_sgpr_workgroup_id_z 0
		.amdhsa_system_sgpr_workgroup_info 0
		.amdhsa_system_vgpr_workitem_id 0
		.amdhsa_next_free_vgpr 38
		.amdhsa_next_free_sgpr 34
		.amdhsa_accum_offset 40
		.amdhsa_reserve_vcc 1
		.amdhsa_float_round_mode_32 0
		.amdhsa_float_round_mode_16_64 0
		.amdhsa_float_denorm_mode_32 3
		.amdhsa_float_denorm_mode_16_64 3
		.amdhsa_dx10_clamp 1
		.amdhsa_ieee_mode 1
		.amdhsa_fp16_overflow 0
		.amdhsa_tg_split 0
		.amdhsa_exception_fp_ieee_invalid_op 0
		.amdhsa_exception_fp_denorm_src 0
		.amdhsa_exception_fp_ieee_div_zero 0
		.amdhsa_exception_fp_ieee_overflow 0
		.amdhsa_exception_fp_ieee_underflow 0
		.amdhsa_exception_fp_ieee_inexact 0
		.amdhsa_exception_int_div_zero 0
	.end_amdhsa_kernel
	.section	.text._ZL9mul_mat_fIfLi32ELi3ELi1ELb0EEvPKT_PKfPKiPfiiiiiiiiiiiiiiii,"axG",@progbits,_ZL9mul_mat_fIfLi32ELi3ELi1ELb0EEvPKT_PKfPKiPfiiiiiiiiiiiiiiii,comdat
.Lfunc_end5:
	.size	_ZL9mul_mat_fIfLi32ELi3ELi1ELb0EEvPKT_PKfPKiPfiiiiiiiiiiiiiiii, .Lfunc_end5-_ZL9mul_mat_fIfLi32ELi3ELi1ELb0EEvPKT_PKfPKiPfiiiiiiiiiiiiiiii
                                        ; -- End function
	.set _ZL9mul_mat_fIfLi32ELi3ELi1ELb0EEvPKT_PKfPKiPfiiiiiiiiiiiiiiii.num_vgpr, max(3, .L_ZL14no_device_codePKciS0_iS0_.num_vgpr)
	.set _ZL9mul_mat_fIfLi32ELi3ELi1ELb0EEvPKT_PKfPKiPfiiiiiiiiiiiiiiii.num_agpr, max(0, .L_ZL14no_device_codePKciS0_iS0_.num_agpr)
	.set _ZL9mul_mat_fIfLi32ELi3ELi1ELb0EEvPKT_PKfPKiPfiiiiiiiiiiiiiiii.numbered_sgpr, max(33, .L_ZL14no_device_codePKciS0_iS0_.numbered_sgpr)
	.set _ZL9mul_mat_fIfLi32ELi3ELi1ELb0EEvPKT_PKfPKiPfiiiiiiiiiiiiiiii.num_named_barrier, max(0, .L_ZL14no_device_codePKciS0_iS0_.num_named_barrier)
	.set _ZL9mul_mat_fIfLi32ELi3ELi1ELb0EEvPKT_PKfPKiPfiiiiiiiiiiiiiiii.private_seg_size, 0+max(.L_ZL14no_device_codePKciS0_iS0_.private_seg_size)
	.set _ZL9mul_mat_fIfLi32ELi3ELi1ELb0EEvPKT_PKfPKiPfiiiiiiiiiiiiiiii.uses_vcc, or(1, .L_ZL14no_device_codePKciS0_iS0_.uses_vcc)
	.set _ZL9mul_mat_fIfLi32ELi3ELi1ELb0EEvPKT_PKfPKiPfiiiiiiiiiiiiiiii.uses_flat_scratch, or(0, .L_ZL14no_device_codePKciS0_iS0_.uses_flat_scratch)
	.set _ZL9mul_mat_fIfLi32ELi3ELi1ELb0EEvPKT_PKfPKiPfiiiiiiiiiiiiiiii.has_dyn_sized_stack, or(0, .L_ZL14no_device_codePKciS0_iS0_.has_dyn_sized_stack)
	.set _ZL9mul_mat_fIfLi32ELi3ELi1ELb0EEvPKT_PKfPKiPfiiiiiiiiiiiiiiii.has_recursion, or(0, .L_ZL14no_device_codePKciS0_iS0_.has_recursion)
	.set _ZL9mul_mat_fIfLi32ELi3ELi1ELb0EEvPKT_PKfPKiPfiiiiiiiiiiiiiiii.has_indirect_call, or(0, .L_ZL14no_device_codePKciS0_iS0_.has_indirect_call)
	.section	.AMDGPU.csdata,"",@progbits
; Kernel info:
; codeLenInByte = 72
; TotalNumSgprs: 40
; NumVgprs: 38
; NumAgprs: 0
; TotalNumVgprs: 38
; ScratchSize: 16
; MemoryBound: 0
; FloatMode: 240
; IeeeMode: 1
; LDSByteSize: 0 bytes/workgroup (compile time only)
; SGPRBlocks: 4
; VGPRBlocks: 4
; NumSGPRsForWavesPerEU: 40
; NumVGPRsForWavesPerEU: 38
; AccumOffset: 40
; Occupancy: 8
; WaveLimiterHint : 1
; COMPUTE_PGM_RSRC2:SCRATCH_EN: 1
; COMPUTE_PGM_RSRC2:USER_SGPR: 2
; COMPUTE_PGM_RSRC2:TRAP_HANDLER: 0
; COMPUTE_PGM_RSRC2:TGID_X_EN: 1
; COMPUTE_PGM_RSRC2:TGID_Y_EN: 0
; COMPUTE_PGM_RSRC2:TGID_Z_EN: 0
; COMPUTE_PGM_RSRC2:TIDIG_COMP_CNT: 0
; COMPUTE_PGM_RSRC3_GFX90A:ACCUM_OFFSET: 9
; COMPUTE_PGM_RSRC3_GFX90A:TG_SPLIT: 0
	.section	.text._ZL13mul_mat_f_idsIfLi32ELi3ELi2EEvPKT_PKfPKiS6_S6_Pfiiiiiiiiiiiiii15HIP_vector_typeIjLj3EES9_,"axG",@progbits,_ZL13mul_mat_f_idsIfLi32ELi3ELi2EEvPKT_PKfPKiS6_S6_Pfiiiiiiiiiiiiii15HIP_vector_typeIjLj3EES9_,comdat
	.globl	_ZL13mul_mat_f_idsIfLi32ELi3ELi2EEvPKT_PKfPKiS6_S6_Pfiiiiiiiiiiiiii15HIP_vector_typeIjLj3EES9_ ; -- Begin function _ZL13mul_mat_f_idsIfLi32ELi3ELi2EEvPKT_PKfPKiS6_S6_Pfiiiiiiiiiiiiii15HIP_vector_typeIjLj3EES9_
	.p2align	8
	.type	_ZL13mul_mat_f_idsIfLi32ELi3ELi2EEvPKT_PKfPKiS6_S6_Pfiiiiiiiiiiiiii15HIP_vector_typeIjLj3EES9_,@function
_ZL13mul_mat_f_idsIfLi32ELi3ELi2EEvPKT_PKfPKiS6_S6_Pfiiiiiiiiiiiiii15HIP_vector_typeIjLj3EES9_: ; @_ZL13mul_mat_f_idsIfLi32ELi3ELi2EEvPKT_PKfPKiS6_S6_Pfiiiiiiiiiiiiii15HIP_vector_typeIjLj3EES9_
; %bb.0:
	s_add_u32 s8, s0, 0x80
	s_addc_u32 s9, s1, 0
	s_getpc_b64 s[0:1]
	s_add_u32 s0, s0, __FUNCTION__._ZL13mul_mat_f_idsIfLi32ELi3ELi1EEvPKT_PKfPKiS6_S6_Pfiiiiiiiiiiiiii15HIP_vector_typeIjLj3EES9_@rel32@lo+4
	s_addc_u32 s1, s1, __FUNCTION__._ZL13mul_mat_f_idsIfLi32ELi3ELi1EEvPKT_PKfPKiS6_S6_Pfiiiiiiiiiiiiii15HIP_vector_typeIjLj3EES9_@rel32@hi+12
	s_getpc_b64 s[2:3]
	s_add_u32 s2, s2, _ZL14no_device_codePKciS0_iS0_@rel32@lo+4
	s_addc_u32 s3, s3, _ZL14no_device_codePKciS0_iS0_@rel32@hi+12
	v_mov_b32_e32 v0, 0x13b
	v_mov_b32_e32 v1, s0
	;; [unrolled: 1-line block ×3, first 2 shown]
	s_mov_b32 s32, 0
	s_swappc_b64 s[30:31], s[2:3]
	.section	.rodata,"a",@progbits
	.p2align	6, 0x0
	.amdhsa_kernel _ZL13mul_mat_f_idsIfLi32ELi3ELi2EEvPKT_PKfPKiS6_S6_Pfiiiiiiiiiiiiii15HIP_vector_typeIjLj3EES9_
		.amdhsa_group_segment_fixed_size 0
		.amdhsa_private_segment_fixed_size 16
		.amdhsa_kernarg_size 384
		.amdhsa_user_sgpr_count 2
		.amdhsa_user_sgpr_dispatch_ptr 0
		.amdhsa_user_sgpr_queue_ptr 0
		.amdhsa_user_sgpr_kernarg_segment_ptr 1
		.amdhsa_user_sgpr_dispatch_id 0
		.amdhsa_user_sgpr_kernarg_preload_length 0
		.amdhsa_user_sgpr_kernarg_preload_offset 0
		.amdhsa_user_sgpr_private_segment_size 0
		.amdhsa_uses_dynamic_stack 0
		.amdhsa_enable_private_segment 1
		.amdhsa_system_sgpr_workgroup_id_x 1
		.amdhsa_system_sgpr_workgroup_id_y 0
		.amdhsa_system_sgpr_workgroup_id_z 0
		.amdhsa_system_sgpr_workgroup_info 0
		.amdhsa_system_vgpr_workitem_id 0
		.amdhsa_next_free_vgpr 38
		.amdhsa_next_free_sgpr 34
		.amdhsa_accum_offset 40
		.amdhsa_reserve_vcc 1
		.amdhsa_float_round_mode_32 0
		.amdhsa_float_round_mode_16_64 0
		.amdhsa_float_denorm_mode_32 3
		.amdhsa_float_denorm_mode_16_64 3
		.amdhsa_dx10_clamp 1
		.amdhsa_ieee_mode 1
		.amdhsa_fp16_overflow 0
		.amdhsa_tg_split 0
		.amdhsa_exception_fp_ieee_invalid_op 0
		.amdhsa_exception_fp_denorm_src 0
		.amdhsa_exception_fp_ieee_div_zero 0
		.amdhsa_exception_fp_ieee_overflow 0
		.amdhsa_exception_fp_ieee_underflow 0
		.amdhsa_exception_fp_ieee_inexact 0
		.amdhsa_exception_int_div_zero 0
	.end_amdhsa_kernel
	.section	.text._ZL13mul_mat_f_idsIfLi32ELi3ELi2EEvPKT_PKfPKiS6_S6_Pfiiiiiiiiiiiiii15HIP_vector_typeIjLj3EES9_,"axG",@progbits,_ZL13mul_mat_f_idsIfLi32ELi3ELi2EEvPKT_PKfPKiS6_S6_Pfiiiiiiiiiiiiii15HIP_vector_typeIjLj3EES9_,comdat
.Lfunc_end6:
	.size	_ZL13mul_mat_f_idsIfLi32ELi3ELi2EEvPKT_PKfPKiS6_S6_Pfiiiiiiiiiiiiii15HIP_vector_typeIjLj3EES9_, .Lfunc_end6-_ZL13mul_mat_f_idsIfLi32ELi3ELi2EEvPKT_PKfPKiS6_S6_Pfiiiiiiiiiiiiii15HIP_vector_typeIjLj3EES9_
                                        ; -- End function
	.set _ZL13mul_mat_f_idsIfLi32ELi3ELi2EEvPKT_PKfPKiS6_S6_Pfiiiiiiiiiiiiii15HIP_vector_typeIjLj3EES9_.num_vgpr, max(3, .L_ZL14no_device_codePKciS0_iS0_.num_vgpr)
	.set _ZL13mul_mat_f_idsIfLi32ELi3ELi2EEvPKT_PKfPKiS6_S6_Pfiiiiiiiiiiiiii15HIP_vector_typeIjLj3EES9_.num_agpr, max(0, .L_ZL14no_device_codePKciS0_iS0_.num_agpr)
	.set _ZL13mul_mat_f_idsIfLi32ELi3ELi2EEvPKT_PKfPKiS6_S6_Pfiiiiiiiiiiiiii15HIP_vector_typeIjLj3EES9_.numbered_sgpr, max(33, .L_ZL14no_device_codePKciS0_iS0_.numbered_sgpr)
	.set _ZL13mul_mat_f_idsIfLi32ELi3ELi2EEvPKT_PKfPKiS6_S6_Pfiiiiiiiiiiiiii15HIP_vector_typeIjLj3EES9_.num_named_barrier, max(0, .L_ZL14no_device_codePKciS0_iS0_.num_named_barrier)
	.set _ZL13mul_mat_f_idsIfLi32ELi3ELi2EEvPKT_PKfPKiS6_S6_Pfiiiiiiiiiiiiii15HIP_vector_typeIjLj3EES9_.private_seg_size, 0+max(.L_ZL14no_device_codePKciS0_iS0_.private_seg_size)
	.set _ZL13mul_mat_f_idsIfLi32ELi3ELi2EEvPKT_PKfPKiS6_S6_Pfiiiiiiiiiiiiii15HIP_vector_typeIjLj3EES9_.uses_vcc, or(1, .L_ZL14no_device_codePKciS0_iS0_.uses_vcc)
	.set _ZL13mul_mat_f_idsIfLi32ELi3ELi2EEvPKT_PKfPKiS6_S6_Pfiiiiiiiiiiiiii15HIP_vector_typeIjLj3EES9_.uses_flat_scratch, or(0, .L_ZL14no_device_codePKciS0_iS0_.uses_flat_scratch)
	.set _ZL13mul_mat_f_idsIfLi32ELi3ELi2EEvPKT_PKfPKiS6_S6_Pfiiiiiiiiiiiiii15HIP_vector_typeIjLj3EES9_.has_dyn_sized_stack, or(0, .L_ZL14no_device_codePKciS0_iS0_.has_dyn_sized_stack)
	.set _ZL13mul_mat_f_idsIfLi32ELi3ELi2EEvPKT_PKfPKiS6_S6_Pfiiiiiiiiiiiiii15HIP_vector_typeIjLj3EES9_.has_recursion, or(0, .L_ZL14no_device_codePKciS0_iS0_.has_recursion)
	.set _ZL13mul_mat_f_idsIfLi32ELi3ELi2EEvPKT_PKfPKiS6_S6_Pfiiiiiiiiiiiiii15HIP_vector_typeIjLj3EES9_.has_indirect_call, or(0, .L_ZL14no_device_codePKciS0_iS0_.has_indirect_call)
	.section	.AMDGPU.csdata,"",@progbits
; Kernel info:
; codeLenInByte = 76
; TotalNumSgprs: 40
; NumVgprs: 38
; NumAgprs: 0
; TotalNumVgprs: 38
; ScratchSize: 16
; MemoryBound: 0
; FloatMode: 240
; IeeeMode: 1
; LDSByteSize: 0 bytes/workgroup (compile time only)
; SGPRBlocks: 4
; VGPRBlocks: 4
; NumSGPRsForWavesPerEU: 40
; NumVGPRsForWavesPerEU: 38
; AccumOffset: 40
; Occupancy: 8
; WaveLimiterHint : 1
; COMPUTE_PGM_RSRC2:SCRATCH_EN: 1
; COMPUTE_PGM_RSRC2:USER_SGPR: 2
; COMPUTE_PGM_RSRC2:TRAP_HANDLER: 0
; COMPUTE_PGM_RSRC2:TGID_X_EN: 1
; COMPUTE_PGM_RSRC2:TGID_Y_EN: 0
; COMPUTE_PGM_RSRC2:TGID_Z_EN: 0
; COMPUTE_PGM_RSRC2:TIDIG_COMP_CNT: 0
; COMPUTE_PGM_RSRC3_GFX90A:ACCUM_OFFSET: 9
; COMPUTE_PGM_RSRC3_GFX90A:TG_SPLIT: 0
	.section	.text._ZL9mul_mat_fIfLi32ELi3ELi2ELb1EEvPKT_PKfPKiPfiiiiiiiiiiiiiiii,"axG",@progbits,_ZL9mul_mat_fIfLi32ELi3ELi2ELb1EEvPKT_PKfPKiPfiiiiiiiiiiiiiiii,comdat
	.globl	_ZL9mul_mat_fIfLi32ELi3ELi2ELb1EEvPKT_PKfPKiPfiiiiiiiiiiiiiiii ; -- Begin function _ZL9mul_mat_fIfLi32ELi3ELi2ELb1EEvPKT_PKfPKiPfiiiiiiiiiiiiiiii
	.p2align	8
	.type	_ZL9mul_mat_fIfLi32ELi3ELi2ELb1EEvPKT_PKfPKiPfiiiiiiiiiiiiiiii,@function
_ZL9mul_mat_fIfLi32ELi3ELi2ELb1EEvPKT_PKfPKiPfiiiiiiiiiiiiiiii: ; @_ZL9mul_mat_fIfLi32ELi3ELi2ELb1EEvPKT_PKfPKiPfiiiiiiiiiiiiiiii
; %bb.0:
	s_add_u32 s8, s0, 0x60
	s_addc_u32 s9, s1, 0
	s_getpc_b64 s[0:1]
	s_add_u32 s0, s0, __FUNCTION__._ZL9mul_mat_fIfLi32ELi3ELi1ELb1EEvPKT_PKfPKiPfiiiiiiiiiiiiiiii@rel32@lo+4
	s_addc_u32 s1, s1, __FUNCTION__._ZL9mul_mat_fIfLi32ELi3ELi1ELb1EEvPKT_PKfPKiPfiiiiiiiiiiiiiiii@rel32@hi+12
	s_getpc_b64 s[2:3]
	s_add_u32 s2, s2, _ZL14no_device_codePKciS0_iS0_@rel32@lo+4
	s_addc_u32 s3, s3, _ZL14no_device_codePKciS0_iS0_@rel32@hi+12
	v_mov_b32_e32 v0, 64
	v_mov_b32_e32 v1, s0
	;; [unrolled: 1-line block ×3, first 2 shown]
	s_mov_b32 s32, 0
	s_swappc_b64 s[30:31], s[2:3]
	.section	.rodata,"a",@progbits
	.p2align	6, 0x0
	.amdhsa_kernel _ZL9mul_mat_fIfLi32ELi3ELi2ELb1EEvPKT_PKfPKiPfiiiiiiiiiiiiiiii
		.amdhsa_group_segment_fixed_size 0
		.amdhsa_private_segment_fixed_size 16
		.amdhsa_kernarg_size 352
		.amdhsa_user_sgpr_count 2
		.amdhsa_user_sgpr_dispatch_ptr 0
		.amdhsa_user_sgpr_queue_ptr 0
		.amdhsa_user_sgpr_kernarg_segment_ptr 1
		.amdhsa_user_sgpr_dispatch_id 0
		.amdhsa_user_sgpr_kernarg_preload_length 0
		.amdhsa_user_sgpr_kernarg_preload_offset 0
		.amdhsa_user_sgpr_private_segment_size 0
		.amdhsa_uses_dynamic_stack 0
		.amdhsa_enable_private_segment 1
		.amdhsa_system_sgpr_workgroup_id_x 1
		.amdhsa_system_sgpr_workgroup_id_y 0
		.amdhsa_system_sgpr_workgroup_id_z 0
		.amdhsa_system_sgpr_workgroup_info 0
		.amdhsa_system_vgpr_workitem_id 0
		.amdhsa_next_free_vgpr 38
		.amdhsa_next_free_sgpr 34
		.amdhsa_accum_offset 40
		.amdhsa_reserve_vcc 1
		.amdhsa_float_round_mode_32 0
		.amdhsa_float_round_mode_16_64 0
		.amdhsa_float_denorm_mode_32 3
		.amdhsa_float_denorm_mode_16_64 3
		.amdhsa_dx10_clamp 1
		.amdhsa_ieee_mode 1
		.amdhsa_fp16_overflow 0
		.amdhsa_tg_split 0
		.amdhsa_exception_fp_ieee_invalid_op 0
		.amdhsa_exception_fp_denorm_src 0
		.amdhsa_exception_fp_ieee_div_zero 0
		.amdhsa_exception_fp_ieee_overflow 0
		.amdhsa_exception_fp_ieee_underflow 0
		.amdhsa_exception_fp_ieee_inexact 0
		.amdhsa_exception_int_div_zero 0
	.end_amdhsa_kernel
	.section	.text._ZL9mul_mat_fIfLi32ELi3ELi2ELb1EEvPKT_PKfPKiPfiiiiiiiiiiiiiiii,"axG",@progbits,_ZL9mul_mat_fIfLi32ELi3ELi2ELb1EEvPKT_PKfPKiPfiiiiiiiiiiiiiiii,comdat
.Lfunc_end7:
	.size	_ZL9mul_mat_fIfLi32ELi3ELi2ELb1EEvPKT_PKfPKiPfiiiiiiiiiiiiiiii, .Lfunc_end7-_ZL9mul_mat_fIfLi32ELi3ELi2ELb1EEvPKT_PKfPKiPfiiiiiiiiiiiiiiii
                                        ; -- End function
	.set _ZL9mul_mat_fIfLi32ELi3ELi2ELb1EEvPKT_PKfPKiPfiiiiiiiiiiiiiiii.num_vgpr, max(3, .L_ZL14no_device_codePKciS0_iS0_.num_vgpr)
	.set _ZL9mul_mat_fIfLi32ELi3ELi2ELb1EEvPKT_PKfPKiPfiiiiiiiiiiiiiiii.num_agpr, max(0, .L_ZL14no_device_codePKciS0_iS0_.num_agpr)
	.set _ZL9mul_mat_fIfLi32ELi3ELi2ELb1EEvPKT_PKfPKiPfiiiiiiiiiiiiiiii.numbered_sgpr, max(33, .L_ZL14no_device_codePKciS0_iS0_.numbered_sgpr)
	.set _ZL9mul_mat_fIfLi32ELi3ELi2ELb1EEvPKT_PKfPKiPfiiiiiiiiiiiiiiii.num_named_barrier, max(0, .L_ZL14no_device_codePKciS0_iS0_.num_named_barrier)
	.set _ZL9mul_mat_fIfLi32ELi3ELi2ELb1EEvPKT_PKfPKiPfiiiiiiiiiiiiiiii.private_seg_size, 0+max(.L_ZL14no_device_codePKciS0_iS0_.private_seg_size)
	.set _ZL9mul_mat_fIfLi32ELi3ELi2ELb1EEvPKT_PKfPKiPfiiiiiiiiiiiiiiii.uses_vcc, or(1, .L_ZL14no_device_codePKciS0_iS0_.uses_vcc)
	.set _ZL9mul_mat_fIfLi32ELi3ELi2ELb1EEvPKT_PKfPKiPfiiiiiiiiiiiiiiii.uses_flat_scratch, or(0, .L_ZL14no_device_codePKciS0_iS0_.uses_flat_scratch)
	.set _ZL9mul_mat_fIfLi32ELi3ELi2ELb1EEvPKT_PKfPKiPfiiiiiiiiiiiiiiii.has_dyn_sized_stack, or(0, .L_ZL14no_device_codePKciS0_iS0_.has_dyn_sized_stack)
	.set _ZL9mul_mat_fIfLi32ELi3ELi2ELb1EEvPKT_PKfPKiPfiiiiiiiiiiiiiiii.has_recursion, or(0, .L_ZL14no_device_codePKciS0_iS0_.has_recursion)
	.set _ZL9mul_mat_fIfLi32ELi3ELi2ELb1EEvPKT_PKfPKiPfiiiiiiiiiiiiiiii.has_indirect_call, or(0, .L_ZL14no_device_codePKciS0_iS0_.has_indirect_call)
	.section	.AMDGPU.csdata,"",@progbits
; Kernel info:
; codeLenInByte = 72
; TotalNumSgprs: 40
; NumVgprs: 38
; NumAgprs: 0
; TotalNumVgprs: 38
; ScratchSize: 16
; MemoryBound: 0
; FloatMode: 240
; IeeeMode: 1
; LDSByteSize: 0 bytes/workgroup (compile time only)
; SGPRBlocks: 4
; VGPRBlocks: 4
; NumSGPRsForWavesPerEU: 40
; NumVGPRsForWavesPerEU: 38
; AccumOffset: 40
; Occupancy: 8
; WaveLimiterHint : 1
; COMPUTE_PGM_RSRC2:SCRATCH_EN: 1
; COMPUTE_PGM_RSRC2:USER_SGPR: 2
; COMPUTE_PGM_RSRC2:TRAP_HANDLER: 0
; COMPUTE_PGM_RSRC2:TGID_X_EN: 1
; COMPUTE_PGM_RSRC2:TGID_Y_EN: 0
; COMPUTE_PGM_RSRC2:TGID_Z_EN: 0
; COMPUTE_PGM_RSRC2:TIDIG_COMP_CNT: 0
; COMPUTE_PGM_RSRC3_GFX90A:ACCUM_OFFSET: 9
; COMPUTE_PGM_RSRC3_GFX90A:TG_SPLIT: 0
	.section	.text._ZL9mul_mat_fIfLi32ELi3ELi2ELb0EEvPKT_PKfPKiPfiiiiiiiiiiiiiiii,"axG",@progbits,_ZL9mul_mat_fIfLi32ELi3ELi2ELb0EEvPKT_PKfPKiPfiiiiiiiiiiiiiiii,comdat
	.globl	_ZL9mul_mat_fIfLi32ELi3ELi2ELb0EEvPKT_PKfPKiPfiiiiiiiiiiiiiiii ; -- Begin function _ZL9mul_mat_fIfLi32ELi3ELi2ELb0EEvPKT_PKfPKiPfiiiiiiiiiiiiiiii
	.p2align	8
	.type	_ZL9mul_mat_fIfLi32ELi3ELi2ELb0EEvPKT_PKfPKiPfiiiiiiiiiiiiiiii,@function
_ZL9mul_mat_fIfLi32ELi3ELi2ELb0EEvPKT_PKfPKiPfiiiiiiiiiiiiiiii: ; @_ZL9mul_mat_fIfLi32ELi3ELi2ELb0EEvPKT_PKfPKiPfiiiiiiiiiiiiiiii
; %bb.0:
	s_add_u32 s8, s0, 0x60
	s_addc_u32 s9, s1, 0
	s_getpc_b64 s[0:1]
	s_add_u32 s0, s0, __FUNCTION__._ZL9mul_mat_fIfLi32ELi3ELi1ELb1EEvPKT_PKfPKiPfiiiiiiiiiiiiiiii@rel32@lo+4
	s_addc_u32 s1, s1, __FUNCTION__._ZL9mul_mat_fIfLi32ELi3ELi1ELb1EEvPKT_PKfPKiPfiiiiiiiiiiiiiiii@rel32@hi+12
	s_getpc_b64 s[2:3]
	s_add_u32 s2, s2, _ZL14no_device_codePKciS0_iS0_@rel32@lo+4
	s_addc_u32 s3, s3, _ZL14no_device_codePKciS0_iS0_@rel32@hi+12
	v_mov_b32_e32 v0, 64
	v_mov_b32_e32 v1, s0
	;; [unrolled: 1-line block ×3, first 2 shown]
	s_mov_b32 s32, 0
	s_swappc_b64 s[30:31], s[2:3]
	.section	.rodata,"a",@progbits
	.p2align	6, 0x0
	.amdhsa_kernel _ZL9mul_mat_fIfLi32ELi3ELi2ELb0EEvPKT_PKfPKiPfiiiiiiiiiiiiiiii
		.amdhsa_group_segment_fixed_size 0
		.amdhsa_private_segment_fixed_size 16
		.amdhsa_kernarg_size 352
		.amdhsa_user_sgpr_count 2
		.amdhsa_user_sgpr_dispatch_ptr 0
		.amdhsa_user_sgpr_queue_ptr 0
		.amdhsa_user_sgpr_kernarg_segment_ptr 1
		.amdhsa_user_sgpr_dispatch_id 0
		.amdhsa_user_sgpr_kernarg_preload_length 0
		.amdhsa_user_sgpr_kernarg_preload_offset 0
		.amdhsa_user_sgpr_private_segment_size 0
		.amdhsa_uses_dynamic_stack 0
		.amdhsa_enable_private_segment 1
		.amdhsa_system_sgpr_workgroup_id_x 1
		.amdhsa_system_sgpr_workgroup_id_y 0
		.amdhsa_system_sgpr_workgroup_id_z 0
		.amdhsa_system_sgpr_workgroup_info 0
		.amdhsa_system_vgpr_workitem_id 0
		.amdhsa_next_free_vgpr 38
		.amdhsa_next_free_sgpr 34
		.amdhsa_accum_offset 40
		.amdhsa_reserve_vcc 1
		.amdhsa_float_round_mode_32 0
		.amdhsa_float_round_mode_16_64 0
		.amdhsa_float_denorm_mode_32 3
		.amdhsa_float_denorm_mode_16_64 3
		.amdhsa_dx10_clamp 1
		.amdhsa_ieee_mode 1
		.amdhsa_fp16_overflow 0
		.amdhsa_tg_split 0
		.amdhsa_exception_fp_ieee_invalid_op 0
		.amdhsa_exception_fp_denorm_src 0
		.amdhsa_exception_fp_ieee_div_zero 0
		.amdhsa_exception_fp_ieee_overflow 0
		.amdhsa_exception_fp_ieee_underflow 0
		.amdhsa_exception_fp_ieee_inexact 0
		.amdhsa_exception_int_div_zero 0
	.end_amdhsa_kernel
	.section	.text._ZL9mul_mat_fIfLi32ELi3ELi2ELb0EEvPKT_PKfPKiPfiiiiiiiiiiiiiiii,"axG",@progbits,_ZL9mul_mat_fIfLi32ELi3ELi2ELb0EEvPKT_PKfPKiPfiiiiiiiiiiiiiiii,comdat
.Lfunc_end8:
	.size	_ZL9mul_mat_fIfLi32ELi3ELi2ELb0EEvPKT_PKfPKiPfiiiiiiiiiiiiiiii, .Lfunc_end8-_ZL9mul_mat_fIfLi32ELi3ELi2ELb0EEvPKT_PKfPKiPfiiiiiiiiiiiiiiii
                                        ; -- End function
	.set _ZL9mul_mat_fIfLi32ELi3ELi2ELb0EEvPKT_PKfPKiPfiiiiiiiiiiiiiiii.num_vgpr, max(3, .L_ZL14no_device_codePKciS0_iS0_.num_vgpr)
	.set _ZL9mul_mat_fIfLi32ELi3ELi2ELb0EEvPKT_PKfPKiPfiiiiiiiiiiiiiiii.num_agpr, max(0, .L_ZL14no_device_codePKciS0_iS0_.num_agpr)
	.set _ZL9mul_mat_fIfLi32ELi3ELi2ELb0EEvPKT_PKfPKiPfiiiiiiiiiiiiiiii.numbered_sgpr, max(33, .L_ZL14no_device_codePKciS0_iS0_.numbered_sgpr)
	.set _ZL9mul_mat_fIfLi32ELi3ELi2ELb0EEvPKT_PKfPKiPfiiiiiiiiiiiiiiii.num_named_barrier, max(0, .L_ZL14no_device_codePKciS0_iS0_.num_named_barrier)
	.set _ZL9mul_mat_fIfLi32ELi3ELi2ELb0EEvPKT_PKfPKiPfiiiiiiiiiiiiiiii.private_seg_size, 0+max(.L_ZL14no_device_codePKciS0_iS0_.private_seg_size)
	.set _ZL9mul_mat_fIfLi32ELi3ELi2ELb0EEvPKT_PKfPKiPfiiiiiiiiiiiiiiii.uses_vcc, or(1, .L_ZL14no_device_codePKciS0_iS0_.uses_vcc)
	.set _ZL9mul_mat_fIfLi32ELi3ELi2ELb0EEvPKT_PKfPKiPfiiiiiiiiiiiiiiii.uses_flat_scratch, or(0, .L_ZL14no_device_codePKciS0_iS0_.uses_flat_scratch)
	.set _ZL9mul_mat_fIfLi32ELi3ELi2ELb0EEvPKT_PKfPKiPfiiiiiiiiiiiiiiii.has_dyn_sized_stack, or(0, .L_ZL14no_device_codePKciS0_iS0_.has_dyn_sized_stack)
	.set _ZL9mul_mat_fIfLi32ELi3ELi2ELb0EEvPKT_PKfPKiPfiiiiiiiiiiiiiiii.has_recursion, or(0, .L_ZL14no_device_codePKciS0_iS0_.has_recursion)
	.set _ZL9mul_mat_fIfLi32ELi3ELi2ELb0EEvPKT_PKfPKiPfiiiiiiiiiiiiiiii.has_indirect_call, or(0, .L_ZL14no_device_codePKciS0_iS0_.has_indirect_call)
	.section	.AMDGPU.csdata,"",@progbits
; Kernel info:
; codeLenInByte = 72
; TotalNumSgprs: 40
; NumVgprs: 38
; NumAgprs: 0
; TotalNumVgprs: 38
; ScratchSize: 16
; MemoryBound: 0
; FloatMode: 240
; IeeeMode: 1
; LDSByteSize: 0 bytes/workgroup (compile time only)
; SGPRBlocks: 4
; VGPRBlocks: 4
; NumSGPRsForWavesPerEU: 40
; NumVGPRsForWavesPerEU: 38
; AccumOffset: 40
; Occupancy: 8
; WaveLimiterHint : 1
; COMPUTE_PGM_RSRC2:SCRATCH_EN: 1
; COMPUTE_PGM_RSRC2:USER_SGPR: 2
; COMPUTE_PGM_RSRC2:TRAP_HANDLER: 0
; COMPUTE_PGM_RSRC2:TGID_X_EN: 1
; COMPUTE_PGM_RSRC2:TGID_Y_EN: 0
; COMPUTE_PGM_RSRC2:TGID_Z_EN: 0
; COMPUTE_PGM_RSRC2:TIDIG_COMP_CNT: 0
; COMPUTE_PGM_RSRC3_GFX90A:ACCUM_OFFSET: 9
; COMPUTE_PGM_RSRC3_GFX90A:TG_SPLIT: 0
	.section	.text._ZL13mul_mat_f_idsIfLi32ELi3ELi3EEvPKT_PKfPKiS6_S6_Pfiiiiiiiiiiiiii15HIP_vector_typeIjLj3EES9_,"axG",@progbits,_ZL13mul_mat_f_idsIfLi32ELi3ELi3EEvPKT_PKfPKiS6_S6_Pfiiiiiiiiiiiiii15HIP_vector_typeIjLj3EES9_,comdat
	.globl	_ZL13mul_mat_f_idsIfLi32ELi3ELi3EEvPKT_PKfPKiS6_S6_Pfiiiiiiiiiiiiii15HIP_vector_typeIjLj3EES9_ ; -- Begin function _ZL13mul_mat_f_idsIfLi32ELi3ELi3EEvPKT_PKfPKiS6_S6_Pfiiiiiiiiiiiiii15HIP_vector_typeIjLj3EES9_
	.p2align	8
	.type	_ZL13mul_mat_f_idsIfLi32ELi3ELi3EEvPKT_PKfPKiS6_S6_Pfiiiiiiiiiiiiii15HIP_vector_typeIjLj3EES9_,@function
_ZL13mul_mat_f_idsIfLi32ELi3ELi3EEvPKT_PKfPKiS6_S6_Pfiiiiiiiiiiiiii15HIP_vector_typeIjLj3EES9_: ; @_ZL13mul_mat_f_idsIfLi32ELi3ELi3EEvPKT_PKfPKiS6_S6_Pfiiiiiiiiiiiiii15HIP_vector_typeIjLj3EES9_
; %bb.0:
	s_add_u32 s8, s0, 0x80
	s_addc_u32 s9, s1, 0
	s_getpc_b64 s[0:1]
	s_add_u32 s0, s0, __FUNCTION__._ZL13mul_mat_f_idsIfLi32ELi3ELi1EEvPKT_PKfPKiS6_S6_Pfiiiiiiiiiiiiii15HIP_vector_typeIjLj3EES9_@rel32@lo+4
	s_addc_u32 s1, s1, __FUNCTION__._ZL13mul_mat_f_idsIfLi32ELi3ELi1EEvPKT_PKfPKiS6_S6_Pfiiiiiiiiiiiiii15HIP_vector_typeIjLj3EES9_@rel32@hi+12
	s_getpc_b64 s[2:3]
	s_add_u32 s2, s2, _ZL14no_device_codePKciS0_iS0_@rel32@lo+4
	s_addc_u32 s3, s3, _ZL14no_device_codePKciS0_iS0_@rel32@hi+12
	v_mov_b32_e32 v0, 0x13b
	v_mov_b32_e32 v1, s0
	;; [unrolled: 1-line block ×3, first 2 shown]
	s_mov_b32 s32, 0
	s_swappc_b64 s[30:31], s[2:3]
	.section	.rodata,"a",@progbits
	.p2align	6, 0x0
	.amdhsa_kernel _ZL13mul_mat_f_idsIfLi32ELi3ELi3EEvPKT_PKfPKiS6_S6_Pfiiiiiiiiiiiiii15HIP_vector_typeIjLj3EES9_
		.amdhsa_group_segment_fixed_size 0
		.amdhsa_private_segment_fixed_size 16
		.amdhsa_kernarg_size 384
		.amdhsa_user_sgpr_count 2
		.amdhsa_user_sgpr_dispatch_ptr 0
		.amdhsa_user_sgpr_queue_ptr 0
		.amdhsa_user_sgpr_kernarg_segment_ptr 1
		.amdhsa_user_sgpr_dispatch_id 0
		.amdhsa_user_sgpr_kernarg_preload_length 0
		.amdhsa_user_sgpr_kernarg_preload_offset 0
		.amdhsa_user_sgpr_private_segment_size 0
		.amdhsa_uses_dynamic_stack 0
		.amdhsa_enable_private_segment 1
		.amdhsa_system_sgpr_workgroup_id_x 1
		.amdhsa_system_sgpr_workgroup_id_y 0
		.amdhsa_system_sgpr_workgroup_id_z 0
		.amdhsa_system_sgpr_workgroup_info 0
		.amdhsa_system_vgpr_workitem_id 0
		.amdhsa_next_free_vgpr 38
		.amdhsa_next_free_sgpr 34
		.amdhsa_accum_offset 40
		.amdhsa_reserve_vcc 1
		.amdhsa_float_round_mode_32 0
		.amdhsa_float_round_mode_16_64 0
		.amdhsa_float_denorm_mode_32 3
		.amdhsa_float_denorm_mode_16_64 3
		.amdhsa_dx10_clamp 1
		.amdhsa_ieee_mode 1
		.amdhsa_fp16_overflow 0
		.amdhsa_tg_split 0
		.amdhsa_exception_fp_ieee_invalid_op 0
		.amdhsa_exception_fp_denorm_src 0
		.amdhsa_exception_fp_ieee_div_zero 0
		.amdhsa_exception_fp_ieee_overflow 0
		.amdhsa_exception_fp_ieee_underflow 0
		.amdhsa_exception_fp_ieee_inexact 0
		.amdhsa_exception_int_div_zero 0
	.end_amdhsa_kernel
	.section	.text._ZL13mul_mat_f_idsIfLi32ELi3ELi3EEvPKT_PKfPKiS6_S6_Pfiiiiiiiiiiiiii15HIP_vector_typeIjLj3EES9_,"axG",@progbits,_ZL13mul_mat_f_idsIfLi32ELi3ELi3EEvPKT_PKfPKiS6_S6_Pfiiiiiiiiiiiiii15HIP_vector_typeIjLj3EES9_,comdat
.Lfunc_end9:
	.size	_ZL13mul_mat_f_idsIfLi32ELi3ELi3EEvPKT_PKfPKiS6_S6_Pfiiiiiiiiiiiiii15HIP_vector_typeIjLj3EES9_, .Lfunc_end9-_ZL13mul_mat_f_idsIfLi32ELi3ELi3EEvPKT_PKfPKiS6_S6_Pfiiiiiiiiiiiiii15HIP_vector_typeIjLj3EES9_
                                        ; -- End function
	.set _ZL13mul_mat_f_idsIfLi32ELi3ELi3EEvPKT_PKfPKiS6_S6_Pfiiiiiiiiiiiiii15HIP_vector_typeIjLj3EES9_.num_vgpr, max(3, .L_ZL14no_device_codePKciS0_iS0_.num_vgpr)
	.set _ZL13mul_mat_f_idsIfLi32ELi3ELi3EEvPKT_PKfPKiS6_S6_Pfiiiiiiiiiiiiii15HIP_vector_typeIjLj3EES9_.num_agpr, max(0, .L_ZL14no_device_codePKciS0_iS0_.num_agpr)
	.set _ZL13mul_mat_f_idsIfLi32ELi3ELi3EEvPKT_PKfPKiS6_S6_Pfiiiiiiiiiiiiii15HIP_vector_typeIjLj3EES9_.numbered_sgpr, max(33, .L_ZL14no_device_codePKciS0_iS0_.numbered_sgpr)
	.set _ZL13mul_mat_f_idsIfLi32ELi3ELi3EEvPKT_PKfPKiS6_S6_Pfiiiiiiiiiiiiii15HIP_vector_typeIjLj3EES9_.num_named_barrier, max(0, .L_ZL14no_device_codePKciS0_iS0_.num_named_barrier)
	.set _ZL13mul_mat_f_idsIfLi32ELi3ELi3EEvPKT_PKfPKiS6_S6_Pfiiiiiiiiiiiiii15HIP_vector_typeIjLj3EES9_.private_seg_size, 0+max(.L_ZL14no_device_codePKciS0_iS0_.private_seg_size)
	.set _ZL13mul_mat_f_idsIfLi32ELi3ELi3EEvPKT_PKfPKiS6_S6_Pfiiiiiiiiiiiiii15HIP_vector_typeIjLj3EES9_.uses_vcc, or(1, .L_ZL14no_device_codePKciS0_iS0_.uses_vcc)
	.set _ZL13mul_mat_f_idsIfLi32ELi3ELi3EEvPKT_PKfPKiS6_S6_Pfiiiiiiiiiiiiii15HIP_vector_typeIjLj3EES9_.uses_flat_scratch, or(0, .L_ZL14no_device_codePKciS0_iS0_.uses_flat_scratch)
	.set _ZL13mul_mat_f_idsIfLi32ELi3ELi3EEvPKT_PKfPKiS6_S6_Pfiiiiiiiiiiiiii15HIP_vector_typeIjLj3EES9_.has_dyn_sized_stack, or(0, .L_ZL14no_device_codePKciS0_iS0_.has_dyn_sized_stack)
	.set _ZL13mul_mat_f_idsIfLi32ELi3ELi3EEvPKT_PKfPKiS6_S6_Pfiiiiiiiiiiiiii15HIP_vector_typeIjLj3EES9_.has_recursion, or(0, .L_ZL14no_device_codePKciS0_iS0_.has_recursion)
	.set _ZL13mul_mat_f_idsIfLi32ELi3ELi3EEvPKT_PKfPKiS6_S6_Pfiiiiiiiiiiiiii15HIP_vector_typeIjLj3EES9_.has_indirect_call, or(0, .L_ZL14no_device_codePKciS0_iS0_.has_indirect_call)
	.section	.AMDGPU.csdata,"",@progbits
; Kernel info:
; codeLenInByte = 76
; TotalNumSgprs: 40
; NumVgprs: 38
; NumAgprs: 0
; TotalNumVgprs: 38
; ScratchSize: 16
; MemoryBound: 0
; FloatMode: 240
; IeeeMode: 1
; LDSByteSize: 0 bytes/workgroup (compile time only)
; SGPRBlocks: 4
; VGPRBlocks: 4
; NumSGPRsForWavesPerEU: 40
; NumVGPRsForWavesPerEU: 38
; AccumOffset: 40
; Occupancy: 8
; WaveLimiterHint : 1
; COMPUTE_PGM_RSRC2:SCRATCH_EN: 1
; COMPUTE_PGM_RSRC2:USER_SGPR: 2
; COMPUTE_PGM_RSRC2:TRAP_HANDLER: 0
; COMPUTE_PGM_RSRC2:TGID_X_EN: 1
; COMPUTE_PGM_RSRC2:TGID_Y_EN: 0
; COMPUTE_PGM_RSRC2:TGID_Z_EN: 0
; COMPUTE_PGM_RSRC2:TIDIG_COMP_CNT: 0
; COMPUTE_PGM_RSRC3_GFX90A:ACCUM_OFFSET: 9
; COMPUTE_PGM_RSRC3_GFX90A:TG_SPLIT: 0
	.section	.text._ZL9mul_mat_fIfLi32ELi3ELi3ELb1EEvPKT_PKfPKiPfiiiiiiiiiiiiiiii,"axG",@progbits,_ZL9mul_mat_fIfLi32ELi3ELi3ELb1EEvPKT_PKfPKiPfiiiiiiiiiiiiiiii,comdat
	.globl	_ZL9mul_mat_fIfLi32ELi3ELi3ELb1EEvPKT_PKfPKiPfiiiiiiiiiiiiiiii ; -- Begin function _ZL9mul_mat_fIfLi32ELi3ELi3ELb1EEvPKT_PKfPKiPfiiiiiiiiiiiiiiii
	.p2align	8
	.type	_ZL9mul_mat_fIfLi32ELi3ELi3ELb1EEvPKT_PKfPKiPfiiiiiiiiiiiiiiii,@function
_ZL9mul_mat_fIfLi32ELi3ELi3ELb1EEvPKT_PKfPKiPfiiiiiiiiiiiiiiii: ; @_ZL9mul_mat_fIfLi32ELi3ELi3ELb1EEvPKT_PKfPKiPfiiiiiiiiiiiiiiii
; %bb.0:
	s_add_u32 s8, s0, 0x60
	s_addc_u32 s9, s1, 0
	s_getpc_b64 s[0:1]
	s_add_u32 s0, s0, __FUNCTION__._ZL9mul_mat_fIfLi32ELi3ELi1ELb1EEvPKT_PKfPKiPfiiiiiiiiiiiiiiii@rel32@lo+4
	s_addc_u32 s1, s1, __FUNCTION__._ZL9mul_mat_fIfLi32ELi3ELi1ELb1EEvPKT_PKfPKiPfiiiiiiiiiiiiiiii@rel32@hi+12
	s_getpc_b64 s[2:3]
	s_add_u32 s2, s2, _ZL14no_device_codePKciS0_iS0_@rel32@lo+4
	s_addc_u32 s3, s3, _ZL14no_device_codePKciS0_iS0_@rel32@hi+12
	v_mov_b32_e32 v0, 64
	v_mov_b32_e32 v1, s0
	;; [unrolled: 1-line block ×3, first 2 shown]
	s_mov_b32 s32, 0
	s_swappc_b64 s[30:31], s[2:3]
	.section	.rodata,"a",@progbits
	.p2align	6, 0x0
	.amdhsa_kernel _ZL9mul_mat_fIfLi32ELi3ELi3ELb1EEvPKT_PKfPKiPfiiiiiiiiiiiiiiii
		.amdhsa_group_segment_fixed_size 0
		.amdhsa_private_segment_fixed_size 16
		.amdhsa_kernarg_size 352
		.amdhsa_user_sgpr_count 2
		.amdhsa_user_sgpr_dispatch_ptr 0
		.amdhsa_user_sgpr_queue_ptr 0
		.amdhsa_user_sgpr_kernarg_segment_ptr 1
		.amdhsa_user_sgpr_dispatch_id 0
		.amdhsa_user_sgpr_kernarg_preload_length 0
		.amdhsa_user_sgpr_kernarg_preload_offset 0
		.amdhsa_user_sgpr_private_segment_size 0
		.amdhsa_uses_dynamic_stack 0
		.amdhsa_enable_private_segment 1
		.amdhsa_system_sgpr_workgroup_id_x 1
		.amdhsa_system_sgpr_workgroup_id_y 0
		.amdhsa_system_sgpr_workgroup_id_z 0
		.amdhsa_system_sgpr_workgroup_info 0
		.amdhsa_system_vgpr_workitem_id 0
		.amdhsa_next_free_vgpr 38
		.amdhsa_next_free_sgpr 34
		.amdhsa_accum_offset 40
		.amdhsa_reserve_vcc 1
		.amdhsa_float_round_mode_32 0
		.amdhsa_float_round_mode_16_64 0
		.amdhsa_float_denorm_mode_32 3
		.amdhsa_float_denorm_mode_16_64 3
		.amdhsa_dx10_clamp 1
		.amdhsa_ieee_mode 1
		.amdhsa_fp16_overflow 0
		.amdhsa_tg_split 0
		.amdhsa_exception_fp_ieee_invalid_op 0
		.amdhsa_exception_fp_denorm_src 0
		.amdhsa_exception_fp_ieee_div_zero 0
		.amdhsa_exception_fp_ieee_overflow 0
		.amdhsa_exception_fp_ieee_underflow 0
		.amdhsa_exception_fp_ieee_inexact 0
		.amdhsa_exception_int_div_zero 0
	.end_amdhsa_kernel
	.section	.text._ZL9mul_mat_fIfLi32ELi3ELi3ELb1EEvPKT_PKfPKiPfiiiiiiiiiiiiiiii,"axG",@progbits,_ZL9mul_mat_fIfLi32ELi3ELi3ELb1EEvPKT_PKfPKiPfiiiiiiiiiiiiiiii,comdat
.Lfunc_end10:
	.size	_ZL9mul_mat_fIfLi32ELi3ELi3ELb1EEvPKT_PKfPKiPfiiiiiiiiiiiiiiii, .Lfunc_end10-_ZL9mul_mat_fIfLi32ELi3ELi3ELb1EEvPKT_PKfPKiPfiiiiiiiiiiiiiiii
                                        ; -- End function
	.set _ZL9mul_mat_fIfLi32ELi3ELi3ELb1EEvPKT_PKfPKiPfiiiiiiiiiiiiiiii.num_vgpr, max(3, .L_ZL14no_device_codePKciS0_iS0_.num_vgpr)
	.set _ZL9mul_mat_fIfLi32ELi3ELi3ELb1EEvPKT_PKfPKiPfiiiiiiiiiiiiiiii.num_agpr, max(0, .L_ZL14no_device_codePKciS0_iS0_.num_agpr)
	.set _ZL9mul_mat_fIfLi32ELi3ELi3ELb1EEvPKT_PKfPKiPfiiiiiiiiiiiiiiii.numbered_sgpr, max(33, .L_ZL14no_device_codePKciS0_iS0_.numbered_sgpr)
	.set _ZL9mul_mat_fIfLi32ELi3ELi3ELb1EEvPKT_PKfPKiPfiiiiiiiiiiiiiiii.num_named_barrier, max(0, .L_ZL14no_device_codePKciS0_iS0_.num_named_barrier)
	.set _ZL9mul_mat_fIfLi32ELi3ELi3ELb1EEvPKT_PKfPKiPfiiiiiiiiiiiiiiii.private_seg_size, 0+max(.L_ZL14no_device_codePKciS0_iS0_.private_seg_size)
	.set _ZL9mul_mat_fIfLi32ELi3ELi3ELb1EEvPKT_PKfPKiPfiiiiiiiiiiiiiiii.uses_vcc, or(1, .L_ZL14no_device_codePKciS0_iS0_.uses_vcc)
	.set _ZL9mul_mat_fIfLi32ELi3ELi3ELb1EEvPKT_PKfPKiPfiiiiiiiiiiiiiiii.uses_flat_scratch, or(0, .L_ZL14no_device_codePKciS0_iS0_.uses_flat_scratch)
	.set _ZL9mul_mat_fIfLi32ELi3ELi3ELb1EEvPKT_PKfPKiPfiiiiiiiiiiiiiiii.has_dyn_sized_stack, or(0, .L_ZL14no_device_codePKciS0_iS0_.has_dyn_sized_stack)
	.set _ZL9mul_mat_fIfLi32ELi3ELi3ELb1EEvPKT_PKfPKiPfiiiiiiiiiiiiiiii.has_recursion, or(0, .L_ZL14no_device_codePKciS0_iS0_.has_recursion)
	.set _ZL9mul_mat_fIfLi32ELi3ELi3ELb1EEvPKT_PKfPKiPfiiiiiiiiiiiiiiii.has_indirect_call, or(0, .L_ZL14no_device_codePKciS0_iS0_.has_indirect_call)
	.section	.AMDGPU.csdata,"",@progbits
; Kernel info:
; codeLenInByte = 72
; TotalNumSgprs: 40
; NumVgprs: 38
; NumAgprs: 0
; TotalNumVgprs: 38
; ScratchSize: 16
; MemoryBound: 0
; FloatMode: 240
; IeeeMode: 1
; LDSByteSize: 0 bytes/workgroup (compile time only)
; SGPRBlocks: 4
; VGPRBlocks: 4
; NumSGPRsForWavesPerEU: 40
; NumVGPRsForWavesPerEU: 38
; AccumOffset: 40
; Occupancy: 8
; WaveLimiterHint : 1
; COMPUTE_PGM_RSRC2:SCRATCH_EN: 1
; COMPUTE_PGM_RSRC2:USER_SGPR: 2
; COMPUTE_PGM_RSRC2:TRAP_HANDLER: 0
; COMPUTE_PGM_RSRC2:TGID_X_EN: 1
; COMPUTE_PGM_RSRC2:TGID_Y_EN: 0
; COMPUTE_PGM_RSRC2:TGID_Z_EN: 0
; COMPUTE_PGM_RSRC2:TIDIG_COMP_CNT: 0
; COMPUTE_PGM_RSRC3_GFX90A:ACCUM_OFFSET: 9
; COMPUTE_PGM_RSRC3_GFX90A:TG_SPLIT: 0
	.section	.text._ZL9mul_mat_fIfLi32ELi3ELi3ELb0EEvPKT_PKfPKiPfiiiiiiiiiiiiiiii,"axG",@progbits,_ZL9mul_mat_fIfLi32ELi3ELi3ELb0EEvPKT_PKfPKiPfiiiiiiiiiiiiiiii,comdat
	.globl	_ZL9mul_mat_fIfLi32ELi3ELi3ELb0EEvPKT_PKfPKiPfiiiiiiiiiiiiiiii ; -- Begin function _ZL9mul_mat_fIfLi32ELi3ELi3ELb0EEvPKT_PKfPKiPfiiiiiiiiiiiiiiii
	.p2align	8
	.type	_ZL9mul_mat_fIfLi32ELi3ELi3ELb0EEvPKT_PKfPKiPfiiiiiiiiiiiiiiii,@function
_ZL9mul_mat_fIfLi32ELi3ELi3ELb0EEvPKT_PKfPKiPfiiiiiiiiiiiiiiii: ; @_ZL9mul_mat_fIfLi32ELi3ELi3ELb0EEvPKT_PKfPKiPfiiiiiiiiiiiiiiii
; %bb.0:
	s_add_u32 s8, s0, 0x60
	s_addc_u32 s9, s1, 0
	s_getpc_b64 s[0:1]
	s_add_u32 s0, s0, __FUNCTION__._ZL9mul_mat_fIfLi32ELi3ELi1ELb1EEvPKT_PKfPKiPfiiiiiiiiiiiiiiii@rel32@lo+4
	s_addc_u32 s1, s1, __FUNCTION__._ZL9mul_mat_fIfLi32ELi3ELi1ELb1EEvPKT_PKfPKiPfiiiiiiiiiiiiiiii@rel32@hi+12
	s_getpc_b64 s[2:3]
	s_add_u32 s2, s2, _ZL14no_device_codePKciS0_iS0_@rel32@lo+4
	s_addc_u32 s3, s3, _ZL14no_device_codePKciS0_iS0_@rel32@hi+12
	v_mov_b32_e32 v0, 64
	v_mov_b32_e32 v1, s0
	;; [unrolled: 1-line block ×3, first 2 shown]
	s_mov_b32 s32, 0
	s_swappc_b64 s[30:31], s[2:3]
	.section	.rodata,"a",@progbits
	.p2align	6, 0x0
	.amdhsa_kernel _ZL9mul_mat_fIfLi32ELi3ELi3ELb0EEvPKT_PKfPKiPfiiiiiiiiiiiiiiii
		.amdhsa_group_segment_fixed_size 0
		.amdhsa_private_segment_fixed_size 16
		.amdhsa_kernarg_size 352
		.amdhsa_user_sgpr_count 2
		.amdhsa_user_sgpr_dispatch_ptr 0
		.amdhsa_user_sgpr_queue_ptr 0
		.amdhsa_user_sgpr_kernarg_segment_ptr 1
		.amdhsa_user_sgpr_dispatch_id 0
		.amdhsa_user_sgpr_kernarg_preload_length 0
		.amdhsa_user_sgpr_kernarg_preload_offset 0
		.amdhsa_user_sgpr_private_segment_size 0
		.amdhsa_uses_dynamic_stack 0
		.amdhsa_enable_private_segment 1
		.amdhsa_system_sgpr_workgroup_id_x 1
		.amdhsa_system_sgpr_workgroup_id_y 0
		.amdhsa_system_sgpr_workgroup_id_z 0
		.amdhsa_system_sgpr_workgroup_info 0
		.amdhsa_system_vgpr_workitem_id 0
		.amdhsa_next_free_vgpr 38
		.amdhsa_next_free_sgpr 34
		.amdhsa_accum_offset 40
		.amdhsa_reserve_vcc 1
		.amdhsa_float_round_mode_32 0
		.amdhsa_float_round_mode_16_64 0
		.amdhsa_float_denorm_mode_32 3
		.amdhsa_float_denorm_mode_16_64 3
		.amdhsa_dx10_clamp 1
		.amdhsa_ieee_mode 1
		.amdhsa_fp16_overflow 0
		.amdhsa_tg_split 0
		.amdhsa_exception_fp_ieee_invalid_op 0
		.amdhsa_exception_fp_denorm_src 0
		.amdhsa_exception_fp_ieee_div_zero 0
		.amdhsa_exception_fp_ieee_overflow 0
		.amdhsa_exception_fp_ieee_underflow 0
		.amdhsa_exception_fp_ieee_inexact 0
		.amdhsa_exception_int_div_zero 0
	.end_amdhsa_kernel
	.section	.text._ZL9mul_mat_fIfLi32ELi3ELi3ELb0EEvPKT_PKfPKiPfiiiiiiiiiiiiiiii,"axG",@progbits,_ZL9mul_mat_fIfLi32ELi3ELi3ELb0EEvPKT_PKfPKiPfiiiiiiiiiiiiiiii,comdat
.Lfunc_end11:
	.size	_ZL9mul_mat_fIfLi32ELi3ELi3ELb0EEvPKT_PKfPKiPfiiiiiiiiiiiiiiii, .Lfunc_end11-_ZL9mul_mat_fIfLi32ELi3ELi3ELb0EEvPKT_PKfPKiPfiiiiiiiiiiiiiiii
                                        ; -- End function
	.set _ZL9mul_mat_fIfLi32ELi3ELi3ELb0EEvPKT_PKfPKiPfiiiiiiiiiiiiiiii.num_vgpr, max(3, .L_ZL14no_device_codePKciS0_iS0_.num_vgpr)
	.set _ZL9mul_mat_fIfLi32ELi3ELi3ELb0EEvPKT_PKfPKiPfiiiiiiiiiiiiiiii.num_agpr, max(0, .L_ZL14no_device_codePKciS0_iS0_.num_agpr)
	.set _ZL9mul_mat_fIfLi32ELi3ELi3ELb0EEvPKT_PKfPKiPfiiiiiiiiiiiiiiii.numbered_sgpr, max(33, .L_ZL14no_device_codePKciS0_iS0_.numbered_sgpr)
	.set _ZL9mul_mat_fIfLi32ELi3ELi3ELb0EEvPKT_PKfPKiPfiiiiiiiiiiiiiiii.num_named_barrier, max(0, .L_ZL14no_device_codePKciS0_iS0_.num_named_barrier)
	.set _ZL9mul_mat_fIfLi32ELi3ELi3ELb0EEvPKT_PKfPKiPfiiiiiiiiiiiiiiii.private_seg_size, 0+max(.L_ZL14no_device_codePKciS0_iS0_.private_seg_size)
	.set _ZL9mul_mat_fIfLi32ELi3ELi3ELb0EEvPKT_PKfPKiPfiiiiiiiiiiiiiiii.uses_vcc, or(1, .L_ZL14no_device_codePKciS0_iS0_.uses_vcc)
	.set _ZL9mul_mat_fIfLi32ELi3ELi3ELb0EEvPKT_PKfPKiPfiiiiiiiiiiiiiiii.uses_flat_scratch, or(0, .L_ZL14no_device_codePKciS0_iS0_.uses_flat_scratch)
	.set _ZL9mul_mat_fIfLi32ELi3ELi3ELb0EEvPKT_PKfPKiPfiiiiiiiiiiiiiiii.has_dyn_sized_stack, or(0, .L_ZL14no_device_codePKciS0_iS0_.has_dyn_sized_stack)
	.set _ZL9mul_mat_fIfLi32ELi3ELi3ELb0EEvPKT_PKfPKiPfiiiiiiiiiiiiiiii.has_recursion, or(0, .L_ZL14no_device_codePKciS0_iS0_.has_recursion)
	.set _ZL9mul_mat_fIfLi32ELi3ELi3ELb0EEvPKT_PKfPKiPfiiiiiiiiiiiiiiii.has_indirect_call, or(0, .L_ZL14no_device_codePKciS0_iS0_.has_indirect_call)
	.section	.AMDGPU.csdata,"",@progbits
; Kernel info:
; codeLenInByte = 72
; TotalNumSgprs: 40
; NumVgprs: 38
; NumAgprs: 0
; TotalNumVgprs: 38
; ScratchSize: 16
; MemoryBound: 0
; FloatMode: 240
; IeeeMode: 1
; LDSByteSize: 0 bytes/workgroup (compile time only)
; SGPRBlocks: 4
; VGPRBlocks: 4
; NumSGPRsForWavesPerEU: 40
; NumVGPRsForWavesPerEU: 38
; AccumOffset: 40
; Occupancy: 8
; WaveLimiterHint : 1
; COMPUTE_PGM_RSRC2:SCRATCH_EN: 1
; COMPUTE_PGM_RSRC2:USER_SGPR: 2
; COMPUTE_PGM_RSRC2:TRAP_HANDLER: 0
; COMPUTE_PGM_RSRC2:TGID_X_EN: 1
; COMPUTE_PGM_RSRC2:TGID_Y_EN: 0
; COMPUTE_PGM_RSRC2:TGID_Z_EN: 0
; COMPUTE_PGM_RSRC2:TIDIG_COMP_CNT: 0
; COMPUTE_PGM_RSRC3_GFX90A:ACCUM_OFFSET: 9
; COMPUTE_PGM_RSRC3_GFX90A:TG_SPLIT: 0
	.section	.text._ZL13mul_mat_f_idsIfLi32ELi3ELi4EEvPKT_PKfPKiS6_S6_Pfiiiiiiiiiiiiii15HIP_vector_typeIjLj3EES9_,"axG",@progbits,_ZL13mul_mat_f_idsIfLi32ELi3ELi4EEvPKT_PKfPKiS6_S6_Pfiiiiiiiiiiiiii15HIP_vector_typeIjLj3EES9_,comdat
	.globl	_ZL13mul_mat_f_idsIfLi32ELi3ELi4EEvPKT_PKfPKiS6_S6_Pfiiiiiiiiiiiiii15HIP_vector_typeIjLj3EES9_ ; -- Begin function _ZL13mul_mat_f_idsIfLi32ELi3ELi4EEvPKT_PKfPKiS6_S6_Pfiiiiiiiiiiiiii15HIP_vector_typeIjLj3EES9_
	.p2align	8
	.type	_ZL13mul_mat_f_idsIfLi32ELi3ELi4EEvPKT_PKfPKiS6_S6_Pfiiiiiiiiiiiiii15HIP_vector_typeIjLj3EES9_,@function
_ZL13mul_mat_f_idsIfLi32ELi3ELi4EEvPKT_PKfPKiS6_S6_Pfiiiiiiiiiiiiii15HIP_vector_typeIjLj3EES9_: ; @_ZL13mul_mat_f_idsIfLi32ELi3ELi4EEvPKT_PKfPKiS6_S6_Pfiiiiiiiiiiiiii15HIP_vector_typeIjLj3EES9_
; %bb.0:
	s_add_u32 s8, s0, 0x80
	s_addc_u32 s9, s1, 0
	s_getpc_b64 s[0:1]
	s_add_u32 s0, s0, __FUNCTION__._ZL13mul_mat_f_idsIfLi32ELi3ELi1EEvPKT_PKfPKiS6_S6_Pfiiiiiiiiiiiiii15HIP_vector_typeIjLj3EES9_@rel32@lo+4
	s_addc_u32 s1, s1, __FUNCTION__._ZL13mul_mat_f_idsIfLi32ELi3ELi1EEvPKT_PKfPKiS6_S6_Pfiiiiiiiiiiiiii15HIP_vector_typeIjLj3EES9_@rel32@hi+12
	s_getpc_b64 s[2:3]
	s_add_u32 s2, s2, _ZL14no_device_codePKciS0_iS0_@rel32@lo+4
	s_addc_u32 s3, s3, _ZL14no_device_codePKciS0_iS0_@rel32@hi+12
	v_mov_b32_e32 v0, 0x13b
	v_mov_b32_e32 v1, s0
	;; [unrolled: 1-line block ×3, first 2 shown]
	s_mov_b32 s32, 0
	s_swappc_b64 s[30:31], s[2:3]
	.section	.rodata,"a",@progbits
	.p2align	6, 0x0
	.amdhsa_kernel _ZL13mul_mat_f_idsIfLi32ELi3ELi4EEvPKT_PKfPKiS6_S6_Pfiiiiiiiiiiiiii15HIP_vector_typeIjLj3EES9_
		.amdhsa_group_segment_fixed_size 0
		.amdhsa_private_segment_fixed_size 16
		.amdhsa_kernarg_size 384
		.amdhsa_user_sgpr_count 2
		.amdhsa_user_sgpr_dispatch_ptr 0
		.amdhsa_user_sgpr_queue_ptr 0
		.amdhsa_user_sgpr_kernarg_segment_ptr 1
		.amdhsa_user_sgpr_dispatch_id 0
		.amdhsa_user_sgpr_kernarg_preload_length 0
		.amdhsa_user_sgpr_kernarg_preload_offset 0
		.amdhsa_user_sgpr_private_segment_size 0
		.amdhsa_uses_dynamic_stack 0
		.amdhsa_enable_private_segment 1
		.amdhsa_system_sgpr_workgroup_id_x 1
		.amdhsa_system_sgpr_workgroup_id_y 0
		.amdhsa_system_sgpr_workgroup_id_z 0
		.amdhsa_system_sgpr_workgroup_info 0
		.amdhsa_system_vgpr_workitem_id 0
		.amdhsa_next_free_vgpr 38
		.amdhsa_next_free_sgpr 34
		.amdhsa_accum_offset 40
		.amdhsa_reserve_vcc 1
		.amdhsa_float_round_mode_32 0
		.amdhsa_float_round_mode_16_64 0
		.amdhsa_float_denorm_mode_32 3
		.amdhsa_float_denorm_mode_16_64 3
		.amdhsa_dx10_clamp 1
		.amdhsa_ieee_mode 1
		.amdhsa_fp16_overflow 0
		.amdhsa_tg_split 0
		.amdhsa_exception_fp_ieee_invalid_op 0
		.amdhsa_exception_fp_denorm_src 0
		.amdhsa_exception_fp_ieee_div_zero 0
		.amdhsa_exception_fp_ieee_overflow 0
		.amdhsa_exception_fp_ieee_underflow 0
		.amdhsa_exception_fp_ieee_inexact 0
		.amdhsa_exception_int_div_zero 0
	.end_amdhsa_kernel
	.section	.text._ZL13mul_mat_f_idsIfLi32ELi3ELi4EEvPKT_PKfPKiS6_S6_Pfiiiiiiiiiiiiii15HIP_vector_typeIjLj3EES9_,"axG",@progbits,_ZL13mul_mat_f_idsIfLi32ELi3ELi4EEvPKT_PKfPKiS6_S6_Pfiiiiiiiiiiiiii15HIP_vector_typeIjLj3EES9_,comdat
.Lfunc_end12:
	.size	_ZL13mul_mat_f_idsIfLi32ELi3ELi4EEvPKT_PKfPKiS6_S6_Pfiiiiiiiiiiiiii15HIP_vector_typeIjLj3EES9_, .Lfunc_end12-_ZL13mul_mat_f_idsIfLi32ELi3ELi4EEvPKT_PKfPKiS6_S6_Pfiiiiiiiiiiiiii15HIP_vector_typeIjLj3EES9_
                                        ; -- End function
	.set _ZL13mul_mat_f_idsIfLi32ELi3ELi4EEvPKT_PKfPKiS6_S6_Pfiiiiiiiiiiiiii15HIP_vector_typeIjLj3EES9_.num_vgpr, max(3, .L_ZL14no_device_codePKciS0_iS0_.num_vgpr)
	.set _ZL13mul_mat_f_idsIfLi32ELi3ELi4EEvPKT_PKfPKiS6_S6_Pfiiiiiiiiiiiiii15HIP_vector_typeIjLj3EES9_.num_agpr, max(0, .L_ZL14no_device_codePKciS0_iS0_.num_agpr)
	.set _ZL13mul_mat_f_idsIfLi32ELi3ELi4EEvPKT_PKfPKiS6_S6_Pfiiiiiiiiiiiiii15HIP_vector_typeIjLj3EES9_.numbered_sgpr, max(33, .L_ZL14no_device_codePKciS0_iS0_.numbered_sgpr)
	.set _ZL13mul_mat_f_idsIfLi32ELi3ELi4EEvPKT_PKfPKiS6_S6_Pfiiiiiiiiiiiiii15HIP_vector_typeIjLj3EES9_.num_named_barrier, max(0, .L_ZL14no_device_codePKciS0_iS0_.num_named_barrier)
	.set _ZL13mul_mat_f_idsIfLi32ELi3ELi4EEvPKT_PKfPKiS6_S6_Pfiiiiiiiiiiiiii15HIP_vector_typeIjLj3EES9_.private_seg_size, 0+max(.L_ZL14no_device_codePKciS0_iS0_.private_seg_size)
	.set _ZL13mul_mat_f_idsIfLi32ELi3ELi4EEvPKT_PKfPKiS6_S6_Pfiiiiiiiiiiiiii15HIP_vector_typeIjLj3EES9_.uses_vcc, or(1, .L_ZL14no_device_codePKciS0_iS0_.uses_vcc)
	.set _ZL13mul_mat_f_idsIfLi32ELi3ELi4EEvPKT_PKfPKiS6_S6_Pfiiiiiiiiiiiiii15HIP_vector_typeIjLj3EES9_.uses_flat_scratch, or(0, .L_ZL14no_device_codePKciS0_iS0_.uses_flat_scratch)
	.set _ZL13mul_mat_f_idsIfLi32ELi3ELi4EEvPKT_PKfPKiS6_S6_Pfiiiiiiiiiiiiii15HIP_vector_typeIjLj3EES9_.has_dyn_sized_stack, or(0, .L_ZL14no_device_codePKciS0_iS0_.has_dyn_sized_stack)
	.set _ZL13mul_mat_f_idsIfLi32ELi3ELi4EEvPKT_PKfPKiS6_S6_Pfiiiiiiiiiiiiii15HIP_vector_typeIjLj3EES9_.has_recursion, or(0, .L_ZL14no_device_codePKciS0_iS0_.has_recursion)
	.set _ZL13mul_mat_f_idsIfLi32ELi3ELi4EEvPKT_PKfPKiS6_S6_Pfiiiiiiiiiiiiii15HIP_vector_typeIjLj3EES9_.has_indirect_call, or(0, .L_ZL14no_device_codePKciS0_iS0_.has_indirect_call)
	.section	.AMDGPU.csdata,"",@progbits
; Kernel info:
; codeLenInByte = 76
; TotalNumSgprs: 40
; NumVgprs: 38
; NumAgprs: 0
; TotalNumVgprs: 38
; ScratchSize: 16
; MemoryBound: 0
; FloatMode: 240
; IeeeMode: 1
; LDSByteSize: 0 bytes/workgroup (compile time only)
; SGPRBlocks: 4
; VGPRBlocks: 4
; NumSGPRsForWavesPerEU: 40
; NumVGPRsForWavesPerEU: 38
; AccumOffset: 40
; Occupancy: 8
; WaveLimiterHint : 1
; COMPUTE_PGM_RSRC2:SCRATCH_EN: 1
; COMPUTE_PGM_RSRC2:USER_SGPR: 2
; COMPUTE_PGM_RSRC2:TRAP_HANDLER: 0
; COMPUTE_PGM_RSRC2:TGID_X_EN: 1
; COMPUTE_PGM_RSRC2:TGID_Y_EN: 0
; COMPUTE_PGM_RSRC2:TGID_Z_EN: 0
; COMPUTE_PGM_RSRC2:TIDIG_COMP_CNT: 0
; COMPUTE_PGM_RSRC3_GFX90A:ACCUM_OFFSET: 9
; COMPUTE_PGM_RSRC3_GFX90A:TG_SPLIT: 0
	.section	.text._ZL9mul_mat_fIfLi32ELi3ELi4ELb1EEvPKT_PKfPKiPfiiiiiiiiiiiiiiii,"axG",@progbits,_ZL9mul_mat_fIfLi32ELi3ELi4ELb1EEvPKT_PKfPKiPfiiiiiiiiiiiiiiii,comdat
	.globl	_ZL9mul_mat_fIfLi32ELi3ELi4ELb1EEvPKT_PKfPKiPfiiiiiiiiiiiiiiii ; -- Begin function _ZL9mul_mat_fIfLi32ELi3ELi4ELb1EEvPKT_PKfPKiPfiiiiiiiiiiiiiiii
	.p2align	8
	.type	_ZL9mul_mat_fIfLi32ELi3ELi4ELb1EEvPKT_PKfPKiPfiiiiiiiiiiiiiiii,@function
_ZL9mul_mat_fIfLi32ELi3ELi4ELb1EEvPKT_PKfPKiPfiiiiiiiiiiiiiiii: ; @_ZL9mul_mat_fIfLi32ELi3ELi4ELb1EEvPKT_PKfPKiPfiiiiiiiiiiiiiiii
; %bb.0:
	s_add_u32 s8, s0, 0x60
	s_addc_u32 s9, s1, 0
	s_getpc_b64 s[0:1]
	s_add_u32 s0, s0, __FUNCTION__._ZL9mul_mat_fIfLi32ELi3ELi1ELb1EEvPKT_PKfPKiPfiiiiiiiiiiiiiiii@rel32@lo+4
	s_addc_u32 s1, s1, __FUNCTION__._ZL9mul_mat_fIfLi32ELi3ELi1ELb1EEvPKT_PKfPKiPfiiiiiiiiiiiiiiii@rel32@hi+12
	s_getpc_b64 s[2:3]
	s_add_u32 s2, s2, _ZL14no_device_codePKciS0_iS0_@rel32@lo+4
	s_addc_u32 s3, s3, _ZL14no_device_codePKciS0_iS0_@rel32@hi+12
	v_mov_b32_e32 v0, 64
	v_mov_b32_e32 v1, s0
	;; [unrolled: 1-line block ×3, first 2 shown]
	s_mov_b32 s32, 0
	s_swappc_b64 s[30:31], s[2:3]
	.section	.rodata,"a",@progbits
	.p2align	6, 0x0
	.amdhsa_kernel _ZL9mul_mat_fIfLi32ELi3ELi4ELb1EEvPKT_PKfPKiPfiiiiiiiiiiiiiiii
		.amdhsa_group_segment_fixed_size 0
		.amdhsa_private_segment_fixed_size 16
		.amdhsa_kernarg_size 352
		.amdhsa_user_sgpr_count 2
		.amdhsa_user_sgpr_dispatch_ptr 0
		.amdhsa_user_sgpr_queue_ptr 0
		.amdhsa_user_sgpr_kernarg_segment_ptr 1
		.amdhsa_user_sgpr_dispatch_id 0
		.amdhsa_user_sgpr_kernarg_preload_length 0
		.amdhsa_user_sgpr_kernarg_preload_offset 0
		.amdhsa_user_sgpr_private_segment_size 0
		.amdhsa_uses_dynamic_stack 0
		.amdhsa_enable_private_segment 1
		.amdhsa_system_sgpr_workgroup_id_x 1
		.amdhsa_system_sgpr_workgroup_id_y 0
		.amdhsa_system_sgpr_workgroup_id_z 0
		.amdhsa_system_sgpr_workgroup_info 0
		.amdhsa_system_vgpr_workitem_id 0
		.amdhsa_next_free_vgpr 38
		.amdhsa_next_free_sgpr 34
		.amdhsa_accum_offset 40
		.amdhsa_reserve_vcc 1
		.amdhsa_float_round_mode_32 0
		.amdhsa_float_round_mode_16_64 0
		.amdhsa_float_denorm_mode_32 3
		.amdhsa_float_denorm_mode_16_64 3
		.amdhsa_dx10_clamp 1
		.amdhsa_ieee_mode 1
		.amdhsa_fp16_overflow 0
		.amdhsa_tg_split 0
		.amdhsa_exception_fp_ieee_invalid_op 0
		.amdhsa_exception_fp_denorm_src 0
		.amdhsa_exception_fp_ieee_div_zero 0
		.amdhsa_exception_fp_ieee_overflow 0
		.amdhsa_exception_fp_ieee_underflow 0
		.amdhsa_exception_fp_ieee_inexact 0
		.amdhsa_exception_int_div_zero 0
	.end_amdhsa_kernel
	.section	.text._ZL9mul_mat_fIfLi32ELi3ELi4ELb1EEvPKT_PKfPKiPfiiiiiiiiiiiiiiii,"axG",@progbits,_ZL9mul_mat_fIfLi32ELi3ELi4ELb1EEvPKT_PKfPKiPfiiiiiiiiiiiiiiii,comdat
.Lfunc_end13:
	.size	_ZL9mul_mat_fIfLi32ELi3ELi4ELb1EEvPKT_PKfPKiPfiiiiiiiiiiiiiiii, .Lfunc_end13-_ZL9mul_mat_fIfLi32ELi3ELi4ELb1EEvPKT_PKfPKiPfiiiiiiiiiiiiiiii
                                        ; -- End function
	.set _ZL9mul_mat_fIfLi32ELi3ELi4ELb1EEvPKT_PKfPKiPfiiiiiiiiiiiiiiii.num_vgpr, max(3, .L_ZL14no_device_codePKciS0_iS0_.num_vgpr)
	.set _ZL9mul_mat_fIfLi32ELi3ELi4ELb1EEvPKT_PKfPKiPfiiiiiiiiiiiiiiii.num_agpr, max(0, .L_ZL14no_device_codePKciS0_iS0_.num_agpr)
	.set _ZL9mul_mat_fIfLi32ELi3ELi4ELb1EEvPKT_PKfPKiPfiiiiiiiiiiiiiiii.numbered_sgpr, max(33, .L_ZL14no_device_codePKciS0_iS0_.numbered_sgpr)
	.set _ZL9mul_mat_fIfLi32ELi3ELi4ELb1EEvPKT_PKfPKiPfiiiiiiiiiiiiiiii.num_named_barrier, max(0, .L_ZL14no_device_codePKciS0_iS0_.num_named_barrier)
	.set _ZL9mul_mat_fIfLi32ELi3ELi4ELb1EEvPKT_PKfPKiPfiiiiiiiiiiiiiiii.private_seg_size, 0+max(.L_ZL14no_device_codePKciS0_iS0_.private_seg_size)
	.set _ZL9mul_mat_fIfLi32ELi3ELi4ELb1EEvPKT_PKfPKiPfiiiiiiiiiiiiiiii.uses_vcc, or(1, .L_ZL14no_device_codePKciS0_iS0_.uses_vcc)
	.set _ZL9mul_mat_fIfLi32ELi3ELi4ELb1EEvPKT_PKfPKiPfiiiiiiiiiiiiiiii.uses_flat_scratch, or(0, .L_ZL14no_device_codePKciS0_iS0_.uses_flat_scratch)
	.set _ZL9mul_mat_fIfLi32ELi3ELi4ELb1EEvPKT_PKfPKiPfiiiiiiiiiiiiiiii.has_dyn_sized_stack, or(0, .L_ZL14no_device_codePKciS0_iS0_.has_dyn_sized_stack)
	.set _ZL9mul_mat_fIfLi32ELi3ELi4ELb1EEvPKT_PKfPKiPfiiiiiiiiiiiiiiii.has_recursion, or(0, .L_ZL14no_device_codePKciS0_iS0_.has_recursion)
	.set _ZL9mul_mat_fIfLi32ELi3ELi4ELb1EEvPKT_PKfPKiPfiiiiiiiiiiiiiiii.has_indirect_call, or(0, .L_ZL14no_device_codePKciS0_iS0_.has_indirect_call)
	.section	.AMDGPU.csdata,"",@progbits
; Kernel info:
; codeLenInByte = 72
; TotalNumSgprs: 40
; NumVgprs: 38
; NumAgprs: 0
; TotalNumVgprs: 38
; ScratchSize: 16
; MemoryBound: 0
; FloatMode: 240
; IeeeMode: 1
; LDSByteSize: 0 bytes/workgroup (compile time only)
; SGPRBlocks: 4
; VGPRBlocks: 4
; NumSGPRsForWavesPerEU: 40
; NumVGPRsForWavesPerEU: 38
; AccumOffset: 40
; Occupancy: 8
; WaveLimiterHint : 1
; COMPUTE_PGM_RSRC2:SCRATCH_EN: 1
; COMPUTE_PGM_RSRC2:USER_SGPR: 2
; COMPUTE_PGM_RSRC2:TRAP_HANDLER: 0
; COMPUTE_PGM_RSRC2:TGID_X_EN: 1
; COMPUTE_PGM_RSRC2:TGID_Y_EN: 0
; COMPUTE_PGM_RSRC2:TGID_Z_EN: 0
; COMPUTE_PGM_RSRC2:TIDIG_COMP_CNT: 0
; COMPUTE_PGM_RSRC3_GFX90A:ACCUM_OFFSET: 9
; COMPUTE_PGM_RSRC3_GFX90A:TG_SPLIT: 0
	.section	.text._ZL9mul_mat_fIfLi32ELi3ELi4ELb0EEvPKT_PKfPKiPfiiiiiiiiiiiiiiii,"axG",@progbits,_ZL9mul_mat_fIfLi32ELi3ELi4ELb0EEvPKT_PKfPKiPfiiiiiiiiiiiiiiii,comdat
	.globl	_ZL9mul_mat_fIfLi32ELi3ELi4ELb0EEvPKT_PKfPKiPfiiiiiiiiiiiiiiii ; -- Begin function _ZL9mul_mat_fIfLi32ELi3ELi4ELb0EEvPKT_PKfPKiPfiiiiiiiiiiiiiiii
	.p2align	8
	.type	_ZL9mul_mat_fIfLi32ELi3ELi4ELb0EEvPKT_PKfPKiPfiiiiiiiiiiiiiiii,@function
_ZL9mul_mat_fIfLi32ELi3ELi4ELb0EEvPKT_PKfPKiPfiiiiiiiiiiiiiiii: ; @_ZL9mul_mat_fIfLi32ELi3ELi4ELb0EEvPKT_PKfPKiPfiiiiiiiiiiiiiiii
; %bb.0:
	s_add_u32 s8, s0, 0x60
	s_addc_u32 s9, s1, 0
	s_getpc_b64 s[0:1]
	s_add_u32 s0, s0, __FUNCTION__._ZL9mul_mat_fIfLi32ELi3ELi1ELb1EEvPKT_PKfPKiPfiiiiiiiiiiiiiiii@rel32@lo+4
	s_addc_u32 s1, s1, __FUNCTION__._ZL9mul_mat_fIfLi32ELi3ELi1ELb1EEvPKT_PKfPKiPfiiiiiiiiiiiiiiii@rel32@hi+12
	s_getpc_b64 s[2:3]
	s_add_u32 s2, s2, _ZL14no_device_codePKciS0_iS0_@rel32@lo+4
	s_addc_u32 s3, s3, _ZL14no_device_codePKciS0_iS0_@rel32@hi+12
	v_mov_b32_e32 v0, 64
	v_mov_b32_e32 v1, s0
	;; [unrolled: 1-line block ×3, first 2 shown]
	s_mov_b32 s32, 0
	s_swappc_b64 s[30:31], s[2:3]
	.section	.rodata,"a",@progbits
	.p2align	6, 0x0
	.amdhsa_kernel _ZL9mul_mat_fIfLi32ELi3ELi4ELb0EEvPKT_PKfPKiPfiiiiiiiiiiiiiiii
		.amdhsa_group_segment_fixed_size 0
		.amdhsa_private_segment_fixed_size 16
		.amdhsa_kernarg_size 352
		.amdhsa_user_sgpr_count 2
		.amdhsa_user_sgpr_dispatch_ptr 0
		.amdhsa_user_sgpr_queue_ptr 0
		.amdhsa_user_sgpr_kernarg_segment_ptr 1
		.amdhsa_user_sgpr_dispatch_id 0
		.amdhsa_user_sgpr_kernarg_preload_length 0
		.amdhsa_user_sgpr_kernarg_preload_offset 0
		.amdhsa_user_sgpr_private_segment_size 0
		.amdhsa_uses_dynamic_stack 0
		.amdhsa_enable_private_segment 1
		.amdhsa_system_sgpr_workgroup_id_x 1
		.amdhsa_system_sgpr_workgroup_id_y 0
		.amdhsa_system_sgpr_workgroup_id_z 0
		.amdhsa_system_sgpr_workgroup_info 0
		.amdhsa_system_vgpr_workitem_id 0
		.amdhsa_next_free_vgpr 38
		.amdhsa_next_free_sgpr 34
		.amdhsa_accum_offset 40
		.amdhsa_reserve_vcc 1
		.amdhsa_float_round_mode_32 0
		.amdhsa_float_round_mode_16_64 0
		.amdhsa_float_denorm_mode_32 3
		.amdhsa_float_denorm_mode_16_64 3
		.amdhsa_dx10_clamp 1
		.amdhsa_ieee_mode 1
		.amdhsa_fp16_overflow 0
		.amdhsa_tg_split 0
		.amdhsa_exception_fp_ieee_invalid_op 0
		.amdhsa_exception_fp_denorm_src 0
		.amdhsa_exception_fp_ieee_div_zero 0
		.amdhsa_exception_fp_ieee_overflow 0
		.amdhsa_exception_fp_ieee_underflow 0
		.amdhsa_exception_fp_ieee_inexact 0
		.amdhsa_exception_int_div_zero 0
	.end_amdhsa_kernel
	.section	.text._ZL9mul_mat_fIfLi32ELi3ELi4ELb0EEvPKT_PKfPKiPfiiiiiiiiiiiiiiii,"axG",@progbits,_ZL9mul_mat_fIfLi32ELi3ELi4ELb0EEvPKT_PKfPKiPfiiiiiiiiiiiiiiii,comdat
.Lfunc_end14:
	.size	_ZL9mul_mat_fIfLi32ELi3ELi4ELb0EEvPKT_PKfPKiPfiiiiiiiiiiiiiiii, .Lfunc_end14-_ZL9mul_mat_fIfLi32ELi3ELi4ELb0EEvPKT_PKfPKiPfiiiiiiiiiiiiiiii
                                        ; -- End function
	.set _ZL9mul_mat_fIfLi32ELi3ELi4ELb0EEvPKT_PKfPKiPfiiiiiiiiiiiiiiii.num_vgpr, max(3, .L_ZL14no_device_codePKciS0_iS0_.num_vgpr)
	.set _ZL9mul_mat_fIfLi32ELi3ELi4ELb0EEvPKT_PKfPKiPfiiiiiiiiiiiiiiii.num_agpr, max(0, .L_ZL14no_device_codePKciS0_iS0_.num_agpr)
	.set _ZL9mul_mat_fIfLi32ELi3ELi4ELb0EEvPKT_PKfPKiPfiiiiiiiiiiiiiiii.numbered_sgpr, max(33, .L_ZL14no_device_codePKciS0_iS0_.numbered_sgpr)
	.set _ZL9mul_mat_fIfLi32ELi3ELi4ELb0EEvPKT_PKfPKiPfiiiiiiiiiiiiiiii.num_named_barrier, max(0, .L_ZL14no_device_codePKciS0_iS0_.num_named_barrier)
	.set _ZL9mul_mat_fIfLi32ELi3ELi4ELb0EEvPKT_PKfPKiPfiiiiiiiiiiiiiiii.private_seg_size, 0+max(.L_ZL14no_device_codePKciS0_iS0_.private_seg_size)
	.set _ZL9mul_mat_fIfLi32ELi3ELi4ELb0EEvPKT_PKfPKiPfiiiiiiiiiiiiiiii.uses_vcc, or(1, .L_ZL14no_device_codePKciS0_iS0_.uses_vcc)
	.set _ZL9mul_mat_fIfLi32ELi3ELi4ELb0EEvPKT_PKfPKiPfiiiiiiiiiiiiiiii.uses_flat_scratch, or(0, .L_ZL14no_device_codePKciS0_iS0_.uses_flat_scratch)
	.set _ZL9mul_mat_fIfLi32ELi3ELi4ELb0EEvPKT_PKfPKiPfiiiiiiiiiiiiiiii.has_dyn_sized_stack, or(0, .L_ZL14no_device_codePKciS0_iS0_.has_dyn_sized_stack)
	.set _ZL9mul_mat_fIfLi32ELi3ELi4ELb0EEvPKT_PKfPKiPfiiiiiiiiiiiiiiii.has_recursion, or(0, .L_ZL14no_device_codePKciS0_iS0_.has_recursion)
	.set _ZL9mul_mat_fIfLi32ELi3ELi4ELb0EEvPKT_PKfPKiPfiiiiiiiiiiiiiiii.has_indirect_call, or(0, .L_ZL14no_device_codePKciS0_iS0_.has_indirect_call)
	.section	.AMDGPU.csdata,"",@progbits
; Kernel info:
; codeLenInByte = 72
; TotalNumSgprs: 40
; NumVgprs: 38
; NumAgprs: 0
; TotalNumVgprs: 38
; ScratchSize: 16
; MemoryBound: 0
; FloatMode: 240
; IeeeMode: 1
; LDSByteSize: 0 bytes/workgroup (compile time only)
; SGPRBlocks: 4
; VGPRBlocks: 4
; NumSGPRsForWavesPerEU: 40
; NumVGPRsForWavesPerEU: 38
; AccumOffset: 40
; Occupancy: 8
; WaveLimiterHint : 1
; COMPUTE_PGM_RSRC2:SCRATCH_EN: 1
; COMPUTE_PGM_RSRC2:USER_SGPR: 2
; COMPUTE_PGM_RSRC2:TRAP_HANDLER: 0
; COMPUTE_PGM_RSRC2:TGID_X_EN: 1
; COMPUTE_PGM_RSRC2:TGID_Y_EN: 0
; COMPUTE_PGM_RSRC2:TGID_Z_EN: 0
; COMPUTE_PGM_RSRC2:TIDIG_COMP_CNT: 0
; COMPUTE_PGM_RSRC3_GFX90A:ACCUM_OFFSET: 9
; COMPUTE_PGM_RSRC3_GFX90A:TG_SPLIT: 0
	.section	.text._ZL13mul_mat_f_idsIfLi32ELi3ELi5EEvPKT_PKfPKiS6_S6_Pfiiiiiiiiiiiiii15HIP_vector_typeIjLj3EES9_,"axG",@progbits,_ZL13mul_mat_f_idsIfLi32ELi3ELi5EEvPKT_PKfPKiS6_S6_Pfiiiiiiiiiiiiii15HIP_vector_typeIjLj3EES9_,comdat
	.globl	_ZL13mul_mat_f_idsIfLi32ELi3ELi5EEvPKT_PKfPKiS6_S6_Pfiiiiiiiiiiiiii15HIP_vector_typeIjLj3EES9_ ; -- Begin function _ZL13mul_mat_f_idsIfLi32ELi3ELi5EEvPKT_PKfPKiS6_S6_Pfiiiiiiiiiiiiii15HIP_vector_typeIjLj3EES9_
	.p2align	8
	.type	_ZL13mul_mat_f_idsIfLi32ELi3ELi5EEvPKT_PKfPKiS6_S6_Pfiiiiiiiiiiiiii15HIP_vector_typeIjLj3EES9_,@function
_ZL13mul_mat_f_idsIfLi32ELi3ELi5EEvPKT_PKfPKiS6_S6_Pfiiiiiiiiiiiiii15HIP_vector_typeIjLj3EES9_: ; @_ZL13mul_mat_f_idsIfLi32ELi3ELi5EEvPKT_PKfPKiS6_S6_Pfiiiiiiiiiiiiii15HIP_vector_typeIjLj3EES9_
; %bb.0:
	s_add_u32 s8, s0, 0x80
	s_addc_u32 s9, s1, 0
	s_getpc_b64 s[0:1]
	s_add_u32 s0, s0, __FUNCTION__._ZL13mul_mat_f_idsIfLi32ELi3ELi1EEvPKT_PKfPKiS6_S6_Pfiiiiiiiiiiiiii15HIP_vector_typeIjLj3EES9_@rel32@lo+4
	s_addc_u32 s1, s1, __FUNCTION__._ZL13mul_mat_f_idsIfLi32ELi3ELi1EEvPKT_PKfPKiS6_S6_Pfiiiiiiiiiiiiii15HIP_vector_typeIjLj3EES9_@rel32@hi+12
	s_getpc_b64 s[2:3]
	s_add_u32 s2, s2, _ZL14no_device_codePKciS0_iS0_@rel32@lo+4
	s_addc_u32 s3, s3, _ZL14no_device_codePKciS0_iS0_@rel32@hi+12
	v_mov_b32_e32 v0, 0x13b
	v_mov_b32_e32 v1, s0
	;; [unrolled: 1-line block ×3, first 2 shown]
	s_mov_b32 s32, 0
	s_swappc_b64 s[30:31], s[2:3]
	.section	.rodata,"a",@progbits
	.p2align	6, 0x0
	.amdhsa_kernel _ZL13mul_mat_f_idsIfLi32ELi3ELi5EEvPKT_PKfPKiS6_S6_Pfiiiiiiiiiiiiii15HIP_vector_typeIjLj3EES9_
		.amdhsa_group_segment_fixed_size 0
		.amdhsa_private_segment_fixed_size 16
		.amdhsa_kernarg_size 384
		.amdhsa_user_sgpr_count 2
		.amdhsa_user_sgpr_dispatch_ptr 0
		.amdhsa_user_sgpr_queue_ptr 0
		.amdhsa_user_sgpr_kernarg_segment_ptr 1
		.amdhsa_user_sgpr_dispatch_id 0
		.amdhsa_user_sgpr_kernarg_preload_length 0
		.amdhsa_user_sgpr_kernarg_preload_offset 0
		.amdhsa_user_sgpr_private_segment_size 0
		.amdhsa_uses_dynamic_stack 0
		.amdhsa_enable_private_segment 1
		.amdhsa_system_sgpr_workgroup_id_x 1
		.amdhsa_system_sgpr_workgroup_id_y 0
		.amdhsa_system_sgpr_workgroup_id_z 0
		.amdhsa_system_sgpr_workgroup_info 0
		.amdhsa_system_vgpr_workitem_id 0
		.amdhsa_next_free_vgpr 38
		.amdhsa_next_free_sgpr 34
		.amdhsa_accum_offset 40
		.amdhsa_reserve_vcc 1
		.amdhsa_float_round_mode_32 0
		.amdhsa_float_round_mode_16_64 0
		.amdhsa_float_denorm_mode_32 3
		.amdhsa_float_denorm_mode_16_64 3
		.amdhsa_dx10_clamp 1
		.amdhsa_ieee_mode 1
		.amdhsa_fp16_overflow 0
		.amdhsa_tg_split 0
		.amdhsa_exception_fp_ieee_invalid_op 0
		.amdhsa_exception_fp_denorm_src 0
		.amdhsa_exception_fp_ieee_div_zero 0
		.amdhsa_exception_fp_ieee_overflow 0
		.amdhsa_exception_fp_ieee_underflow 0
		.amdhsa_exception_fp_ieee_inexact 0
		.amdhsa_exception_int_div_zero 0
	.end_amdhsa_kernel
	.section	.text._ZL13mul_mat_f_idsIfLi32ELi3ELi5EEvPKT_PKfPKiS6_S6_Pfiiiiiiiiiiiiii15HIP_vector_typeIjLj3EES9_,"axG",@progbits,_ZL13mul_mat_f_idsIfLi32ELi3ELi5EEvPKT_PKfPKiS6_S6_Pfiiiiiiiiiiiiii15HIP_vector_typeIjLj3EES9_,comdat
.Lfunc_end15:
	.size	_ZL13mul_mat_f_idsIfLi32ELi3ELi5EEvPKT_PKfPKiS6_S6_Pfiiiiiiiiiiiiii15HIP_vector_typeIjLj3EES9_, .Lfunc_end15-_ZL13mul_mat_f_idsIfLi32ELi3ELi5EEvPKT_PKfPKiS6_S6_Pfiiiiiiiiiiiiii15HIP_vector_typeIjLj3EES9_
                                        ; -- End function
	.set _ZL13mul_mat_f_idsIfLi32ELi3ELi5EEvPKT_PKfPKiS6_S6_Pfiiiiiiiiiiiiii15HIP_vector_typeIjLj3EES9_.num_vgpr, max(3, .L_ZL14no_device_codePKciS0_iS0_.num_vgpr)
	.set _ZL13mul_mat_f_idsIfLi32ELi3ELi5EEvPKT_PKfPKiS6_S6_Pfiiiiiiiiiiiiii15HIP_vector_typeIjLj3EES9_.num_agpr, max(0, .L_ZL14no_device_codePKciS0_iS0_.num_agpr)
	.set _ZL13mul_mat_f_idsIfLi32ELi3ELi5EEvPKT_PKfPKiS6_S6_Pfiiiiiiiiiiiiii15HIP_vector_typeIjLj3EES9_.numbered_sgpr, max(33, .L_ZL14no_device_codePKciS0_iS0_.numbered_sgpr)
	.set _ZL13mul_mat_f_idsIfLi32ELi3ELi5EEvPKT_PKfPKiS6_S6_Pfiiiiiiiiiiiiii15HIP_vector_typeIjLj3EES9_.num_named_barrier, max(0, .L_ZL14no_device_codePKciS0_iS0_.num_named_barrier)
	.set _ZL13mul_mat_f_idsIfLi32ELi3ELi5EEvPKT_PKfPKiS6_S6_Pfiiiiiiiiiiiiii15HIP_vector_typeIjLj3EES9_.private_seg_size, 0+max(.L_ZL14no_device_codePKciS0_iS0_.private_seg_size)
	.set _ZL13mul_mat_f_idsIfLi32ELi3ELi5EEvPKT_PKfPKiS6_S6_Pfiiiiiiiiiiiiii15HIP_vector_typeIjLj3EES9_.uses_vcc, or(1, .L_ZL14no_device_codePKciS0_iS0_.uses_vcc)
	.set _ZL13mul_mat_f_idsIfLi32ELi3ELi5EEvPKT_PKfPKiS6_S6_Pfiiiiiiiiiiiiii15HIP_vector_typeIjLj3EES9_.uses_flat_scratch, or(0, .L_ZL14no_device_codePKciS0_iS0_.uses_flat_scratch)
	.set _ZL13mul_mat_f_idsIfLi32ELi3ELi5EEvPKT_PKfPKiS6_S6_Pfiiiiiiiiiiiiii15HIP_vector_typeIjLj3EES9_.has_dyn_sized_stack, or(0, .L_ZL14no_device_codePKciS0_iS0_.has_dyn_sized_stack)
	.set _ZL13mul_mat_f_idsIfLi32ELi3ELi5EEvPKT_PKfPKiS6_S6_Pfiiiiiiiiiiiiii15HIP_vector_typeIjLj3EES9_.has_recursion, or(0, .L_ZL14no_device_codePKciS0_iS0_.has_recursion)
	.set _ZL13mul_mat_f_idsIfLi32ELi3ELi5EEvPKT_PKfPKiS6_S6_Pfiiiiiiiiiiiiii15HIP_vector_typeIjLj3EES9_.has_indirect_call, or(0, .L_ZL14no_device_codePKciS0_iS0_.has_indirect_call)
	.section	.AMDGPU.csdata,"",@progbits
; Kernel info:
; codeLenInByte = 76
; TotalNumSgprs: 40
; NumVgprs: 38
; NumAgprs: 0
; TotalNumVgprs: 38
; ScratchSize: 16
; MemoryBound: 0
; FloatMode: 240
; IeeeMode: 1
; LDSByteSize: 0 bytes/workgroup (compile time only)
; SGPRBlocks: 4
; VGPRBlocks: 4
; NumSGPRsForWavesPerEU: 40
; NumVGPRsForWavesPerEU: 38
; AccumOffset: 40
; Occupancy: 8
; WaveLimiterHint : 1
; COMPUTE_PGM_RSRC2:SCRATCH_EN: 1
; COMPUTE_PGM_RSRC2:USER_SGPR: 2
; COMPUTE_PGM_RSRC2:TRAP_HANDLER: 0
; COMPUTE_PGM_RSRC2:TGID_X_EN: 1
; COMPUTE_PGM_RSRC2:TGID_Y_EN: 0
; COMPUTE_PGM_RSRC2:TGID_Z_EN: 0
; COMPUTE_PGM_RSRC2:TIDIG_COMP_CNT: 0
; COMPUTE_PGM_RSRC3_GFX90A:ACCUM_OFFSET: 9
; COMPUTE_PGM_RSRC3_GFX90A:TG_SPLIT: 0
	.section	.text._ZL9mul_mat_fIfLi32ELi3ELi5ELb1EEvPKT_PKfPKiPfiiiiiiiiiiiiiiii,"axG",@progbits,_ZL9mul_mat_fIfLi32ELi3ELi5ELb1EEvPKT_PKfPKiPfiiiiiiiiiiiiiiii,comdat
	.globl	_ZL9mul_mat_fIfLi32ELi3ELi5ELb1EEvPKT_PKfPKiPfiiiiiiiiiiiiiiii ; -- Begin function _ZL9mul_mat_fIfLi32ELi3ELi5ELb1EEvPKT_PKfPKiPfiiiiiiiiiiiiiiii
	.p2align	8
	.type	_ZL9mul_mat_fIfLi32ELi3ELi5ELb1EEvPKT_PKfPKiPfiiiiiiiiiiiiiiii,@function
_ZL9mul_mat_fIfLi32ELi3ELi5ELb1EEvPKT_PKfPKiPfiiiiiiiiiiiiiiii: ; @_ZL9mul_mat_fIfLi32ELi3ELi5ELb1EEvPKT_PKfPKiPfiiiiiiiiiiiiiiii
; %bb.0:
	s_add_u32 s8, s0, 0x60
	s_addc_u32 s9, s1, 0
	s_getpc_b64 s[0:1]
	s_add_u32 s0, s0, __FUNCTION__._ZL9mul_mat_fIfLi32ELi3ELi1ELb1EEvPKT_PKfPKiPfiiiiiiiiiiiiiiii@rel32@lo+4
	s_addc_u32 s1, s1, __FUNCTION__._ZL9mul_mat_fIfLi32ELi3ELi1ELb1EEvPKT_PKfPKiPfiiiiiiiiiiiiiiii@rel32@hi+12
	s_getpc_b64 s[2:3]
	s_add_u32 s2, s2, _ZL14no_device_codePKciS0_iS0_@rel32@lo+4
	s_addc_u32 s3, s3, _ZL14no_device_codePKciS0_iS0_@rel32@hi+12
	v_mov_b32_e32 v0, 64
	v_mov_b32_e32 v1, s0
	;; [unrolled: 1-line block ×3, first 2 shown]
	s_mov_b32 s32, 0
	s_swappc_b64 s[30:31], s[2:3]
	.section	.rodata,"a",@progbits
	.p2align	6, 0x0
	.amdhsa_kernel _ZL9mul_mat_fIfLi32ELi3ELi5ELb1EEvPKT_PKfPKiPfiiiiiiiiiiiiiiii
		.amdhsa_group_segment_fixed_size 0
		.amdhsa_private_segment_fixed_size 16
		.amdhsa_kernarg_size 352
		.amdhsa_user_sgpr_count 2
		.amdhsa_user_sgpr_dispatch_ptr 0
		.amdhsa_user_sgpr_queue_ptr 0
		.amdhsa_user_sgpr_kernarg_segment_ptr 1
		.amdhsa_user_sgpr_dispatch_id 0
		.amdhsa_user_sgpr_kernarg_preload_length 0
		.amdhsa_user_sgpr_kernarg_preload_offset 0
		.amdhsa_user_sgpr_private_segment_size 0
		.amdhsa_uses_dynamic_stack 0
		.amdhsa_enable_private_segment 1
		.amdhsa_system_sgpr_workgroup_id_x 1
		.amdhsa_system_sgpr_workgroup_id_y 0
		.amdhsa_system_sgpr_workgroup_id_z 0
		.amdhsa_system_sgpr_workgroup_info 0
		.amdhsa_system_vgpr_workitem_id 0
		.amdhsa_next_free_vgpr 38
		.amdhsa_next_free_sgpr 34
		.amdhsa_accum_offset 40
		.amdhsa_reserve_vcc 1
		.amdhsa_float_round_mode_32 0
		.amdhsa_float_round_mode_16_64 0
		.amdhsa_float_denorm_mode_32 3
		.amdhsa_float_denorm_mode_16_64 3
		.amdhsa_dx10_clamp 1
		.amdhsa_ieee_mode 1
		.amdhsa_fp16_overflow 0
		.amdhsa_tg_split 0
		.amdhsa_exception_fp_ieee_invalid_op 0
		.amdhsa_exception_fp_denorm_src 0
		.amdhsa_exception_fp_ieee_div_zero 0
		.amdhsa_exception_fp_ieee_overflow 0
		.amdhsa_exception_fp_ieee_underflow 0
		.amdhsa_exception_fp_ieee_inexact 0
		.amdhsa_exception_int_div_zero 0
	.end_amdhsa_kernel
	.section	.text._ZL9mul_mat_fIfLi32ELi3ELi5ELb1EEvPKT_PKfPKiPfiiiiiiiiiiiiiiii,"axG",@progbits,_ZL9mul_mat_fIfLi32ELi3ELi5ELb1EEvPKT_PKfPKiPfiiiiiiiiiiiiiiii,comdat
.Lfunc_end16:
	.size	_ZL9mul_mat_fIfLi32ELi3ELi5ELb1EEvPKT_PKfPKiPfiiiiiiiiiiiiiiii, .Lfunc_end16-_ZL9mul_mat_fIfLi32ELi3ELi5ELb1EEvPKT_PKfPKiPfiiiiiiiiiiiiiiii
                                        ; -- End function
	.set _ZL9mul_mat_fIfLi32ELi3ELi5ELb1EEvPKT_PKfPKiPfiiiiiiiiiiiiiiii.num_vgpr, max(3, .L_ZL14no_device_codePKciS0_iS0_.num_vgpr)
	.set _ZL9mul_mat_fIfLi32ELi3ELi5ELb1EEvPKT_PKfPKiPfiiiiiiiiiiiiiiii.num_agpr, max(0, .L_ZL14no_device_codePKciS0_iS0_.num_agpr)
	.set _ZL9mul_mat_fIfLi32ELi3ELi5ELb1EEvPKT_PKfPKiPfiiiiiiiiiiiiiiii.numbered_sgpr, max(33, .L_ZL14no_device_codePKciS0_iS0_.numbered_sgpr)
	.set _ZL9mul_mat_fIfLi32ELi3ELi5ELb1EEvPKT_PKfPKiPfiiiiiiiiiiiiiiii.num_named_barrier, max(0, .L_ZL14no_device_codePKciS0_iS0_.num_named_barrier)
	.set _ZL9mul_mat_fIfLi32ELi3ELi5ELb1EEvPKT_PKfPKiPfiiiiiiiiiiiiiiii.private_seg_size, 0+max(.L_ZL14no_device_codePKciS0_iS0_.private_seg_size)
	.set _ZL9mul_mat_fIfLi32ELi3ELi5ELb1EEvPKT_PKfPKiPfiiiiiiiiiiiiiiii.uses_vcc, or(1, .L_ZL14no_device_codePKciS0_iS0_.uses_vcc)
	.set _ZL9mul_mat_fIfLi32ELi3ELi5ELb1EEvPKT_PKfPKiPfiiiiiiiiiiiiiiii.uses_flat_scratch, or(0, .L_ZL14no_device_codePKciS0_iS0_.uses_flat_scratch)
	.set _ZL9mul_mat_fIfLi32ELi3ELi5ELb1EEvPKT_PKfPKiPfiiiiiiiiiiiiiiii.has_dyn_sized_stack, or(0, .L_ZL14no_device_codePKciS0_iS0_.has_dyn_sized_stack)
	.set _ZL9mul_mat_fIfLi32ELi3ELi5ELb1EEvPKT_PKfPKiPfiiiiiiiiiiiiiiii.has_recursion, or(0, .L_ZL14no_device_codePKciS0_iS0_.has_recursion)
	.set _ZL9mul_mat_fIfLi32ELi3ELi5ELb1EEvPKT_PKfPKiPfiiiiiiiiiiiiiiii.has_indirect_call, or(0, .L_ZL14no_device_codePKciS0_iS0_.has_indirect_call)
	.section	.AMDGPU.csdata,"",@progbits
; Kernel info:
; codeLenInByte = 72
; TotalNumSgprs: 40
; NumVgprs: 38
; NumAgprs: 0
; TotalNumVgprs: 38
; ScratchSize: 16
; MemoryBound: 0
; FloatMode: 240
; IeeeMode: 1
; LDSByteSize: 0 bytes/workgroup (compile time only)
; SGPRBlocks: 4
; VGPRBlocks: 4
; NumSGPRsForWavesPerEU: 40
; NumVGPRsForWavesPerEU: 38
; AccumOffset: 40
; Occupancy: 8
; WaveLimiterHint : 1
; COMPUTE_PGM_RSRC2:SCRATCH_EN: 1
; COMPUTE_PGM_RSRC2:USER_SGPR: 2
; COMPUTE_PGM_RSRC2:TRAP_HANDLER: 0
; COMPUTE_PGM_RSRC2:TGID_X_EN: 1
; COMPUTE_PGM_RSRC2:TGID_Y_EN: 0
; COMPUTE_PGM_RSRC2:TGID_Z_EN: 0
; COMPUTE_PGM_RSRC2:TIDIG_COMP_CNT: 0
; COMPUTE_PGM_RSRC3_GFX90A:ACCUM_OFFSET: 9
; COMPUTE_PGM_RSRC3_GFX90A:TG_SPLIT: 0
	.section	.text._ZL9mul_mat_fIfLi32ELi3ELi5ELb0EEvPKT_PKfPKiPfiiiiiiiiiiiiiiii,"axG",@progbits,_ZL9mul_mat_fIfLi32ELi3ELi5ELb0EEvPKT_PKfPKiPfiiiiiiiiiiiiiiii,comdat
	.globl	_ZL9mul_mat_fIfLi32ELi3ELi5ELb0EEvPKT_PKfPKiPfiiiiiiiiiiiiiiii ; -- Begin function _ZL9mul_mat_fIfLi32ELi3ELi5ELb0EEvPKT_PKfPKiPfiiiiiiiiiiiiiiii
	.p2align	8
	.type	_ZL9mul_mat_fIfLi32ELi3ELi5ELb0EEvPKT_PKfPKiPfiiiiiiiiiiiiiiii,@function
_ZL9mul_mat_fIfLi32ELi3ELi5ELb0EEvPKT_PKfPKiPfiiiiiiiiiiiiiiii: ; @_ZL9mul_mat_fIfLi32ELi3ELi5ELb0EEvPKT_PKfPKiPfiiiiiiiiiiiiiiii
; %bb.0:
	s_add_u32 s8, s0, 0x60
	s_addc_u32 s9, s1, 0
	s_getpc_b64 s[0:1]
	s_add_u32 s0, s0, __FUNCTION__._ZL9mul_mat_fIfLi32ELi3ELi1ELb1EEvPKT_PKfPKiPfiiiiiiiiiiiiiiii@rel32@lo+4
	s_addc_u32 s1, s1, __FUNCTION__._ZL9mul_mat_fIfLi32ELi3ELi1ELb1EEvPKT_PKfPKiPfiiiiiiiiiiiiiiii@rel32@hi+12
	s_getpc_b64 s[2:3]
	s_add_u32 s2, s2, _ZL14no_device_codePKciS0_iS0_@rel32@lo+4
	s_addc_u32 s3, s3, _ZL14no_device_codePKciS0_iS0_@rel32@hi+12
	v_mov_b32_e32 v0, 64
	v_mov_b32_e32 v1, s0
	;; [unrolled: 1-line block ×3, first 2 shown]
	s_mov_b32 s32, 0
	s_swappc_b64 s[30:31], s[2:3]
	.section	.rodata,"a",@progbits
	.p2align	6, 0x0
	.amdhsa_kernel _ZL9mul_mat_fIfLi32ELi3ELi5ELb0EEvPKT_PKfPKiPfiiiiiiiiiiiiiiii
		.amdhsa_group_segment_fixed_size 0
		.amdhsa_private_segment_fixed_size 16
		.amdhsa_kernarg_size 352
		.amdhsa_user_sgpr_count 2
		.amdhsa_user_sgpr_dispatch_ptr 0
		.amdhsa_user_sgpr_queue_ptr 0
		.amdhsa_user_sgpr_kernarg_segment_ptr 1
		.amdhsa_user_sgpr_dispatch_id 0
		.amdhsa_user_sgpr_kernarg_preload_length 0
		.amdhsa_user_sgpr_kernarg_preload_offset 0
		.amdhsa_user_sgpr_private_segment_size 0
		.amdhsa_uses_dynamic_stack 0
		.amdhsa_enable_private_segment 1
		.amdhsa_system_sgpr_workgroup_id_x 1
		.amdhsa_system_sgpr_workgroup_id_y 0
		.amdhsa_system_sgpr_workgroup_id_z 0
		.amdhsa_system_sgpr_workgroup_info 0
		.amdhsa_system_vgpr_workitem_id 0
		.amdhsa_next_free_vgpr 38
		.amdhsa_next_free_sgpr 34
		.amdhsa_accum_offset 40
		.amdhsa_reserve_vcc 1
		.amdhsa_float_round_mode_32 0
		.amdhsa_float_round_mode_16_64 0
		.amdhsa_float_denorm_mode_32 3
		.amdhsa_float_denorm_mode_16_64 3
		.amdhsa_dx10_clamp 1
		.amdhsa_ieee_mode 1
		.amdhsa_fp16_overflow 0
		.amdhsa_tg_split 0
		.amdhsa_exception_fp_ieee_invalid_op 0
		.amdhsa_exception_fp_denorm_src 0
		.amdhsa_exception_fp_ieee_div_zero 0
		.amdhsa_exception_fp_ieee_overflow 0
		.amdhsa_exception_fp_ieee_underflow 0
		.amdhsa_exception_fp_ieee_inexact 0
		.amdhsa_exception_int_div_zero 0
	.end_amdhsa_kernel
	.section	.text._ZL9mul_mat_fIfLi32ELi3ELi5ELb0EEvPKT_PKfPKiPfiiiiiiiiiiiiiiii,"axG",@progbits,_ZL9mul_mat_fIfLi32ELi3ELi5ELb0EEvPKT_PKfPKiPfiiiiiiiiiiiiiiii,comdat
.Lfunc_end17:
	.size	_ZL9mul_mat_fIfLi32ELi3ELi5ELb0EEvPKT_PKfPKiPfiiiiiiiiiiiiiiii, .Lfunc_end17-_ZL9mul_mat_fIfLi32ELi3ELi5ELb0EEvPKT_PKfPKiPfiiiiiiiiiiiiiiii
                                        ; -- End function
	.set _ZL9mul_mat_fIfLi32ELi3ELi5ELb0EEvPKT_PKfPKiPfiiiiiiiiiiiiiiii.num_vgpr, max(3, .L_ZL14no_device_codePKciS0_iS0_.num_vgpr)
	.set _ZL9mul_mat_fIfLi32ELi3ELi5ELb0EEvPKT_PKfPKiPfiiiiiiiiiiiiiiii.num_agpr, max(0, .L_ZL14no_device_codePKciS0_iS0_.num_agpr)
	.set _ZL9mul_mat_fIfLi32ELi3ELi5ELb0EEvPKT_PKfPKiPfiiiiiiiiiiiiiiii.numbered_sgpr, max(33, .L_ZL14no_device_codePKciS0_iS0_.numbered_sgpr)
	.set _ZL9mul_mat_fIfLi32ELi3ELi5ELb0EEvPKT_PKfPKiPfiiiiiiiiiiiiiiii.num_named_barrier, max(0, .L_ZL14no_device_codePKciS0_iS0_.num_named_barrier)
	.set _ZL9mul_mat_fIfLi32ELi3ELi5ELb0EEvPKT_PKfPKiPfiiiiiiiiiiiiiiii.private_seg_size, 0+max(.L_ZL14no_device_codePKciS0_iS0_.private_seg_size)
	.set _ZL9mul_mat_fIfLi32ELi3ELi5ELb0EEvPKT_PKfPKiPfiiiiiiiiiiiiiiii.uses_vcc, or(1, .L_ZL14no_device_codePKciS0_iS0_.uses_vcc)
	.set _ZL9mul_mat_fIfLi32ELi3ELi5ELb0EEvPKT_PKfPKiPfiiiiiiiiiiiiiiii.uses_flat_scratch, or(0, .L_ZL14no_device_codePKciS0_iS0_.uses_flat_scratch)
	.set _ZL9mul_mat_fIfLi32ELi3ELi5ELb0EEvPKT_PKfPKiPfiiiiiiiiiiiiiiii.has_dyn_sized_stack, or(0, .L_ZL14no_device_codePKciS0_iS0_.has_dyn_sized_stack)
	.set _ZL9mul_mat_fIfLi32ELi3ELi5ELb0EEvPKT_PKfPKiPfiiiiiiiiiiiiiiii.has_recursion, or(0, .L_ZL14no_device_codePKciS0_iS0_.has_recursion)
	.set _ZL9mul_mat_fIfLi32ELi3ELi5ELb0EEvPKT_PKfPKiPfiiiiiiiiiiiiiiii.has_indirect_call, or(0, .L_ZL14no_device_codePKciS0_iS0_.has_indirect_call)
	.section	.AMDGPU.csdata,"",@progbits
; Kernel info:
; codeLenInByte = 72
; TotalNumSgprs: 40
; NumVgprs: 38
; NumAgprs: 0
; TotalNumVgprs: 38
; ScratchSize: 16
; MemoryBound: 0
; FloatMode: 240
; IeeeMode: 1
; LDSByteSize: 0 bytes/workgroup (compile time only)
; SGPRBlocks: 4
; VGPRBlocks: 4
; NumSGPRsForWavesPerEU: 40
; NumVGPRsForWavesPerEU: 38
; AccumOffset: 40
; Occupancy: 8
; WaveLimiterHint : 1
; COMPUTE_PGM_RSRC2:SCRATCH_EN: 1
; COMPUTE_PGM_RSRC2:USER_SGPR: 2
; COMPUTE_PGM_RSRC2:TRAP_HANDLER: 0
; COMPUTE_PGM_RSRC2:TGID_X_EN: 1
; COMPUTE_PGM_RSRC2:TGID_Y_EN: 0
; COMPUTE_PGM_RSRC2:TGID_Z_EN: 0
; COMPUTE_PGM_RSRC2:TIDIG_COMP_CNT: 0
; COMPUTE_PGM_RSRC3_GFX90A:ACCUM_OFFSET: 9
; COMPUTE_PGM_RSRC3_GFX90A:TG_SPLIT: 0
	.section	.text._ZL13mul_mat_f_idsIfLi32ELi3ELi6EEvPKT_PKfPKiS6_S6_Pfiiiiiiiiiiiiii15HIP_vector_typeIjLj3EES9_,"axG",@progbits,_ZL13mul_mat_f_idsIfLi32ELi3ELi6EEvPKT_PKfPKiS6_S6_Pfiiiiiiiiiiiiii15HIP_vector_typeIjLj3EES9_,comdat
	.globl	_ZL13mul_mat_f_idsIfLi32ELi3ELi6EEvPKT_PKfPKiS6_S6_Pfiiiiiiiiiiiiii15HIP_vector_typeIjLj3EES9_ ; -- Begin function _ZL13mul_mat_f_idsIfLi32ELi3ELi6EEvPKT_PKfPKiS6_S6_Pfiiiiiiiiiiiiii15HIP_vector_typeIjLj3EES9_
	.p2align	8
	.type	_ZL13mul_mat_f_idsIfLi32ELi3ELi6EEvPKT_PKfPKiS6_S6_Pfiiiiiiiiiiiiii15HIP_vector_typeIjLj3EES9_,@function
_ZL13mul_mat_f_idsIfLi32ELi3ELi6EEvPKT_PKfPKiS6_S6_Pfiiiiiiiiiiiiii15HIP_vector_typeIjLj3EES9_: ; @_ZL13mul_mat_f_idsIfLi32ELi3ELi6EEvPKT_PKfPKiS6_S6_Pfiiiiiiiiiiiiii15HIP_vector_typeIjLj3EES9_
; %bb.0:
	s_add_u32 s8, s0, 0x80
	s_addc_u32 s9, s1, 0
	s_getpc_b64 s[0:1]
	s_add_u32 s0, s0, __FUNCTION__._ZL13mul_mat_f_idsIfLi32ELi3ELi1EEvPKT_PKfPKiS6_S6_Pfiiiiiiiiiiiiii15HIP_vector_typeIjLj3EES9_@rel32@lo+4
	s_addc_u32 s1, s1, __FUNCTION__._ZL13mul_mat_f_idsIfLi32ELi3ELi1EEvPKT_PKfPKiS6_S6_Pfiiiiiiiiiiiiii15HIP_vector_typeIjLj3EES9_@rel32@hi+12
	s_getpc_b64 s[2:3]
	s_add_u32 s2, s2, _ZL14no_device_codePKciS0_iS0_@rel32@lo+4
	s_addc_u32 s3, s3, _ZL14no_device_codePKciS0_iS0_@rel32@hi+12
	v_mov_b32_e32 v0, 0x13b
	v_mov_b32_e32 v1, s0
	;; [unrolled: 1-line block ×3, first 2 shown]
	s_mov_b32 s32, 0
	s_swappc_b64 s[30:31], s[2:3]
	.section	.rodata,"a",@progbits
	.p2align	6, 0x0
	.amdhsa_kernel _ZL13mul_mat_f_idsIfLi32ELi3ELi6EEvPKT_PKfPKiS6_S6_Pfiiiiiiiiiiiiii15HIP_vector_typeIjLj3EES9_
		.amdhsa_group_segment_fixed_size 0
		.amdhsa_private_segment_fixed_size 16
		.amdhsa_kernarg_size 384
		.amdhsa_user_sgpr_count 2
		.amdhsa_user_sgpr_dispatch_ptr 0
		.amdhsa_user_sgpr_queue_ptr 0
		.amdhsa_user_sgpr_kernarg_segment_ptr 1
		.amdhsa_user_sgpr_dispatch_id 0
		.amdhsa_user_sgpr_kernarg_preload_length 0
		.amdhsa_user_sgpr_kernarg_preload_offset 0
		.amdhsa_user_sgpr_private_segment_size 0
		.amdhsa_uses_dynamic_stack 0
		.amdhsa_enable_private_segment 1
		.amdhsa_system_sgpr_workgroup_id_x 1
		.amdhsa_system_sgpr_workgroup_id_y 0
		.amdhsa_system_sgpr_workgroup_id_z 0
		.amdhsa_system_sgpr_workgroup_info 0
		.amdhsa_system_vgpr_workitem_id 0
		.amdhsa_next_free_vgpr 38
		.amdhsa_next_free_sgpr 34
		.amdhsa_accum_offset 40
		.amdhsa_reserve_vcc 1
		.amdhsa_float_round_mode_32 0
		.amdhsa_float_round_mode_16_64 0
		.amdhsa_float_denorm_mode_32 3
		.amdhsa_float_denorm_mode_16_64 3
		.amdhsa_dx10_clamp 1
		.amdhsa_ieee_mode 1
		.amdhsa_fp16_overflow 0
		.amdhsa_tg_split 0
		.amdhsa_exception_fp_ieee_invalid_op 0
		.amdhsa_exception_fp_denorm_src 0
		.amdhsa_exception_fp_ieee_div_zero 0
		.amdhsa_exception_fp_ieee_overflow 0
		.amdhsa_exception_fp_ieee_underflow 0
		.amdhsa_exception_fp_ieee_inexact 0
		.amdhsa_exception_int_div_zero 0
	.end_amdhsa_kernel
	.section	.text._ZL13mul_mat_f_idsIfLi32ELi3ELi6EEvPKT_PKfPKiS6_S6_Pfiiiiiiiiiiiiii15HIP_vector_typeIjLj3EES9_,"axG",@progbits,_ZL13mul_mat_f_idsIfLi32ELi3ELi6EEvPKT_PKfPKiS6_S6_Pfiiiiiiiiiiiiii15HIP_vector_typeIjLj3EES9_,comdat
.Lfunc_end18:
	.size	_ZL13mul_mat_f_idsIfLi32ELi3ELi6EEvPKT_PKfPKiS6_S6_Pfiiiiiiiiiiiiii15HIP_vector_typeIjLj3EES9_, .Lfunc_end18-_ZL13mul_mat_f_idsIfLi32ELi3ELi6EEvPKT_PKfPKiS6_S6_Pfiiiiiiiiiiiiii15HIP_vector_typeIjLj3EES9_
                                        ; -- End function
	.set _ZL13mul_mat_f_idsIfLi32ELi3ELi6EEvPKT_PKfPKiS6_S6_Pfiiiiiiiiiiiiii15HIP_vector_typeIjLj3EES9_.num_vgpr, max(3, .L_ZL14no_device_codePKciS0_iS0_.num_vgpr)
	.set _ZL13mul_mat_f_idsIfLi32ELi3ELi6EEvPKT_PKfPKiS6_S6_Pfiiiiiiiiiiiiii15HIP_vector_typeIjLj3EES9_.num_agpr, max(0, .L_ZL14no_device_codePKciS0_iS0_.num_agpr)
	.set _ZL13mul_mat_f_idsIfLi32ELi3ELi6EEvPKT_PKfPKiS6_S6_Pfiiiiiiiiiiiiii15HIP_vector_typeIjLj3EES9_.numbered_sgpr, max(33, .L_ZL14no_device_codePKciS0_iS0_.numbered_sgpr)
	.set _ZL13mul_mat_f_idsIfLi32ELi3ELi6EEvPKT_PKfPKiS6_S6_Pfiiiiiiiiiiiiii15HIP_vector_typeIjLj3EES9_.num_named_barrier, max(0, .L_ZL14no_device_codePKciS0_iS0_.num_named_barrier)
	.set _ZL13mul_mat_f_idsIfLi32ELi3ELi6EEvPKT_PKfPKiS6_S6_Pfiiiiiiiiiiiiii15HIP_vector_typeIjLj3EES9_.private_seg_size, 0+max(.L_ZL14no_device_codePKciS0_iS0_.private_seg_size)
	.set _ZL13mul_mat_f_idsIfLi32ELi3ELi6EEvPKT_PKfPKiS6_S6_Pfiiiiiiiiiiiiii15HIP_vector_typeIjLj3EES9_.uses_vcc, or(1, .L_ZL14no_device_codePKciS0_iS0_.uses_vcc)
	.set _ZL13mul_mat_f_idsIfLi32ELi3ELi6EEvPKT_PKfPKiS6_S6_Pfiiiiiiiiiiiiii15HIP_vector_typeIjLj3EES9_.uses_flat_scratch, or(0, .L_ZL14no_device_codePKciS0_iS0_.uses_flat_scratch)
	.set _ZL13mul_mat_f_idsIfLi32ELi3ELi6EEvPKT_PKfPKiS6_S6_Pfiiiiiiiiiiiiii15HIP_vector_typeIjLj3EES9_.has_dyn_sized_stack, or(0, .L_ZL14no_device_codePKciS0_iS0_.has_dyn_sized_stack)
	.set _ZL13mul_mat_f_idsIfLi32ELi3ELi6EEvPKT_PKfPKiS6_S6_Pfiiiiiiiiiiiiii15HIP_vector_typeIjLj3EES9_.has_recursion, or(0, .L_ZL14no_device_codePKciS0_iS0_.has_recursion)
	.set _ZL13mul_mat_f_idsIfLi32ELi3ELi6EEvPKT_PKfPKiS6_S6_Pfiiiiiiiiiiiiii15HIP_vector_typeIjLj3EES9_.has_indirect_call, or(0, .L_ZL14no_device_codePKciS0_iS0_.has_indirect_call)
	.section	.AMDGPU.csdata,"",@progbits
; Kernel info:
; codeLenInByte = 76
; TotalNumSgprs: 40
; NumVgprs: 38
; NumAgprs: 0
; TotalNumVgprs: 38
; ScratchSize: 16
; MemoryBound: 0
; FloatMode: 240
; IeeeMode: 1
; LDSByteSize: 0 bytes/workgroup (compile time only)
; SGPRBlocks: 4
; VGPRBlocks: 4
; NumSGPRsForWavesPerEU: 40
; NumVGPRsForWavesPerEU: 38
; AccumOffset: 40
; Occupancy: 8
; WaveLimiterHint : 1
; COMPUTE_PGM_RSRC2:SCRATCH_EN: 1
; COMPUTE_PGM_RSRC2:USER_SGPR: 2
; COMPUTE_PGM_RSRC2:TRAP_HANDLER: 0
; COMPUTE_PGM_RSRC2:TGID_X_EN: 1
; COMPUTE_PGM_RSRC2:TGID_Y_EN: 0
; COMPUTE_PGM_RSRC2:TGID_Z_EN: 0
; COMPUTE_PGM_RSRC2:TIDIG_COMP_CNT: 0
; COMPUTE_PGM_RSRC3_GFX90A:ACCUM_OFFSET: 9
; COMPUTE_PGM_RSRC3_GFX90A:TG_SPLIT: 0
	.section	.text._ZL9mul_mat_fIfLi32ELi3ELi6ELb1EEvPKT_PKfPKiPfiiiiiiiiiiiiiiii,"axG",@progbits,_ZL9mul_mat_fIfLi32ELi3ELi6ELb1EEvPKT_PKfPKiPfiiiiiiiiiiiiiiii,comdat
	.globl	_ZL9mul_mat_fIfLi32ELi3ELi6ELb1EEvPKT_PKfPKiPfiiiiiiiiiiiiiiii ; -- Begin function _ZL9mul_mat_fIfLi32ELi3ELi6ELb1EEvPKT_PKfPKiPfiiiiiiiiiiiiiiii
	.p2align	8
	.type	_ZL9mul_mat_fIfLi32ELi3ELi6ELb1EEvPKT_PKfPKiPfiiiiiiiiiiiiiiii,@function
_ZL9mul_mat_fIfLi32ELi3ELi6ELb1EEvPKT_PKfPKiPfiiiiiiiiiiiiiiii: ; @_ZL9mul_mat_fIfLi32ELi3ELi6ELb1EEvPKT_PKfPKiPfiiiiiiiiiiiiiiii
; %bb.0:
	s_add_u32 s8, s0, 0x60
	s_addc_u32 s9, s1, 0
	s_getpc_b64 s[0:1]
	s_add_u32 s0, s0, __FUNCTION__._ZL9mul_mat_fIfLi32ELi3ELi1ELb1EEvPKT_PKfPKiPfiiiiiiiiiiiiiiii@rel32@lo+4
	s_addc_u32 s1, s1, __FUNCTION__._ZL9mul_mat_fIfLi32ELi3ELi1ELb1EEvPKT_PKfPKiPfiiiiiiiiiiiiiiii@rel32@hi+12
	s_getpc_b64 s[2:3]
	s_add_u32 s2, s2, _ZL14no_device_codePKciS0_iS0_@rel32@lo+4
	s_addc_u32 s3, s3, _ZL14no_device_codePKciS0_iS0_@rel32@hi+12
	v_mov_b32_e32 v0, 64
	v_mov_b32_e32 v1, s0
	;; [unrolled: 1-line block ×3, first 2 shown]
	s_mov_b32 s32, 0
	s_swappc_b64 s[30:31], s[2:3]
	.section	.rodata,"a",@progbits
	.p2align	6, 0x0
	.amdhsa_kernel _ZL9mul_mat_fIfLi32ELi3ELi6ELb1EEvPKT_PKfPKiPfiiiiiiiiiiiiiiii
		.amdhsa_group_segment_fixed_size 0
		.amdhsa_private_segment_fixed_size 16
		.amdhsa_kernarg_size 352
		.amdhsa_user_sgpr_count 2
		.amdhsa_user_sgpr_dispatch_ptr 0
		.amdhsa_user_sgpr_queue_ptr 0
		.amdhsa_user_sgpr_kernarg_segment_ptr 1
		.amdhsa_user_sgpr_dispatch_id 0
		.amdhsa_user_sgpr_kernarg_preload_length 0
		.amdhsa_user_sgpr_kernarg_preload_offset 0
		.amdhsa_user_sgpr_private_segment_size 0
		.amdhsa_uses_dynamic_stack 0
		.amdhsa_enable_private_segment 1
		.amdhsa_system_sgpr_workgroup_id_x 1
		.amdhsa_system_sgpr_workgroup_id_y 0
		.amdhsa_system_sgpr_workgroup_id_z 0
		.amdhsa_system_sgpr_workgroup_info 0
		.amdhsa_system_vgpr_workitem_id 0
		.amdhsa_next_free_vgpr 38
		.amdhsa_next_free_sgpr 34
		.amdhsa_accum_offset 40
		.amdhsa_reserve_vcc 1
		.amdhsa_float_round_mode_32 0
		.amdhsa_float_round_mode_16_64 0
		.amdhsa_float_denorm_mode_32 3
		.amdhsa_float_denorm_mode_16_64 3
		.amdhsa_dx10_clamp 1
		.amdhsa_ieee_mode 1
		.amdhsa_fp16_overflow 0
		.amdhsa_tg_split 0
		.amdhsa_exception_fp_ieee_invalid_op 0
		.amdhsa_exception_fp_denorm_src 0
		.amdhsa_exception_fp_ieee_div_zero 0
		.amdhsa_exception_fp_ieee_overflow 0
		.amdhsa_exception_fp_ieee_underflow 0
		.amdhsa_exception_fp_ieee_inexact 0
		.amdhsa_exception_int_div_zero 0
	.end_amdhsa_kernel
	.section	.text._ZL9mul_mat_fIfLi32ELi3ELi6ELb1EEvPKT_PKfPKiPfiiiiiiiiiiiiiiii,"axG",@progbits,_ZL9mul_mat_fIfLi32ELi3ELi6ELb1EEvPKT_PKfPKiPfiiiiiiiiiiiiiiii,comdat
.Lfunc_end19:
	.size	_ZL9mul_mat_fIfLi32ELi3ELi6ELb1EEvPKT_PKfPKiPfiiiiiiiiiiiiiiii, .Lfunc_end19-_ZL9mul_mat_fIfLi32ELi3ELi6ELb1EEvPKT_PKfPKiPfiiiiiiiiiiiiiiii
                                        ; -- End function
	.set _ZL9mul_mat_fIfLi32ELi3ELi6ELb1EEvPKT_PKfPKiPfiiiiiiiiiiiiiiii.num_vgpr, max(3, .L_ZL14no_device_codePKciS0_iS0_.num_vgpr)
	.set _ZL9mul_mat_fIfLi32ELi3ELi6ELb1EEvPKT_PKfPKiPfiiiiiiiiiiiiiiii.num_agpr, max(0, .L_ZL14no_device_codePKciS0_iS0_.num_agpr)
	.set _ZL9mul_mat_fIfLi32ELi3ELi6ELb1EEvPKT_PKfPKiPfiiiiiiiiiiiiiiii.numbered_sgpr, max(33, .L_ZL14no_device_codePKciS0_iS0_.numbered_sgpr)
	.set _ZL9mul_mat_fIfLi32ELi3ELi6ELb1EEvPKT_PKfPKiPfiiiiiiiiiiiiiiii.num_named_barrier, max(0, .L_ZL14no_device_codePKciS0_iS0_.num_named_barrier)
	.set _ZL9mul_mat_fIfLi32ELi3ELi6ELb1EEvPKT_PKfPKiPfiiiiiiiiiiiiiiii.private_seg_size, 0+max(.L_ZL14no_device_codePKciS0_iS0_.private_seg_size)
	.set _ZL9mul_mat_fIfLi32ELi3ELi6ELb1EEvPKT_PKfPKiPfiiiiiiiiiiiiiiii.uses_vcc, or(1, .L_ZL14no_device_codePKciS0_iS0_.uses_vcc)
	.set _ZL9mul_mat_fIfLi32ELi3ELi6ELb1EEvPKT_PKfPKiPfiiiiiiiiiiiiiiii.uses_flat_scratch, or(0, .L_ZL14no_device_codePKciS0_iS0_.uses_flat_scratch)
	.set _ZL9mul_mat_fIfLi32ELi3ELi6ELb1EEvPKT_PKfPKiPfiiiiiiiiiiiiiiii.has_dyn_sized_stack, or(0, .L_ZL14no_device_codePKciS0_iS0_.has_dyn_sized_stack)
	.set _ZL9mul_mat_fIfLi32ELi3ELi6ELb1EEvPKT_PKfPKiPfiiiiiiiiiiiiiiii.has_recursion, or(0, .L_ZL14no_device_codePKciS0_iS0_.has_recursion)
	.set _ZL9mul_mat_fIfLi32ELi3ELi6ELb1EEvPKT_PKfPKiPfiiiiiiiiiiiiiiii.has_indirect_call, or(0, .L_ZL14no_device_codePKciS0_iS0_.has_indirect_call)
	.section	.AMDGPU.csdata,"",@progbits
; Kernel info:
; codeLenInByte = 72
; TotalNumSgprs: 40
; NumVgprs: 38
; NumAgprs: 0
; TotalNumVgprs: 38
; ScratchSize: 16
; MemoryBound: 0
; FloatMode: 240
; IeeeMode: 1
; LDSByteSize: 0 bytes/workgroup (compile time only)
; SGPRBlocks: 4
; VGPRBlocks: 4
; NumSGPRsForWavesPerEU: 40
; NumVGPRsForWavesPerEU: 38
; AccumOffset: 40
; Occupancy: 8
; WaveLimiterHint : 1
; COMPUTE_PGM_RSRC2:SCRATCH_EN: 1
; COMPUTE_PGM_RSRC2:USER_SGPR: 2
; COMPUTE_PGM_RSRC2:TRAP_HANDLER: 0
; COMPUTE_PGM_RSRC2:TGID_X_EN: 1
; COMPUTE_PGM_RSRC2:TGID_Y_EN: 0
; COMPUTE_PGM_RSRC2:TGID_Z_EN: 0
; COMPUTE_PGM_RSRC2:TIDIG_COMP_CNT: 0
; COMPUTE_PGM_RSRC3_GFX90A:ACCUM_OFFSET: 9
; COMPUTE_PGM_RSRC3_GFX90A:TG_SPLIT: 0
	.section	.text._ZL9mul_mat_fIfLi32ELi3ELi6ELb0EEvPKT_PKfPKiPfiiiiiiiiiiiiiiii,"axG",@progbits,_ZL9mul_mat_fIfLi32ELi3ELi6ELb0EEvPKT_PKfPKiPfiiiiiiiiiiiiiiii,comdat
	.globl	_ZL9mul_mat_fIfLi32ELi3ELi6ELb0EEvPKT_PKfPKiPfiiiiiiiiiiiiiiii ; -- Begin function _ZL9mul_mat_fIfLi32ELi3ELi6ELb0EEvPKT_PKfPKiPfiiiiiiiiiiiiiiii
	.p2align	8
	.type	_ZL9mul_mat_fIfLi32ELi3ELi6ELb0EEvPKT_PKfPKiPfiiiiiiiiiiiiiiii,@function
_ZL9mul_mat_fIfLi32ELi3ELi6ELb0EEvPKT_PKfPKiPfiiiiiiiiiiiiiiii: ; @_ZL9mul_mat_fIfLi32ELi3ELi6ELb0EEvPKT_PKfPKiPfiiiiiiiiiiiiiiii
; %bb.0:
	s_add_u32 s8, s0, 0x60
	s_addc_u32 s9, s1, 0
	s_getpc_b64 s[0:1]
	s_add_u32 s0, s0, __FUNCTION__._ZL9mul_mat_fIfLi32ELi3ELi1ELb1EEvPKT_PKfPKiPfiiiiiiiiiiiiiiii@rel32@lo+4
	s_addc_u32 s1, s1, __FUNCTION__._ZL9mul_mat_fIfLi32ELi3ELi1ELb1EEvPKT_PKfPKiPfiiiiiiiiiiiiiiii@rel32@hi+12
	s_getpc_b64 s[2:3]
	s_add_u32 s2, s2, _ZL14no_device_codePKciS0_iS0_@rel32@lo+4
	s_addc_u32 s3, s3, _ZL14no_device_codePKciS0_iS0_@rel32@hi+12
	v_mov_b32_e32 v0, 64
	v_mov_b32_e32 v1, s0
	;; [unrolled: 1-line block ×3, first 2 shown]
	s_mov_b32 s32, 0
	s_swappc_b64 s[30:31], s[2:3]
	.section	.rodata,"a",@progbits
	.p2align	6, 0x0
	.amdhsa_kernel _ZL9mul_mat_fIfLi32ELi3ELi6ELb0EEvPKT_PKfPKiPfiiiiiiiiiiiiiiii
		.amdhsa_group_segment_fixed_size 0
		.amdhsa_private_segment_fixed_size 16
		.amdhsa_kernarg_size 352
		.amdhsa_user_sgpr_count 2
		.amdhsa_user_sgpr_dispatch_ptr 0
		.amdhsa_user_sgpr_queue_ptr 0
		.amdhsa_user_sgpr_kernarg_segment_ptr 1
		.amdhsa_user_sgpr_dispatch_id 0
		.amdhsa_user_sgpr_kernarg_preload_length 0
		.amdhsa_user_sgpr_kernarg_preload_offset 0
		.amdhsa_user_sgpr_private_segment_size 0
		.amdhsa_uses_dynamic_stack 0
		.amdhsa_enable_private_segment 1
		.amdhsa_system_sgpr_workgroup_id_x 1
		.amdhsa_system_sgpr_workgroup_id_y 0
		.amdhsa_system_sgpr_workgroup_id_z 0
		.amdhsa_system_sgpr_workgroup_info 0
		.amdhsa_system_vgpr_workitem_id 0
		.amdhsa_next_free_vgpr 38
		.amdhsa_next_free_sgpr 34
		.amdhsa_accum_offset 40
		.amdhsa_reserve_vcc 1
		.amdhsa_float_round_mode_32 0
		.amdhsa_float_round_mode_16_64 0
		.amdhsa_float_denorm_mode_32 3
		.amdhsa_float_denorm_mode_16_64 3
		.amdhsa_dx10_clamp 1
		.amdhsa_ieee_mode 1
		.amdhsa_fp16_overflow 0
		.amdhsa_tg_split 0
		.amdhsa_exception_fp_ieee_invalid_op 0
		.amdhsa_exception_fp_denorm_src 0
		.amdhsa_exception_fp_ieee_div_zero 0
		.amdhsa_exception_fp_ieee_overflow 0
		.amdhsa_exception_fp_ieee_underflow 0
		.amdhsa_exception_fp_ieee_inexact 0
		.amdhsa_exception_int_div_zero 0
	.end_amdhsa_kernel
	.section	.text._ZL9mul_mat_fIfLi32ELi3ELi6ELb0EEvPKT_PKfPKiPfiiiiiiiiiiiiiiii,"axG",@progbits,_ZL9mul_mat_fIfLi32ELi3ELi6ELb0EEvPKT_PKfPKiPfiiiiiiiiiiiiiiii,comdat
.Lfunc_end20:
	.size	_ZL9mul_mat_fIfLi32ELi3ELi6ELb0EEvPKT_PKfPKiPfiiiiiiiiiiiiiiii, .Lfunc_end20-_ZL9mul_mat_fIfLi32ELi3ELi6ELb0EEvPKT_PKfPKiPfiiiiiiiiiiiiiiii
                                        ; -- End function
	.set _ZL9mul_mat_fIfLi32ELi3ELi6ELb0EEvPKT_PKfPKiPfiiiiiiiiiiiiiiii.num_vgpr, max(3, .L_ZL14no_device_codePKciS0_iS0_.num_vgpr)
	.set _ZL9mul_mat_fIfLi32ELi3ELi6ELb0EEvPKT_PKfPKiPfiiiiiiiiiiiiiiii.num_agpr, max(0, .L_ZL14no_device_codePKciS0_iS0_.num_agpr)
	.set _ZL9mul_mat_fIfLi32ELi3ELi6ELb0EEvPKT_PKfPKiPfiiiiiiiiiiiiiiii.numbered_sgpr, max(33, .L_ZL14no_device_codePKciS0_iS0_.numbered_sgpr)
	.set _ZL9mul_mat_fIfLi32ELi3ELi6ELb0EEvPKT_PKfPKiPfiiiiiiiiiiiiiiii.num_named_barrier, max(0, .L_ZL14no_device_codePKciS0_iS0_.num_named_barrier)
	.set _ZL9mul_mat_fIfLi32ELi3ELi6ELb0EEvPKT_PKfPKiPfiiiiiiiiiiiiiiii.private_seg_size, 0+max(.L_ZL14no_device_codePKciS0_iS0_.private_seg_size)
	.set _ZL9mul_mat_fIfLi32ELi3ELi6ELb0EEvPKT_PKfPKiPfiiiiiiiiiiiiiiii.uses_vcc, or(1, .L_ZL14no_device_codePKciS0_iS0_.uses_vcc)
	.set _ZL9mul_mat_fIfLi32ELi3ELi6ELb0EEvPKT_PKfPKiPfiiiiiiiiiiiiiiii.uses_flat_scratch, or(0, .L_ZL14no_device_codePKciS0_iS0_.uses_flat_scratch)
	.set _ZL9mul_mat_fIfLi32ELi3ELi6ELb0EEvPKT_PKfPKiPfiiiiiiiiiiiiiiii.has_dyn_sized_stack, or(0, .L_ZL14no_device_codePKciS0_iS0_.has_dyn_sized_stack)
	.set _ZL9mul_mat_fIfLi32ELi3ELi6ELb0EEvPKT_PKfPKiPfiiiiiiiiiiiiiiii.has_recursion, or(0, .L_ZL14no_device_codePKciS0_iS0_.has_recursion)
	.set _ZL9mul_mat_fIfLi32ELi3ELi6ELb0EEvPKT_PKfPKiPfiiiiiiiiiiiiiiii.has_indirect_call, or(0, .L_ZL14no_device_codePKciS0_iS0_.has_indirect_call)
	.section	.AMDGPU.csdata,"",@progbits
; Kernel info:
; codeLenInByte = 72
; TotalNumSgprs: 40
; NumVgprs: 38
; NumAgprs: 0
; TotalNumVgprs: 38
; ScratchSize: 16
; MemoryBound: 0
; FloatMode: 240
; IeeeMode: 1
; LDSByteSize: 0 bytes/workgroup (compile time only)
; SGPRBlocks: 4
; VGPRBlocks: 4
; NumSGPRsForWavesPerEU: 40
; NumVGPRsForWavesPerEU: 38
; AccumOffset: 40
; Occupancy: 8
; WaveLimiterHint : 1
; COMPUTE_PGM_RSRC2:SCRATCH_EN: 1
; COMPUTE_PGM_RSRC2:USER_SGPR: 2
; COMPUTE_PGM_RSRC2:TRAP_HANDLER: 0
; COMPUTE_PGM_RSRC2:TGID_X_EN: 1
; COMPUTE_PGM_RSRC2:TGID_Y_EN: 0
; COMPUTE_PGM_RSRC2:TGID_Z_EN: 0
; COMPUTE_PGM_RSRC2:TIDIG_COMP_CNT: 0
; COMPUTE_PGM_RSRC3_GFX90A:ACCUM_OFFSET: 9
; COMPUTE_PGM_RSRC3_GFX90A:TG_SPLIT: 0
	.section	.text._ZL13mul_mat_f_idsIfLi32ELi3ELi7EEvPKT_PKfPKiS6_S6_Pfiiiiiiiiiiiiii15HIP_vector_typeIjLj3EES9_,"axG",@progbits,_ZL13mul_mat_f_idsIfLi32ELi3ELi7EEvPKT_PKfPKiS6_S6_Pfiiiiiiiiiiiiii15HIP_vector_typeIjLj3EES9_,comdat
	.globl	_ZL13mul_mat_f_idsIfLi32ELi3ELi7EEvPKT_PKfPKiS6_S6_Pfiiiiiiiiiiiiii15HIP_vector_typeIjLj3EES9_ ; -- Begin function _ZL13mul_mat_f_idsIfLi32ELi3ELi7EEvPKT_PKfPKiS6_S6_Pfiiiiiiiiiiiiii15HIP_vector_typeIjLj3EES9_
	.p2align	8
	.type	_ZL13mul_mat_f_idsIfLi32ELi3ELi7EEvPKT_PKfPKiS6_S6_Pfiiiiiiiiiiiiii15HIP_vector_typeIjLj3EES9_,@function
_ZL13mul_mat_f_idsIfLi32ELi3ELi7EEvPKT_PKfPKiS6_S6_Pfiiiiiiiiiiiiii15HIP_vector_typeIjLj3EES9_: ; @_ZL13mul_mat_f_idsIfLi32ELi3ELi7EEvPKT_PKfPKiS6_S6_Pfiiiiiiiiiiiiii15HIP_vector_typeIjLj3EES9_
; %bb.0:
	s_add_u32 s8, s0, 0x80
	s_addc_u32 s9, s1, 0
	s_getpc_b64 s[0:1]
	s_add_u32 s0, s0, __FUNCTION__._ZL13mul_mat_f_idsIfLi32ELi3ELi1EEvPKT_PKfPKiS6_S6_Pfiiiiiiiiiiiiii15HIP_vector_typeIjLj3EES9_@rel32@lo+4
	s_addc_u32 s1, s1, __FUNCTION__._ZL13mul_mat_f_idsIfLi32ELi3ELi1EEvPKT_PKfPKiS6_S6_Pfiiiiiiiiiiiiii15HIP_vector_typeIjLj3EES9_@rel32@hi+12
	s_getpc_b64 s[2:3]
	s_add_u32 s2, s2, _ZL14no_device_codePKciS0_iS0_@rel32@lo+4
	s_addc_u32 s3, s3, _ZL14no_device_codePKciS0_iS0_@rel32@hi+12
	v_mov_b32_e32 v0, 0x13b
	v_mov_b32_e32 v1, s0
	;; [unrolled: 1-line block ×3, first 2 shown]
	s_mov_b32 s32, 0
	s_swappc_b64 s[30:31], s[2:3]
	.section	.rodata,"a",@progbits
	.p2align	6, 0x0
	.amdhsa_kernel _ZL13mul_mat_f_idsIfLi32ELi3ELi7EEvPKT_PKfPKiS6_S6_Pfiiiiiiiiiiiiii15HIP_vector_typeIjLj3EES9_
		.amdhsa_group_segment_fixed_size 0
		.amdhsa_private_segment_fixed_size 16
		.amdhsa_kernarg_size 384
		.amdhsa_user_sgpr_count 2
		.amdhsa_user_sgpr_dispatch_ptr 0
		.amdhsa_user_sgpr_queue_ptr 0
		.amdhsa_user_sgpr_kernarg_segment_ptr 1
		.amdhsa_user_sgpr_dispatch_id 0
		.amdhsa_user_sgpr_kernarg_preload_length 0
		.amdhsa_user_sgpr_kernarg_preload_offset 0
		.amdhsa_user_sgpr_private_segment_size 0
		.amdhsa_uses_dynamic_stack 0
		.amdhsa_enable_private_segment 1
		.amdhsa_system_sgpr_workgroup_id_x 1
		.amdhsa_system_sgpr_workgroup_id_y 0
		.amdhsa_system_sgpr_workgroup_id_z 0
		.amdhsa_system_sgpr_workgroup_info 0
		.amdhsa_system_vgpr_workitem_id 0
		.amdhsa_next_free_vgpr 38
		.amdhsa_next_free_sgpr 34
		.amdhsa_accum_offset 40
		.amdhsa_reserve_vcc 1
		.amdhsa_float_round_mode_32 0
		.amdhsa_float_round_mode_16_64 0
		.amdhsa_float_denorm_mode_32 3
		.amdhsa_float_denorm_mode_16_64 3
		.amdhsa_dx10_clamp 1
		.amdhsa_ieee_mode 1
		.amdhsa_fp16_overflow 0
		.amdhsa_tg_split 0
		.amdhsa_exception_fp_ieee_invalid_op 0
		.amdhsa_exception_fp_denorm_src 0
		.amdhsa_exception_fp_ieee_div_zero 0
		.amdhsa_exception_fp_ieee_overflow 0
		.amdhsa_exception_fp_ieee_underflow 0
		.amdhsa_exception_fp_ieee_inexact 0
		.amdhsa_exception_int_div_zero 0
	.end_amdhsa_kernel
	.section	.text._ZL13mul_mat_f_idsIfLi32ELi3ELi7EEvPKT_PKfPKiS6_S6_Pfiiiiiiiiiiiiii15HIP_vector_typeIjLj3EES9_,"axG",@progbits,_ZL13mul_mat_f_idsIfLi32ELi3ELi7EEvPKT_PKfPKiS6_S6_Pfiiiiiiiiiiiiii15HIP_vector_typeIjLj3EES9_,comdat
.Lfunc_end21:
	.size	_ZL13mul_mat_f_idsIfLi32ELi3ELi7EEvPKT_PKfPKiS6_S6_Pfiiiiiiiiiiiiii15HIP_vector_typeIjLj3EES9_, .Lfunc_end21-_ZL13mul_mat_f_idsIfLi32ELi3ELi7EEvPKT_PKfPKiS6_S6_Pfiiiiiiiiiiiiii15HIP_vector_typeIjLj3EES9_
                                        ; -- End function
	.set _ZL13mul_mat_f_idsIfLi32ELi3ELi7EEvPKT_PKfPKiS6_S6_Pfiiiiiiiiiiiiii15HIP_vector_typeIjLj3EES9_.num_vgpr, max(3, .L_ZL14no_device_codePKciS0_iS0_.num_vgpr)
	.set _ZL13mul_mat_f_idsIfLi32ELi3ELi7EEvPKT_PKfPKiS6_S6_Pfiiiiiiiiiiiiii15HIP_vector_typeIjLj3EES9_.num_agpr, max(0, .L_ZL14no_device_codePKciS0_iS0_.num_agpr)
	.set _ZL13mul_mat_f_idsIfLi32ELi3ELi7EEvPKT_PKfPKiS6_S6_Pfiiiiiiiiiiiiii15HIP_vector_typeIjLj3EES9_.numbered_sgpr, max(33, .L_ZL14no_device_codePKciS0_iS0_.numbered_sgpr)
	.set _ZL13mul_mat_f_idsIfLi32ELi3ELi7EEvPKT_PKfPKiS6_S6_Pfiiiiiiiiiiiiii15HIP_vector_typeIjLj3EES9_.num_named_barrier, max(0, .L_ZL14no_device_codePKciS0_iS0_.num_named_barrier)
	.set _ZL13mul_mat_f_idsIfLi32ELi3ELi7EEvPKT_PKfPKiS6_S6_Pfiiiiiiiiiiiiii15HIP_vector_typeIjLj3EES9_.private_seg_size, 0+max(.L_ZL14no_device_codePKciS0_iS0_.private_seg_size)
	.set _ZL13mul_mat_f_idsIfLi32ELi3ELi7EEvPKT_PKfPKiS6_S6_Pfiiiiiiiiiiiiii15HIP_vector_typeIjLj3EES9_.uses_vcc, or(1, .L_ZL14no_device_codePKciS0_iS0_.uses_vcc)
	.set _ZL13mul_mat_f_idsIfLi32ELi3ELi7EEvPKT_PKfPKiS6_S6_Pfiiiiiiiiiiiiii15HIP_vector_typeIjLj3EES9_.uses_flat_scratch, or(0, .L_ZL14no_device_codePKciS0_iS0_.uses_flat_scratch)
	.set _ZL13mul_mat_f_idsIfLi32ELi3ELi7EEvPKT_PKfPKiS6_S6_Pfiiiiiiiiiiiiii15HIP_vector_typeIjLj3EES9_.has_dyn_sized_stack, or(0, .L_ZL14no_device_codePKciS0_iS0_.has_dyn_sized_stack)
	.set _ZL13mul_mat_f_idsIfLi32ELi3ELi7EEvPKT_PKfPKiS6_S6_Pfiiiiiiiiiiiiii15HIP_vector_typeIjLj3EES9_.has_recursion, or(0, .L_ZL14no_device_codePKciS0_iS0_.has_recursion)
	.set _ZL13mul_mat_f_idsIfLi32ELi3ELi7EEvPKT_PKfPKiS6_S6_Pfiiiiiiiiiiiiii15HIP_vector_typeIjLj3EES9_.has_indirect_call, or(0, .L_ZL14no_device_codePKciS0_iS0_.has_indirect_call)
	.section	.AMDGPU.csdata,"",@progbits
; Kernel info:
; codeLenInByte = 76
; TotalNumSgprs: 40
; NumVgprs: 38
; NumAgprs: 0
; TotalNumVgprs: 38
; ScratchSize: 16
; MemoryBound: 0
; FloatMode: 240
; IeeeMode: 1
; LDSByteSize: 0 bytes/workgroup (compile time only)
; SGPRBlocks: 4
; VGPRBlocks: 4
; NumSGPRsForWavesPerEU: 40
; NumVGPRsForWavesPerEU: 38
; AccumOffset: 40
; Occupancy: 8
; WaveLimiterHint : 1
; COMPUTE_PGM_RSRC2:SCRATCH_EN: 1
; COMPUTE_PGM_RSRC2:USER_SGPR: 2
; COMPUTE_PGM_RSRC2:TRAP_HANDLER: 0
; COMPUTE_PGM_RSRC2:TGID_X_EN: 1
; COMPUTE_PGM_RSRC2:TGID_Y_EN: 0
; COMPUTE_PGM_RSRC2:TGID_Z_EN: 0
; COMPUTE_PGM_RSRC2:TIDIG_COMP_CNT: 0
; COMPUTE_PGM_RSRC3_GFX90A:ACCUM_OFFSET: 9
; COMPUTE_PGM_RSRC3_GFX90A:TG_SPLIT: 0
	.section	.text._ZL9mul_mat_fIfLi32ELi3ELi7ELb1EEvPKT_PKfPKiPfiiiiiiiiiiiiiiii,"axG",@progbits,_ZL9mul_mat_fIfLi32ELi3ELi7ELb1EEvPKT_PKfPKiPfiiiiiiiiiiiiiiii,comdat
	.globl	_ZL9mul_mat_fIfLi32ELi3ELi7ELb1EEvPKT_PKfPKiPfiiiiiiiiiiiiiiii ; -- Begin function _ZL9mul_mat_fIfLi32ELi3ELi7ELb1EEvPKT_PKfPKiPfiiiiiiiiiiiiiiii
	.p2align	8
	.type	_ZL9mul_mat_fIfLi32ELi3ELi7ELb1EEvPKT_PKfPKiPfiiiiiiiiiiiiiiii,@function
_ZL9mul_mat_fIfLi32ELi3ELi7ELb1EEvPKT_PKfPKiPfiiiiiiiiiiiiiiii: ; @_ZL9mul_mat_fIfLi32ELi3ELi7ELb1EEvPKT_PKfPKiPfiiiiiiiiiiiiiiii
; %bb.0:
	s_add_u32 s8, s0, 0x60
	s_addc_u32 s9, s1, 0
	s_getpc_b64 s[0:1]
	s_add_u32 s0, s0, __FUNCTION__._ZL9mul_mat_fIfLi32ELi3ELi1ELb1EEvPKT_PKfPKiPfiiiiiiiiiiiiiiii@rel32@lo+4
	s_addc_u32 s1, s1, __FUNCTION__._ZL9mul_mat_fIfLi32ELi3ELi1ELb1EEvPKT_PKfPKiPfiiiiiiiiiiiiiiii@rel32@hi+12
	s_getpc_b64 s[2:3]
	s_add_u32 s2, s2, _ZL14no_device_codePKciS0_iS0_@rel32@lo+4
	s_addc_u32 s3, s3, _ZL14no_device_codePKciS0_iS0_@rel32@hi+12
	v_mov_b32_e32 v0, 64
	v_mov_b32_e32 v1, s0
	;; [unrolled: 1-line block ×3, first 2 shown]
	s_mov_b32 s32, 0
	s_swappc_b64 s[30:31], s[2:3]
	.section	.rodata,"a",@progbits
	.p2align	6, 0x0
	.amdhsa_kernel _ZL9mul_mat_fIfLi32ELi3ELi7ELb1EEvPKT_PKfPKiPfiiiiiiiiiiiiiiii
		.amdhsa_group_segment_fixed_size 0
		.amdhsa_private_segment_fixed_size 16
		.amdhsa_kernarg_size 352
		.amdhsa_user_sgpr_count 2
		.amdhsa_user_sgpr_dispatch_ptr 0
		.amdhsa_user_sgpr_queue_ptr 0
		.amdhsa_user_sgpr_kernarg_segment_ptr 1
		.amdhsa_user_sgpr_dispatch_id 0
		.amdhsa_user_sgpr_kernarg_preload_length 0
		.amdhsa_user_sgpr_kernarg_preload_offset 0
		.amdhsa_user_sgpr_private_segment_size 0
		.amdhsa_uses_dynamic_stack 0
		.amdhsa_enable_private_segment 1
		.amdhsa_system_sgpr_workgroup_id_x 1
		.amdhsa_system_sgpr_workgroup_id_y 0
		.amdhsa_system_sgpr_workgroup_id_z 0
		.amdhsa_system_sgpr_workgroup_info 0
		.amdhsa_system_vgpr_workitem_id 0
		.amdhsa_next_free_vgpr 38
		.amdhsa_next_free_sgpr 34
		.amdhsa_accum_offset 40
		.amdhsa_reserve_vcc 1
		.amdhsa_float_round_mode_32 0
		.amdhsa_float_round_mode_16_64 0
		.amdhsa_float_denorm_mode_32 3
		.amdhsa_float_denorm_mode_16_64 3
		.amdhsa_dx10_clamp 1
		.amdhsa_ieee_mode 1
		.amdhsa_fp16_overflow 0
		.amdhsa_tg_split 0
		.amdhsa_exception_fp_ieee_invalid_op 0
		.amdhsa_exception_fp_denorm_src 0
		.amdhsa_exception_fp_ieee_div_zero 0
		.amdhsa_exception_fp_ieee_overflow 0
		.amdhsa_exception_fp_ieee_underflow 0
		.amdhsa_exception_fp_ieee_inexact 0
		.amdhsa_exception_int_div_zero 0
	.end_amdhsa_kernel
	.section	.text._ZL9mul_mat_fIfLi32ELi3ELi7ELb1EEvPKT_PKfPKiPfiiiiiiiiiiiiiiii,"axG",@progbits,_ZL9mul_mat_fIfLi32ELi3ELi7ELb1EEvPKT_PKfPKiPfiiiiiiiiiiiiiiii,comdat
.Lfunc_end22:
	.size	_ZL9mul_mat_fIfLi32ELi3ELi7ELb1EEvPKT_PKfPKiPfiiiiiiiiiiiiiiii, .Lfunc_end22-_ZL9mul_mat_fIfLi32ELi3ELi7ELb1EEvPKT_PKfPKiPfiiiiiiiiiiiiiiii
                                        ; -- End function
	.set _ZL9mul_mat_fIfLi32ELi3ELi7ELb1EEvPKT_PKfPKiPfiiiiiiiiiiiiiiii.num_vgpr, max(3, .L_ZL14no_device_codePKciS0_iS0_.num_vgpr)
	.set _ZL9mul_mat_fIfLi32ELi3ELi7ELb1EEvPKT_PKfPKiPfiiiiiiiiiiiiiiii.num_agpr, max(0, .L_ZL14no_device_codePKciS0_iS0_.num_agpr)
	.set _ZL9mul_mat_fIfLi32ELi3ELi7ELb1EEvPKT_PKfPKiPfiiiiiiiiiiiiiiii.numbered_sgpr, max(33, .L_ZL14no_device_codePKciS0_iS0_.numbered_sgpr)
	.set _ZL9mul_mat_fIfLi32ELi3ELi7ELb1EEvPKT_PKfPKiPfiiiiiiiiiiiiiiii.num_named_barrier, max(0, .L_ZL14no_device_codePKciS0_iS0_.num_named_barrier)
	.set _ZL9mul_mat_fIfLi32ELi3ELi7ELb1EEvPKT_PKfPKiPfiiiiiiiiiiiiiiii.private_seg_size, 0+max(.L_ZL14no_device_codePKciS0_iS0_.private_seg_size)
	.set _ZL9mul_mat_fIfLi32ELi3ELi7ELb1EEvPKT_PKfPKiPfiiiiiiiiiiiiiiii.uses_vcc, or(1, .L_ZL14no_device_codePKciS0_iS0_.uses_vcc)
	.set _ZL9mul_mat_fIfLi32ELi3ELi7ELb1EEvPKT_PKfPKiPfiiiiiiiiiiiiiiii.uses_flat_scratch, or(0, .L_ZL14no_device_codePKciS0_iS0_.uses_flat_scratch)
	.set _ZL9mul_mat_fIfLi32ELi3ELi7ELb1EEvPKT_PKfPKiPfiiiiiiiiiiiiiiii.has_dyn_sized_stack, or(0, .L_ZL14no_device_codePKciS0_iS0_.has_dyn_sized_stack)
	.set _ZL9mul_mat_fIfLi32ELi3ELi7ELb1EEvPKT_PKfPKiPfiiiiiiiiiiiiiiii.has_recursion, or(0, .L_ZL14no_device_codePKciS0_iS0_.has_recursion)
	.set _ZL9mul_mat_fIfLi32ELi3ELi7ELb1EEvPKT_PKfPKiPfiiiiiiiiiiiiiiii.has_indirect_call, or(0, .L_ZL14no_device_codePKciS0_iS0_.has_indirect_call)
	.section	.AMDGPU.csdata,"",@progbits
; Kernel info:
; codeLenInByte = 72
; TotalNumSgprs: 40
; NumVgprs: 38
; NumAgprs: 0
; TotalNumVgprs: 38
; ScratchSize: 16
; MemoryBound: 0
; FloatMode: 240
; IeeeMode: 1
; LDSByteSize: 0 bytes/workgroup (compile time only)
; SGPRBlocks: 4
; VGPRBlocks: 4
; NumSGPRsForWavesPerEU: 40
; NumVGPRsForWavesPerEU: 38
; AccumOffset: 40
; Occupancy: 8
; WaveLimiterHint : 1
; COMPUTE_PGM_RSRC2:SCRATCH_EN: 1
; COMPUTE_PGM_RSRC2:USER_SGPR: 2
; COMPUTE_PGM_RSRC2:TRAP_HANDLER: 0
; COMPUTE_PGM_RSRC2:TGID_X_EN: 1
; COMPUTE_PGM_RSRC2:TGID_Y_EN: 0
; COMPUTE_PGM_RSRC2:TGID_Z_EN: 0
; COMPUTE_PGM_RSRC2:TIDIG_COMP_CNT: 0
; COMPUTE_PGM_RSRC3_GFX90A:ACCUM_OFFSET: 9
; COMPUTE_PGM_RSRC3_GFX90A:TG_SPLIT: 0
	.section	.text._ZL9mul_mat_fIfLi32ELi3ELi7ELb0EEvPKT_PKfPKiPfiiiiiiiiiiiiiiii,"axG",@progbits,_ZL9mul_mat_fIfLi32ELi3ELi7ELb0EEvPKT_PKfPKiPfiiiiiiiiiiiiiiii,comdat
	.globl	_ZL9mul_mat_fIfLi32ELi3ELi7ELb0EEvPKT_PKfPKiPfiiiiiiiiiiiiiiii ; -- Begin function _ZL9mul_mat_fIfLi32ELi3ELi7ELb0EEvPKT_PKfPKiPfiiiiiiiiiiiiiiii
	.p2align	8
	.type	_ZL9mul_mat_fIfLi32ELi3ELi7ELb0EEvPKT_PKfPKiPfiiiiiiiiiiiiiiii,@function
_ZL9mul_mat_fIfLi32ELi3ELi7ELb0EEvPKT_PKfPKiPfiiiiiiiiiiiiiiii: ; @_ZL9mul_mat_fIfLi32ELi3ELi7ELb0EEvPKT_PKfPKiPfiiiiiiiiiiiiiiii
; %bb.0:
	s_add_u32 s8, s0, 0x60
	s_addc_u32 s9, s1, 0
	s_getpc_b64 s[0:1]
	s_add_u32 s0, s0, __FUNCTION__._ZL9mul_mat_fIfLi32ELi3ELi1ELb1EEvPKT_PKfPKiPfiiiiiiiiiiiiiiii@rel32@lo+4
	s_addc_u32 s1, s1, __FUNCTION__._ZL9mul_mat_fIfLi32ELi3ELi1ELb1EEvPKT_PKfPKiPfiiiiiiiiiiiiiiii@rel32@hi+12
	s_getpc_b64 s[2:3]
	s_add_u32 s2, s2, _ZL14no_device_codePKciS0_iS0_@rel32@lo+4
	s_addc_u32 s3, s3, _ZL14no_device_codePKciS0_iS0_@rel32@hi+12
	v_mov_b32_e32 v0, 64
	v_mov_b32_e32 v1, s0
	;; [unrolled: 1-line block ×3, first 2 shown]
	s_mov_b32 s32, 0
	s_swappc_b64 s[30:31], s[2:3]
	.section	.rodata,"a",@progbits
	.p2align	6, 0x0
	.amdhsa_kernel _ZL9mul_mat_fIfLi32ELi3ELi7ELb0EEvPKT_PKfPKiPfiiiiiiiiiiiiiiii
		.amdhsa_group_segment_fixed_size 0
		.amdhsa_private_segment_fixed_size 16
		.amdhsa_kernarg_size 352
		.amdhsa_user_sgpr_count 2
		.amdhsa_user_sgpr_dispatch_ptr 0
		.amdhsa_user_sgpr_queue_ptr 0
		.amdhsa_user_sgpr_kernarg_segment_ptr 1
		.amdhsa_user_sgpr_dispatch_id 0
		.amdhsa_user_sgpr_kernarg_preload_length 0
		.amdhsa_user_sgpr_kernarg_preload_offset 0
		.amdhsa_user_sgpr_private_segment_size 0
		.amdhsa_uses_dynamic_stack 0
		.amdhsa_enable_private_segment 1
		.amdhsa_system_sgpr_workgroup_id_x 1
		.amdhsa_system_sgpr_workgroup_id_y 0
		.amdhsa_system_sgpr_workgroup_id_z 0
		.amdhsa_system_sgpr_workgroup_info 0
		.amdhsa_system_vgpr_workitem_id 0
		.amdhsa_next_free_vgpr 38
		.amdhsa_next_free_sgpr 34
		.amdhsa_accum_offset 40
		.amdhsa_reserve_vcc 1
		.amdhsa_float_round_mode_32 0
		.amdhsa_float_round_mode_16_64 0
		.amdhsa_float_denorm_mode_32 3
		.amdhsa_float_denorm_mode_16_64 3
		.amdhsa_dx10_clamp 1
		.amdhsa_ieee_mode 1
		.amdhsa_fp16_overflow 0
		.amdhsa_tg_split 0
		.amdhsa_exception_fp_ieee_invalid_op 0
		.amdhsa_exception_fp_denorm_src 0
		.amdhsa_exception_fp_ieee_div_zero 0
		.amdhsa_exception_fp_ieee_overflow 0
		.amdhsa_exception_fp_ieee_underflow 0
		.amdhsa_exception_fp_ieee_inexact 0
		.amdhsa_exception_int_div_zero 0
	.end_amdhsa_kernel
	.section	.text._ZL9mul_mat_fIfLi32ELi3ELi7ELb0EEvPKT_PKfPKiPfiiiiiiiiiiiiiiii,"axG",@progbits,_ZL9mul_mat_fIfLi32ELi3ELi7ELb0EEvPKT_PKfPKiPfiiiiiiiiiiiiiiii,comdat
.Lfunc_end23:
	.size	_ZL9mul_mat_fIfLi32ELi3ELi7ELb0EEvPKT_PKfPKiPfiiiiiiiiiiiiiiii, .Lfunc_end23-_ZL9mul_mat_fIfLi32ELi3ELi7ELb0EEvPKT_PKfPKiPfiiiiiiiiiiiiiiii
                                        ; -- End function
	.set _ZL9mul_mat_fIfLi32ELi3ELi7ELb0EEvPKT_PKfPKiPfiiiiiiiiiiiiiiii.num_vgpr, max(3, .L_ZL14no_device_codePKciS0_iS0_.num_vgpr)
	.set _ZL9mul_mat_fIfLi32ELi3ELi7ELb0EEvPKT_PKfPKiPfiiiiiiiiiiiiiiii.num_agpr, max(0, .L_ZL14no_device_codePKciS0_iS0_.num_agpr)
	.set _ZL9mul_mat_fIfLi32ELi3ELi7ELb0EEvPKT_PKfPKiPfiiiiiiiiiiiiiiii.numbered_sgpr, max(33, .L_ZL14no_device_codePKciS0_iS0_.numbered_sgpr)
	.set _ZL9mul_mat_fIfLi32ELi3ELi7ELb0EEvPKT_PKfPKiPfiiiiiiiiiiiiiiii.num_named_barrier, max(0, .L_ZL14no_device_codePKciS0_iS0_.num_named_barrier)
	.set _ZL9mul_mat_fIfLi32ELi3ELi7ELb0EEvPKT_PKfPKiPfiiiiiiiiiiiiiiii.private_seg_size, 0+max(.L_ZL14no_device_codePKciS0_iS0_.private_seg_size)
	.set _ZL9mul_mat_fIfLi32ELi3ELi7ELb0EEvPKT_PKfPKiPfiiiiiiiiiiiiiiii.uses_vcc, or(1, .L_ZL14no_device_codePKciS0_iS0_.uses_vcc)
	.set _ZL9mul_mat_fIfLi32ELi3ELi7ELb0EEvPKT_PKfPKiPfiiiiiiiiiiiiiiii.uses_flat_scratch, or(0, .L_ZL14no_device_codePKciS0_iS0_.uses_flat_scratch)
	.set _ZL9mul_mat_fIfLi32ELi3ELi7ELb0EEvPKT_PKfPKiPfiiiiiiiiiiiiiiii.has_dyn_sized_stack, or(0, .L_ZL14no_device_codePKciS0_iS0_.has_dyn_sized_stack)
	.set _ZL9mul_mat_fIfLi32ELi3ELi7ELb0EEvPKT_PKfPKiPfiiiiiiiiiiiiiiii.has_recursion, or(0, .L_ZL14no_device_codePKciS0_iS0_.has_recursion)
	.set _ZL9mul_mat_fIfLi32ELi3ELi7ELb0EEvPKT_PKfPKiPfiiiiiiiiiiiiiiii.has_indirect_call, or(0, .L_ZL14no_device_codePKciS0_iS0_.has_indirect_call)
	.section	.AMDGPU.csdata,"",@progbits
; Kernel info:
; codeLenInByte = 72
; TotalNumSgprs: 40
; NumVgprs: 38
; NumAgprs: 0
; TotalNumVgprs: 38
; ScratchSize: 16
; MemoryBound: 0
; FloatMode: 240
; IeeeMode: 1
; LDSByteSize: 0 bytes/workgroup (compile time only)
; SGPRBlocks: 4
; VGPRBlocks: 4
; NumSGPRsForWavesPerEU: 40
; NumVGPRsForWavesPerEU: 38
; AccumOffset: 40
; Occupancy: 8
; WaveLimiterHint : 1
; COMPUTE_PGM_RSRC2:SCRATCH_EN: 1
; COMPUTE_PGM_RSRC2:USER_SGPR: 2
; COMPUTE_PGM_RSRC2:TRAP_HANDLER: 0
; COMPUTE_PGM_RSRC2:TGID_X_EN: 1
; COMPUTE_PGM_RSRC2:TGID_Y_EN: 0
; COMPUTE_PGM_RSRC2:TGID_Z_EN: 0
; COMPUTE_PGM_RSRC2:TIDIG_COMP_CNT: 0
; COMPUTE_PGM_RSRC3_GFX90A:ACCUM_OFFSET: 9
; COMPUTE_PGM_RSRC3_GFX90A:TG_SPLIT: 0
	.section	.text._ZL13mul_mat_f_idsIfLi32ELi3ELi8EEvPKT_PKfPKiS6_S6_Pfiiiiiiiiiiiiii15HIP_vector_typeIjLj3EES9_,"axG",@progbits,_ZL13mul_mat_f_idsIfLi32ELi3ELi8EEvPKT_PKfPKiS6_S6_Pfiiiiiiiiiiiiii15HIP_vector_typeIjLj3EES9_,comdat
	.globl	_ZL13mul_mat_f_idsIfLi32ELi3ELi8EEvPKT_PKfPKiS6_S6_Pfiiiiiiiiiiiiii15HIP_vector_typeIjLj3EES9_ ; -- Begin function _ZL13mul_mat_f_idsIfLi32ELi3ELi8EEvPKT_PKfPKiS6_S6_Pfiiiiiiiiiiiiii15HIP_vector_typeIjLj3EES9_
	.p2align	8
	.type	_ZL13mul_mat_f_idsIfLi32ELi3ELi8EEvPKT_PKfPKiS6_S6_Pfiiiiiiiiiiiiii15HIP_vector_typeIjLj3EES9_,@function
_ZL13mul_mat_f_idsIfLi32ELi3ELi8EEvPKT_PKfPKiS6_S6_Pfiiiiiiiiiiiiii15HIP_vector_typeIjLj3EES9_: ; @_ZL13mul_mat_f_idsIfLi32ELi3ELi8EEvPKT_PKfPKiS6_S6_Pfiiiiiiiiiiiiii15HIP_vector_typeIjLj3EES9_
; %bb.0:
	s_add_u32 s8, s0, 0x80
	s_addc_u32 s9, s1, 0
	s_getpc_b64 s[0:1]
	s_add_u32 s0, s0, __FUNCTION__._ZL13mul_mat_f_idsIfLi32ELi3ELi1EEvPKT_PKfPKiS6_S6_Pfiiiiiiiiiiiiii15HIP_vector_typeIjLj3EES9_@rel32@lo+4
	s_addc_u32 s1, s1, __FUNCTION__._ZL13mul_mat_f_idsIfLi32ELi3ELi1EEvPKT_PKfPKiS6_S6_Pfiiiiiiiiiiiiii15HIP_vector_typeIjLj3EES9_@rel32@hi+12
	s_getpc_b64 s[2:3]
	s_add_u32 s2, s2, _ZL14no_device_codePKciS0_iS0_@rel32@lo+4
	s_addc_u32 s3, s3, _ZL14no_device_codePKciS0_iS0_@rel32@hi+12
	v_mov_b32_e32 v0, 0x13b
	v_mov_b32_e32 v1, s0
	v_mov_b32_e32 v2, s1
	s_mov_b32 s32, 0
	s_swappc_b64 s[30:31], s[2:3]
	.section	.rodata,"a",@progbits
	.p2align	6, 0x0
	.amdhsa_kernel _ZL13mul_mat_f_idsIfLi32ELi3ELi8EEvPKT_PKfPKiS6_S6_Pfiiiiiiiiiiiiii15HIP_vector_typeIjLj3EES9_
		.amdhsa_group_segment_fixed_size 0
		.amdhsa_private_segment_fixed_size 16
		.amdhsa_kernarg_size 384
		.amdhsa_user_sgpr_count 2
		.amdhsa_user_sgpr_dispatch_ptr 0
		.amdhsa_user_sgpr_queue_ptr 0
		.amdhsa_user_sgpr_kernarg_segment_ptr 1
		.amdhsa_user_sgpr_dispatch_id 0
		.amdhsa_user_sgpr_kernarg_preload_length 0
		.amdhsa_user_sgpr_kernarg_preload_offset 0
		.amdhsa_user_sgpr_private_segment_size 0
		.amdhsa_uses_dynamic_stack 0
		.amdhsa_enable_private_segment 1
		.amdhsa_system_sgpr_workgroup_id_x 1
		.amdhsa_system_sgpr_workgroup_id_y 0
		.amdhsa_system_sgpr_workgroup_id_z 0
		.amdhsa_system_sgpr_workgroup_info 0
		.amdhsa_system_vgpr_workitem_id 0
		.amdhsa_next_free_vgpr 38
		.amdhsa_next_free_sgpr 34
		.amdhsa_accum_offset 40
		.amdhsa_reserve_vcc 1
		.amdhsa_float_round_mode_32 0
		.amdhsa_float_round_mode_16_64 0
		.amdhsa_float_denorm_mode_32 3
		.amdhsa_float_denorm_mode_16_64 3
		.amdhsa_dx10_clamp 1
		.amdhsa_ieee_mode 1
		.amdhsa_fp16_overflow 0
		.amdhsa_tg_split 0
		.amdhsa_exception_fp_ieee_invalid_op 0
		.amdhsa_exception_fp_denorm_src 0
		.amdhsa_exception_fp_ieee_div_zero 0
		.amdhsa_exception_fp_ieee_overflow 0
		.amdhsa_exception_fp_ieee_underflow 0
		.amdhsa_exception_fp_ieee_inexact 0
		.amdhsa_exception_int_div_zero 0
	.end_amdhsa_kernel
	.section	.text._ZL13mul_mat_f_idsIfLi32ELi3ELi8EEvPKT_PKfPKiS6_S6_Pfiiiiiiiiiiiiii15HIP_vector_typeIjLj3EES9_,"axG",@progbits,_ZL13mul_mat_f_idsIfLi32ELi3ELi8EEvPKT_PKfPKiS6_S6_Pfiiiiiiiiiiiiii15HIP_vector_typeIjLj3EES9_,comdat
.Lfunc_end24:
	.size	_ZL13mul_mat_f_idsIfLi32ELi3ELi8EEvPKT_PKfPKiS6_S6_Pfiiiiiiiiiiiiii15HIP_vector_typeIjLj3EES9_, .Lfunc_end24-_ZL13mul_mat_f_idsIfLi32ELi3ELi8EEvPKT_PKfPKiS6_S6_Pfiiiiiiiiiiiiii15HIP_vector_typeIjLj3EES9_
                                        ; -- End function
	.set _ZL13mul_mat_f_idsIfLi32ELi3ELi8EEvPKT_PKfPKiS6_S6_Pfiiiiiiiiiiiiii15HIP_vector_typeIjLj3EES9_.num_vgpr, max(3, .L_ZL14no_device_codePKciS0_iS0_.num_vgpr)
	.set _ZL13mul_mat_f_idsIfLi32ELi3ELi8EEvPKT_PKfPKiS6_S6_Pfiiiiiiiiiiiiii15HIP_vector_typeIjLj3EES9_.num_agpr, max(0, .L_ZL14no_device_codePKciS0_iS0_.num_agpr)
	.set _ZL13mul_mat_f_idsIfLi32ELi3ELi8EEvPKT_PKfPKiS6_S6_Pfiiiiiiiiiiiiii15HIP_vector_typeIjLj3EES9_.numbered_sgpr, max(33, .L_ZL14no_device_codePKciS0_iS0_.numbered_sgpr)
	.set _ZL13mul_mat_f_idsIfLi32ELi3ELi8EEvPKT_PKfPKiS6_S6_Pfiiiiiiiiiiiiii15HIP_vector_typeIjLj3EES9_.num_named_barrier, max(0, .L_ZL14no_device_codePKciS0_iS0_.num_named_barrier)
	.set _ZL13mul_mat_f_idsIfLi32ELi3ELi8EEvPKT_PKfPKiS6_S6_Pfiiiiiiiiiiiiii15HIP_vector_typeIjLj3EES9_.private_seg_size, 0+max(.L_ZL14no_device_codePKciS0_iS0_.private_seg_size)
	.set _ZL13mul_mat_f_idsIfLi32ELi3ELi8EEvPKT_PKfPKiS6_S6_Pfiiiiiiiiiiiiii15HIP_vector_typeIjLj3EES9_.uses_vcc, or(1, .L_ZL14no_device_codePKciS0_iS0_.uses_vcc)
	.set _ZL13mul_mat_f_idsIfLi32ELi3ELi8EEvPKT_PKfPKiS6_S6_Pfiiiiiiiiiiiiii15HIP_vector_typeIjLj3EES9_.uses_flat_scratch, or(0, .L_ZL14no_device_codePKciS0_iS0_.uses_flat_scratch)
	.set _ZL13mul_mat_f_idsIfLi32ELi3ELi8EEvPKT_PKfPKiS6_S6_Pfiiiiiiiiiiiiii15HIP_vector_typeIjLj3EES9_.has_dyn_sized_stack, or(0, .L_ZL14no_device_codePKciS0_iS0_.has_dyn_sized_stack)
	.set _ZL13mul_mat_f_idsIfLi32ELi3ELi8EEvPKT_PKfPKiS6_S6_Pfiiiiiiiiiiiiii15HIP_vector_typeIjLj3EES9_.has_recursion, or(0, .L_ZL14no_device_codePKciS0_iS0_.has_recursion)
	.set _ZL13mul_mat_f_idsIfLi32ELi3ELi8EEvPKT_PKfPKiS6_S6_Pfiiiiiiiiiiiiii15HIP_vector_typeIjLj3EES9_.has_indirect_call, or(0, .L_ZL14no_device_codePKciS0_iS0_.has_indirect_call)
	.section	.AMDGPU.csdata,"",@progbits
; Kernel info:
; codeLenInByte = 76
; TotalNumSgprs: 40
; NumVgprs: 38
; NumAgprs: 0
; TotalNumVgprs: 38
; ScratchSize: 16
; MemoryBound: 0
; FloatMode: 240
; IeeeMode: 1
; LDSByteSize: 0 bytes/workgroup (compile time only)
; SGPRBlocks: 4
; VGPRBlocks: 4
; NumSGPRsForWavesPerEU: 40
; NumVGPRsForWavesPerEU: 38
; AccumOffset: 40
; Occupancy: 8
; WaveLimiterHint : 1
; COMPUTE_PGM_RSRC2:SCRATCH_EN: 1
; COMPUTE_PGM_RSRC2:USER_SGPR: 2
; COMPUTE_PGM_RSRC2:TRAP_HANDLER: 0
; COMPUTE_PGM_RSRC2:TGID_X_EN: 1
; COMPUTE_PGM_RSRC2:TGID_Y_EN: 0
; COMPUTE_PGM_RSRC2:TGID_Z_EN: 0
; COMPUTE_PGM_RSRC2:TIDIG_COMP_CNT: 0
; COMPUTE_PGM_RSRC3_GFX90A:ACCUM_OFFSET: 9
; COMPUTE_PGM_RSRC3_GFX90A:TG_SPLIT: 0
	.section	.text._ZL9mul_mat_fIfLi32ELi3ELi8ELb1EEvPKT_PKfPKiPfiiiiiiiiiiiiiiii,"axG",@progbits,_ZL9mul_mat_fIfLi32ELi3ELi8ELb1EEvPKT_PKfPKiPfiiiiiiiiiiiiiiii,comdat
	.globl	_ZL9mul_mat_fIfLi32ELi3ELi8ELb1EEvPKT_PKfPKiPfiiiiiiiiiiiiiiii ; -- Begin function _ZL9mul_mat_fIfLi32ELi3ELi8ELb1EEvPKT_PKfPKiPfiiiiiiiiiiiiiiii
	.p2align	8
	.type	_ZL9mul_mat_fIfLi32ELi3ELi8ELb1EEvPKT_PKfPKiPfiiiiiiiiiiiiiiii,@function
_ZL9mul_mat_fIfLi32ELi3ELi8ELb1EEvPKT_PKfPKiPfiiiiiiiiiiiiiiii: ; @_ZL9mul_mat_fIfLi32ELi3ELi8ELb1EEvPKT_PKfPKiPfiiiiiiiiiiiiiiii
; %bb.0:
	s_add_u32 s8, s0, 0x60
	s_addc_u32 s9, s1, 0
	s_getpc_b64 s[0:1]
	s_add_u32 s0, s0, __FUNCTION__._ZL9mul_mat_fIfLi32ELi3ELi1ELb1EEvPKT_PKfPKiPfiiiiiiiiiiiiiiii@rel32@lo+4
	s_addc_u32 s1, s1, __FUNCTION__._ZL9mul_mat_fIfLi32ELi3ELi1ELb1EEvPKT_PKfPKiPfiiiiiiiiiiiiiiii@rel32@hi+12
	s_getpc_b64 s[2:3]
	s_add_u32 s2, s2, _ZL14no_device_codePKciS0_iS0_@rel32@lo+4
	s_addc_u32 s3, s3, _ZL14no_device_codePKciS0_iS0_@rel32@hi+12
	v_mov_b32_e32 v0, 64
	v_mov_b32_e32 v1, s0
	v_mov_b32_e32 v2, s1
	s_mov_b32 s32, 0
	s_swappc_b64 s[30:31], s[2:3]
	.section	.rodata,"a",@progbits
	.p2align	6, 0x0
	.amdhsa_kernel _ZL9mul_mat_fIfLi32ELi3ELi8ELb1EEvPKT_PKfPKiPfiiiiiiiiiiiiiiii
		.amdhsa_group_segment_fixed_size 0
		.amdhsa_private_segment_fixed_size 16
		.amdhsa_kernarg_size 352
		.amdhsa_user_sgpr_count 2
		.amdhsa_user_sgpr_dispatch_ptr 0
		.amdhsa_user_sgpr_queue_ptr 0
		.amdhsa_user_sgpr_kernarg_segment_ptr 1
		.amdhsa_user_sgpr_dispatch_id 0
		.amdhsa_user_sgpr_kernarg_preload_length 0
		.amdhsa_user_sgpr_kernarg_preload_offset 0
		.amdhsa_user_sgpr_private_segment_size 0
		.amdhsa_uses_dynamic_stack 0
		.amdhsa_enable_private_segment 1
		.amdhsa_system_sgpr_workgroup_id_x 1
		.amdhsa_system_sgpr_workgroup_id_y 0
		.amdhsa_system_sgpr_workgroup_id_z 0
		.amdhsa_system_sgpr_workgroup_info 0
		.amdhsa_system_vgpr_workitem_id 0
		.amdhsa_next_free_vgpr 38
		.amdhsa_next_free_sgpr 34
		.amdhsa_accum_offset 40
		.amdhsa_reserve_vcc 1
		.amdhsa_float_round_mode_32 0
		.amdhsa_float_round_mode_16_64 0
		.amdhsa_float_denorm_mode_32 3
		.amdhsa_float_denorm_mode_16_64 3
		.amdhsa_dx10_clamp 1
		.amdhsa_ieee_mode 1
		.amdhsa_fp16_overflow 0
		.amdhsa_tg_split 0
		.amdhsa_exception_fp_ieee_invalid_op 0
		.amdhsa_exception_fp_denorm_src 0
		.amdhsa_exception_fp_ieee_div_zero 0
		.amdhsa_exception_fp_ieee_overflow 0
		.amdhsa_exception_fp_ieee_underflow 0
		.amdhsa_exception_fp_ieee_inexact 0
		.amdhsa_exception_int_div_zero 0
	.end_amdhsa_kernel
	.section	.text._ZL9mul_mat_fIfLi32ELi3ELi8ELb1EEvPKT_PKfPKiPfiiiiiiiiiiiiiiii,"axG",@progbits,_ZL9mul_mat_fIfLi32ELi3ELi8ELb1EEvPKT_PKfPKiPfiiiiiiiiiiiiiiii,comdat
.Lfunc_end25:
	.size	_ZL9mul_mat_fIfLi32ELi3ELi8ELb1EEvPKT_PKfPKiPfiiiiiiiiiiiiiiii, .Lfunc_end25-_ZL9mul_mat_fIfLi32ELi3ELi8ELb1EEvPKT_PKfPKiPfiiiiiiiiiiiiiiii
                                        ; -- End function
	.set _ZL9mul_mat_fIfLi32ELi3ELi8ELb1EEvPKT_PKfPKiPfiiiiiiiiiiiiiiii.num_vgpr, max(3, .L_ZL14no_device_codePKciS0_iS0_.num_vgpr)
	.set _ZL9mul_mat_fIfLi32ELi3ELi8ELb1EEvPKT_PKfPKiPfiiiiiiiiiiiiiiii.num_agpr, max(0, .L_ZL14no_device_codePKciS0_iS0_.num_agpr)
	.set _ZL9mul_mat_fIfLi32ELi3ELi8ELb1EEvPKT_PKfPKiPfiiiiiiiiiiiiiiii.numbered_sgpr, max(33, .L_ZL14no_device_codePKciS0_iS0_.numbered_sgpr)
	.set _ZL9mul_mat_fIfLi32ELi3ELi8ELb1EEvPKT_PKfPKiPfiiiiiiiiiiiiiiii.num_named_barrier, max(0, .L_ZL14no_device_codePKciS0_iS0_.num_named_barrier)
	.set _ZL9mul_mat_fIfLi32ELi3ELi8ELb1EEvPKT_PKfPKiPfiiiiiiiiiiiiiiii.private_seg_size, 0+max(.L_ZL14no_device_codePKciS0_iS0_.private_seg_size)
	.set _ZL9mul_mat_fIfLi32ELi3ELi8ELb1EEvPKT_PKfPKiPfiiiiiiiiiiiiiiii.uses_vcc, or(1, .L_ZL14no_device_codePKciS0_iS0_.uses_vcc)
	.set _ZL9mul_mat_fIfLi32ELi3ELi8ELb1EEvPKT_PKfPKiPfiiiiiiiiiiiiiiii.uses_flat_scratch, or(0, .L_ZL14no_device_codePKciS0_iS0_.uses_flat_scratch)
	.set _ZL9mul_mat_fIfLi32ELi3ELi8ELb1EEvPKT_PKfPKiPfiiiiiiiiiiiiiiii.has_dyn_sized_stack, or(0, .L_ZL14no_device_codePKciS0_iS0_.has_dyn_sized_stack)
	.set _ZL9mul_mat_fIfLi32ELi3ELi8ELb1EEvPKT_PKfPKiPfiiiiiiiiiiiiiiii.has_recursion, or(0, .L_ZL14no_device_codePKciS0_iS0_.has_recursion)
	.set _ZL9mul_mat_fIfLi32ELi3ELi8ELb1EEvPKT_PKfPKiPfiiiiiiiiiiiiiiii.has_indirect_call, or(0, .L_ZL14no_device_codePKciS0_iS0_.has_indirect_call)
	.section	.AMDGPU.csdata,"",@progbits
; Kernel info:
; codeLenInByte = 72
; TotalNumSgprs: 40
; NumVgprs: 38
; NumAgprs: 0
; TotalNumVgprs: 38
; ScratchSize: 16
; MemoryBound: 0
; FloatMode: 240
; IeeeMode: 1
; LDSByteSize: 0 bytes/workgroup (compile time only)
; SGPRBlocks: 4
; VGPRBlocks: 4
; NumSGPRsForWavesPerEU: 40
; NumVGPRsForWavesPerEU: 38
; AccumOffset: 40
; Occupancy: 8
; WaveLimiterHint : 1
; COMPUTE_PGM_RSRC2:SCRATCH_EN: 1
; COMPUTE_PGM_RSRC2:USER_SGPR: 2
; COMPUTE_PGM_RSRC2:TRAP_HANDLER: 0
; COMPUTE_PGM_RSRC2:TGID_X_EN: 1
; COMPUTE_PGM_RSRC2:TGID_Y_EN: 0
; COMPUTE_PGM_RSRC2:TGID_Z_EN: 0
; COMPUTE_PGM_RSRC2:TIDIG_COMP_CNT: 0
; COMPUTE_PGM_RSRC3_GFX90A:ACCUM_OFFSET: 9
; COMPUTE_PGM_RSRC3_GFX90A:TG_SPLIT: 0
	.section	.text._ZL9mul_mat_fIfLi32ELi3ELi8ELb0EEvPKT_PKfPKiPfiiiiiiiiiiiiiiii,"axG",@progbits,_ZL9mul_mat_fIfLi32ELi3ELi8ELb0EEvPKT_PKfPKiPfiiiiiiiiiiiiiiii,comdat
	.globl	_ZL9mul_mat_fIfLi32ELi3ELi8ELb0EEvPKT_PKfPKiPfiiiiiiiiiiiiiiii ; -- Begin function _ZL9mul_mat_fIfLi32ELi3ELi8ELb0EEvPKT_PKfPKiPfiiiiiiiiiiiiiiii
	.p2align	8
	.type	_ZL9mul_mat_fIfLi32ELi3ELi8ELb0EEvPKT_PKfPKiPfiiiiiiiiiiiiiiii,@function
_ZL9mul_mat_fIfLi32ELi3ELi8ELb0EEvPKT_PKfPKiPfiiiiiiiiiiiiiiii: ; @_ZL9mul_mat_fIfLi32ELi3ELi8ELb0EEvPKT_PKfPKiPfiiiiiiiiiiiiiiii
; %bb.0:
	s_add_u32 s8, s0, 0x60
	s_addc_u32 s9, s1, 0
	s_getpc_b64 s[0:1]
	s_add_u32 s0, s0, __FUNCTION__._ZL9mul_mat_fIfLi32ELi3ELi1ELb1EEvPKT_PKfPKiPfiiiiiiiiiiiiiiii@rel32@lo+4
	s_addc_u32 s1, s1, __FUNCTION__._ZL9mul_mat_fIfLi32ELi3ELi1ELb1EEvPKT_PKfPKiPfiiiiiiiiiiiiiiii@rel32@hi+12
	s_getpc_b64 s[2:3]
	s_add_u32 s2, s2, _ZL14no_device_codePKciS0_iS0_@rel32@lo+4
	s_addc_u32 s3, s3, _ZL14no_device_codePKciS0_iS0_@rel32@hi+12
	v_mov_b32_e32 v0, 64
	v_mov_b32_e32 v1, s0
	;; [unrolled: 1-line block ×3, first 2 shown]
	s_mov_b32 s32, 0
	s_swappc_b64 s[30:31], s[2:3]
	.section	.rodata,"a",@progbits
	.p2align	6, 0x0
	.amdhsa_kernel _ZL9mul_mat_fIfLi32ELi3ELi8ELb0EEvPKT_PKfPKiPfiiiiiiiiiiiiiiii
		.amdhsa_group_segment_fixed_size 0
		.amdhsa_private_segment_fixed_size 16
		.amdhsa_kernarg_size 352
		.amdhsa_user_sgpr_count 2
		.amdhsa_user_sgpr_dispatch_ptr 0
		.amdhsa_user_sgpr_queue_ptr 0
		.amdhsa_user_sgpr_kernarg_segment_ptr 1
		.amdhsa_user_sgpr_dispatch_id 0
		.amdhsa_user_sgpr_kernarg_preload_length 0
		.amdhsa_user_sgpr_kernarg_preload_offset 0
		.amdhsa_user_sgpr_private_segment_size 0
		.amdhsa_uses_dynamic_stack 0
		.amdhsa_enable_private_segment 1
		.amdhsa_system_sgpr_workgroup_id_x 1
		.amdhsa_system_sgpr_workgroup_id_y 0
		.amdhsa_system_sgpr_workgroup_id_z 0
		.amdhsa_system_sgpr_workgroup_info 0
		.amdhsa_system_vgpr_workitem_id 0
		.amdhsa_next_free_vgpr 38
		.amdhsa_next_free_sgpr 34
		.amdhsa_accum_offset 40
		.amdhsa_reserve_vcc 1
		.amdhsa_float_round_mode_32 0
		.amdhsa_float_round_mode_16_64 0
		.amdhsa_float_denorm_mode_32 3
		.amdhsa_float_denorm_mode_16_64 3
		.amdhsa_dx10_clamp 1
		.amdhsa_ieee_mode 1
		.amdhsa_fp16_overflow 0
		.amdhsa_tg_split 0
		.amdhsa_exception_fp_ieee_invalid_op 0
		.amdhsa_exception_fp_denorm_src 0
		.amdhsa_exception_fp_ieee_div_zero 0
		.amdhsa_exception_fp_ieee_overflow 0
		.amdhsa_exception_fp_ieee_underflow 0
		.amdhsa_exception_fp_ieee_inexact 0
		.amdhsa_exception_int_div_zero 0
	.end_amdhsa_kernel
	.section	.text._ZL9mul_mat_fIfLi32ELi3ELi8ELb0EEvPKT_PKfPKiPfiiiiiiiiiiiiiiii,"axG",@progbits,_ZL9mul_mat_fIfLi32ELi3ELi8ELb0EEvPKT_PKfPKiPfiiiiiiiiiiiiiiii,comdat
.Lfunc_end26:
	.size	_ZL9mul_mat_fIfLi32ELi3ELi8ELb0EEvPKT_PKfPKiPfiiiiiiiiiiiiiiii, .Lfunc_end26-_ZL9mul_mat_fIfLi32ELi3ELi8ELb0EEvPKT_PKfPKiPfiiiiiiiiiiiiiiii
                                        ; -- End function
	.set _ZL9mul_mat_fIfLi32ELi3ELi8ELb0EEvPKT_PKfPKiPfiiiiiiiiiiiiiiii.num_vgpr, max(3, .L_ZL14no_device_codePKciS0_iS0_.num_vgpr)
	.set _ZL9mul_mat_fIfLi32ELi3ELi8ELb0EEvPKT_PKfPKiPfiiiiiiiiiiiiiiii.num_agpr, max(0, .L_ZL14no_device_codePKciS0_iS0_.num_agpr)
	.set _ZL9mul_mat_fIfLi32ELi3ELi8ELb0EEvPKT_PKfPKiPfiiiiiiiiiiiiiiii.numbered_sgpr, max(33, .L_ZL14no_device_codePKciS0_iS0_.numbered_sgpr)
	.set _ZL9mul_mat_fIfLi32ELi3ELi8ELb0EEvPKT_PKfPKiPfiiiiiiiiiiiiiiii.num_named_barrier, max(0, .L_ZL14no_device_codePKciS0_iS0_.num_named_barrier)
	.set _ZL9mul_mat_fIfLi32ELi3ELi8ELb0EEvPKT_PKfPKiPfiiiiiiiiiiiiiiii.private_seg_size, 0+max(.L_ZL14no_device_codePKciS0_iS0_.private_seg_size)
	.set _ZL9mul_mat_fIfLi32ELi3ELi8ELb0EEvPKT_PKfPKiPfiiiiiiiiiiiiiiii.uses_vcc, or(1, .L_ZL14no_device_codePKciS0_iS0_.uses_vcc)
	.set _ZL9mul_mat_fIfLi32ELi3ELi8ELb0EEvPKT_PKfPKiPfiiiiiiiiiiiiiiii.uses_flat_scratch, or(0, .L_ZL14no_device_codePKciS0_iS0_.uses_flat_scratch)
	.set _ZL9mul_mat_fIfLi32ELi3ELi8ELb0EEvPKT_PKfPKiPfiiiiiiiiiiiiiiii.has_dyn_sized_stack, or(0, .L_ZL14no_device_codePKciS0_iS0_.has_dyn_sized_stack)
	.set _ZL9mul_mat_fIfLi32ELi3ELi8ELb0EEvPKT_PKfPKiPfiiiiiiiiiiiiiiii.has_recursion, or(0, .L_ZL14no_device_codePKciS0_iS0_.has_recursion)
	.set _ZL9mul_mat_fIfLi32ELi3ELi8ELb0EEvPKT_PKfPKiPfiiiiiiiiiiiiiiii.has_indirect_call, or(0, .L_ZL14no_device_codePKciS0_iS0_.has_indirect_call)
	.section	.AMDGPU.csdata,"",@progbits
; Kernel info:
; codeLenInByte = 72
; TotalNumSgprs: 40
; NumVgprs: 38
; NumAgprs: 0
; TotalNumVgprs: 38
; ScratchSize: 16
; MemoryBound: 0
; FloatMode: 240
; IeeeMode: 1
; LDSByteSize: 0 bytes/workgroup (compile time only)
; SGPRBlocks: 4
; VGPRBlocks: 4
; NumSGPRsForWavesPerEU: 40
; NumVGPRsForWavesPerEU: 38
; AccumOffset: 40
; Occupancy: 8
; WaveLimiterHint : 1
; COMPUTE_PGM_RSRC2:SCRATCH_EN: 1
; COMPUTE_PGM_RSRC2:USER_SGPR: 2
; COMPUTE_PGM_RSRC2:TRAP_HANDLER: 0
; COMPUTE_PGM_RSRC2:TGID_X_EN: 1
; COMPUTE_PGM_RSRC2:TGID_Y_EN: 0
; COMPUTE_PGM_RSRC2:TGID_Z_EN: 0
; COMPUTE_PGM_RSRC2:TIDIG_COMP_CNT: 0
; COMPUTE_PGM_RSRC3_GFX90A:ACCUM_OFFSET: 9
; COMPUTE_PGM_RSRC3_GFX90A:TG_SPLIT: 0
	.section	.text._ZL13mul_mat_f_idsI7__half2Li32ELi3ELi1EEvPKT_PKfPKiS7_S7_Pfiiiiiiiiiiiiii15HIP_vector_typeIjLj3EESA_,"axG",@progbits,_ZL13mul_mat_f_idsI7__half2Li32ELi3ELi1EEvPKT_PKfPKiS7_S7_Pfiiiiiiiiiiiiii15HIP_vector_typeIjLj3EESA_,comdat
	.globl	_ZL13mul_mat_f_idsI7__half2Li32ELi3ELi1EEvPKT_PKfPKiS7_S7_Pfiiiiiiiiiiiiii15HIP_vector_typeIjLj3EESA_ ; -- Begin function _ZL13mul_mat_f_idsI7__half2Li32ELi3ELi1EEvPKT_PKfPKiS7_S7_Pfiiiiiiiiiiiiii15HIP_vector_typeIjLj3EESA_
	.p2align	8
	.type	_ZL13mul_mat_f_idsI7__half2Li32ELi3ELi1EEvPKT_PKfPKiS7_S7_Pfiiiiiiiiiiiiii15HIP_vector_typeIjLj3EESA_,@function
_ZL13mul_mat_f_idsI7__half2Li32ELi3ELi1EEvPKT_PKfPKiS7_S7_Pfiiiiiiiiiiiiii15HIP_vector_typeIjLj3EESA_: ; @_ZL13mul_mat_f_idsI7__half2Li32ELi3ELi1EEvPKT_PKfPKiS7_S7_Pfiiiiiiiiiiiiii15HIP_vector_typeIjLj3EESA_
; %bb.0:
	s_add_u32 s8, s0, 0x80
	s_addc_u32 s9, s1, 0
	s_getpc_b64 s[0:1]
	s_add_u32 s0, s0, __FUNCTION__._ZL13mul_mat_f_idsIfLi32ELi3ELi1EEvPKT_PKfPKiS6_S6_Pfiiiiiiiiiiiiii15HIP_vector_typeIjLj3EES9_@rel32@lo+4
	s_addc_u32 s1, s1, __FUNCTION__._ZL13mul_mat_f_idsIfLi32ELi3ELi1EEvPKT_PKfPKiS6_S6_Pfiiiiiiiiiiiiii15HIP_vector_typeIjLj3EES9_@rel32@hi+12
	s_getpc_b64 s[2:3]
	s_add_u32 s2, s2, _ZL14no_device_codePKciS0_iS0_@rel32@lo+4
	s_addc_u32 s3, s3, _ZL14no_device_codePKciS0_iS0_@rel32@hi+12
	v_mov_b32_e32 v0, 0x13b
	v_mov_b32_e32 v1, s0
	;; [unrolled: 1-line block ×3, first 2 shown]
	s_mov_b32 s32, 0
	s_swappc_b64 s[30:31], s[2:3]
	.section	.rodata,"a",@progbits
	.p2align	6, 0x0
	.amdhsa_kernel _ZL13mul_mat_f_idsI7__half2Li32ELi3ELi1EEvPKT_PKfPKiS7_S7_Pfiiiiiiiiiiiiii15HIP_vector_typeIjLj3EESA_
		.amdhsa_group_segment_fixed_size 0
		.amdhsa_private_segment_fixed_size 16
		.amdhsa_kernarg_size 384
		.amdhsa_user_sgpr_count 2
		.amdhsa_user_sgpr_dispatch_ptr 0
		.amdhsa_user_sgpr_queue_ptr 0
		.amdhsa_user_sgpr_kernarg_segment_ptr 1
		.amdhsa_user_sgpr_dispatch_id 0
		.amdhsa_user_sgpr_kernarg_preload_length 0
		.amdhsa_user_sgpr_kernarg_preload_offset 0
		.amdhsa_user_sgpr_private_segment_size 0
		.amdhsa_uses_dynamic_stack 0
		.amdhsa_enable_private_segment 1
		.amdhsa_system_sgpr_workgroup_id_x 1
		.amdhsa_system_sgpr_workgroup_id_y 0
		.amdhsa_system_sgpr_workgroup_id_z 0
		.amdhsa_system_sgpr_workgroup_info 0
		.amdhsa_system_vgpr_workitem_id 0
		.amdhsa_next_free_vgpr 38
		.amdhsa_next_free_sgpr 34
		.amdhsa_accum_offset 40
		.amdhsa_reserve_vcc 1
		.amdhsa_float_round_mode_32 0
		.amdhsa_float_round_mode_16_64 0
		.amdhsa_float_denorm_mode_32 3
		.amdhsa_float_denorm_mode_16_64 3
		.amdhsa_dx10_clamp 1
		.amdhsa_ieee_mode 1
		.amdhsa_fp16_overflow 0
		.amdhsa_tg_split 0
		.amdhsa_exception_fp_ieee_invalid_op 0
		.amdhsa_exception_fp_denorm_src 0
		.amdhsa_exception_fp_ieee_div_zero 0
		.amdhsa_exception_fp_ieee_overflow 0
		.amdhsa_exception_fp_ieee_underflow 0
		.amdhsa_exception_fp_ieee_inexact 0
		.amdhsa_exception_int_div_zero 0
	.end_amdhsa_kernel
	.section	.text._ZL13mul_mat_f_idsI7__half2Li32ELi3ELi1EEvPKT_PKfPKiS7_S7_Pfiiiiiiiiiiiiii15HIP_vector_typeIjLj3EESA_,"axG",@progbits,_ZL13mul_mat_f_idsI7__half2Li32ELi3ELi1EEvPKT_PKfPKiS7_S7_Pfiiiiiiiiiiiiii15HIP_vector_typeIjLj3EESA_,comdat
.Lfunc_end27:
	.size	_ZL13mul_mat_f_idsI7__half2Li32ELi3ELi1EEvPKT_PKfPKiS7_S7_Pfiiiiiiiiiiiiii15HIP_vector_typeIjLj3EESA_, .Lfunc_end27-_ZL13mul_mat_f_idsI7__half2Li32ELi3ELi1EEvPKT_PKfPKiS7_S7_Pfiiiiiiiiiiiiii15HIP_vector_typeIjLj3EESA_
                                        ; -- End function
	.set _ZL13mul_mat_f_idsI7__half2Li32ELi3ELi1EEvPKT_PKfPKiS7_S7_Pfiiiiiiiiiiiiii15HIP_vector_typeIjLj3EESA_.num_vgpr, max(3, .L_ZL14no_device_codePKciS0_iS0_.num_vgpr)
	.set _ZL13mul_mat_f_idsI7__half2Li32ELi3ELi1EEvPKT_PKfPKiS7_S7_Pfiiiiiiiiiiiiii15HIP_vector_typeIjLj3EESA_.num_agpr, max(0, .L_ZL14no_device_codePKciS0_iS0_.num_agpr)
	.set _ZL13mul_mat_f_idsI7__half2Li32ELi3ELi1EEvPKT_PKfPKiS7_S7_Pfiiiiiiiiiiiiii15HIP_vector_typeIjLj3EESA_.numbered_sgpr, max(33, .L_ZL14no_device_codePKciS0_iS0_.numbered_sgpr)
	.set _ZL13mul_mat_f_idsI7__half2Li32ELi3ELi1EEvPKT_PKfPKiS7_S7_Pfiiiiiiiiiiiiii15HIP_vector_typeIjLj3EESA_.num_named_barrier, max(0, .L_ZL14no_device_codePKciS0_iS0_.num_named_barrier)
	.set _ZL13mul_mat_f_idsI7__half2Li32ELi3ELi1EEvPKT_PKfPKiS7_S7_Pfiiiiiiiiiiiiii15HIP_vector_typeIjLj3EESA_.private_seg_size, 0+max(.L_ZL14no_device_codePKciS0_iS0_.private_seg_size)
	.set _ZL13mul_mat_f_idsI7__half2Li32ELi3ELi1EEvPKT_PKfPKiS7_S7_Pfiiiiiiiiiiiiii15HIP_vector_typeIjLj3EESA_.uses_vcc, or(1, .L_ZL14no_device_codePKciS0_iS0_.uses_vcc)
	.set _ZL13mul_mat_f_idsI7__half2Li32ELi3ELi1EEvPKT_PKfPKiS7_S7_Pfiiiiiiiiiiiiii15HIP_vector_typeIjLj3EESA_.uses_flat_scratch, or(0, .L_ZL14no_device_codePKciS0_iS0_.uses_flat_scratch)
	.set _ZL13mul_mat_f_idsI7__half2Li32ELi3ELi1EEvPKT_PKfPKiS7_S7_Pfiiiiiiiiiiiiii15HIP_vector_typeIjLj3EESA_.has_dyn_sized_stack, or(0, .L_ZL14no_device_codePKciS0_iS0_.has_dyn_sized_stack)
	.set _ZL13mul_mat_f_idsI7__half2Li32ELi3ELi1EEvPKT_PKfPKiS7_S7_Pfiiiiiiiiiiiiii15HIP_vector_typeIjLj3EESA_.has_recursion, or(0, .L_ZL14no_device_codePKciS0_iS0_.has_recursion)
	.set _ZL13mul_mat_f_idsI7__half2Li32ELi3ELi1EEvPKT_PKfPKiS7_S7_Pfiiiiiiiiiiiiii15HIP_vector_typeIjLj3EESA_.has_indirect_call, or(0, .L_ZL14no_device_codePKciS0_iS0_.has_indirect_call)
	.section	.AMDGPU.csdata,"",@progbits
; Kernel info:
; codeLenInByte = 76
; TotalNumSgprs: 40
; NumVgprs: 38
; NumAgprs: 0
; TotalNumVgprs: 38
; ScratchSize: 16
; MemoryBound: 0
; FloatMode: 240
; IeeeMode: 1
; LDSByteSize: 0 bytes/workgroup (compile time only)
; SGPRBlocks: 4
; VGPRBlocks: 4
; NumSGPRsForWavesPerEU: 40
; NumVGPRsForWavesPerEU: 38
; AccumOffset: 40
; Occupancy: 8
; WaveLimiterHint : 1
; COMPUTE_PGM_RSRC2:SCRATCH_EN: 1
; COMPUTE_PGM_RSRC2:USER_SGPR: 2
; COMPUTE_PGM_RSRC2:TRAP_HANDLER: 0
; COMPUTE_PGM_RSRC2:TGID_X_EN: 1
; COMPUTE_PGM_RSRC2:TGID_Y_EN: 0
; COMPUTE_PGM_RSRC2:TGID_Z_EN: 0
; COMPUTE_PGM_RSRC2:TIDIG_COMP_CNT: 0
; COMPUTE_PGM_RSRC3_GFX90A:ACCUM_OFFSET: 9
; COMPUTE_PGM_RSRC3_GFX90A:TG_SPLIT: 0
	.section	.text._ZL9mul_mat_fI7__half2Li32ELi3ELi1ELb1EEvPKT_PKfPKiPfiiiiiiiiiiiiiiii,"axG",@progbits,_ZL9mul_mat_fI7__half2Li32ELi3ELi1ELb1EEvPKT_PKfPKiPfiiiiiiiiiiiiiiii,comdat
	.globl	_ZL9mul_mat_fI7__half2Li32ELi3ELi1ELb1EEvPKT_PKfPKiPfiiiiiiiiiiiiiiii ; -- Begin function _ZL9mul_mat_fI7__half2Li32ELi3ELi1ELb1EEvPKT_PKfPKiPfiiiiiiiiiiiiiiii
	.p2align	8
	.type	_ZL9mul_mat_fI7__half2Li32ELi3ELi1ELb1EEvPKT_PKfPKiPfiiiiiiiiiiiiiiii,@function
_ZL9mul_mat_fI7__half2Li32ELi3ELi1ELb1EEvPKT_PKfPKiPfiiiiiiiiiiiiiiii: ; @_ZL9mul_mat_fI7__half2Li32ELi3ELi1ELb1EEvPKT_PKfPKiPfiiiiiiiiiiiiiiii
; %bb.0:
	s_add_u32 s8, s0, 0x60
	s_addc_u32 s9, s1, 0
	s_getpc_b64 s[0:1]
	s_add_u32 s0, s0, __FUNCTION__._ZL9mul_mat_fIfLi32ELi3ELi1ELb1EEvPKT_PKfPKiPfiiiiiiiiiiiiiiii@rel32@lo+4
	s_addc_u32 s1, s1, __FUNCTION__._ZL9mul_mat_fIfLi32ELi3ELi1ELb1EEvPKT_PKfPKiPfiiiiiiiiiiiiiiii@rel32@hi+12
	s_getpc_b64 s[2:3]
	s_add_u32 s2, s2, _ZL14no_device_codePKciS0_iS0_@rel32@lo+4
	s_addc_u32 s3, s3, _ZL14no_device_codePKciS0_iS0_@rel32@hi+12
	v_mov_b32_e32 v0, 64
	v_mov_b32_e32 v1, s0
	;; [unrolled: 1-line block ×3, first 2 shown]
	s_mov_b32 s32, 0
	s_swappc_b64 s[30:31], s[2:3]
	.section	.rodata,"a",@progbits
	.p2align	6, 0x0
	.amdhsa_kernel _ZL9mul_mat_fI7__half2Li32ELi3ELi1ELb1EEvPKT_PKfPKiPfiiiiiiiiiiiiiiii
		.amdhsa_group_segment_fixed_size 0
		.amdhsa_private_segment_fixed_size 16
		.amdhsa_kernarg_size 352
		.amdhsa_user_sgpr_count 2
		.amdhsa_user_sgpr_dispatch_ptr 0
		.amdhsa_user_sgpr_queue_ptr 0
		.amdhsa_user_sgpr_kernarg_segment_ptr 1
		.amdhsa_user_sgpr_dispatch_id 0
		.amdhsa_user_sgpr_kernarg_preload_length 0
		.amdhsa_user_sgpr_kernarg_preload_offset 0
		.amdhsa_user_sgpr_private_segment_size 0
		.amdhsa_uses_dynamic_stack 0
		.amdhsa_enable_private_segment 1
		.amdhsa_system_sgpr_workgroup_id_x 1
		.amdhsa_system_sgpr_workgroup_id_y 0
		.amdhsa_system_sgpr_workgroup_id_z 0
		.amdhsa_system_sgpr_workgroup_info 0
		.amdhsa_system_vgpr_workitem_id 0
		.amdhsa_next_free_vgpr 38
		.amdhsa_next_free_sgpr 34
		.amdhsa_accum_offset 40
		.amdhsa_reserve_vcc 1
		.amdhsa_float_round_mode_32 0
		.amdhsa_float_round_mode_16_64 0
		.amdhsa_float_denorm_mode_32 3
		.amdhsa_float_denorm_mode_16_64 3
		.amdhsa_dx10_clamp 1
		.amdhsa_ieee_mode 1
		.amdhsa_fp16_overflow 0
		.amdhsa_tg_split 0
		.amdhsa_exception_fp_ieee_invalid_op 0
		.amdhsa_exception_fp_denorm_src 0
		.amdhsa_exception_fp_ieee_div_zero 0
		.amdhsa_exception_fp_ieee_overflow 0
		.amdhsa_exception_fp_ieee_underflow 0
		.amdhsa_exception_fp_ieee_inexact 0
		.amdhsa_exception_int_div_zero 0
	.end_amdhsa_kernel
	.section	.text._ZL9mul_mat_fI7__half2Li32ELi3ELi1ELb1EEvPKT_PKfPKiPfiiiiiiiiiiiiiiii,"axG",@progbits,_ZL9mul_mat_fI7__half2Li32ELi3ELi1ELb1EEvPKT_PKfPKiPfiiiiiiiiiiiiiiii,comdat
.Lfunc_end28:
	.size	_ZL9mul_mat_fI7__half2Li32ELi3ELi1ELb1EEvPKT_PKfPKiPfiiiiiiiiiiiiiiii, .Lfunc_end28-_ZL9mul_mat_fI7__half2Li32ELi3ELi1ELb1EEvPKT_PKfPKiPfiiiiiiiiiiiiiiii
                                        ; -- End function
	.set _ZL9mul_mat_fI7__half2Li32ELi3ELi1ELb1EEvPKT_PKfPKiPfiiiiiiiiiiiiiiii.num_vgpr, max(3, .L_ZL14no_device_codePKciS0_iS0_.num_vgpr)
	.set _ZL9mul_mat_fI7__half2Li32ELi3ELi1ELb1EEvPKT_PKfPKiPfiiiiiiiiiiiiiiii.num_agpr, max(0, .L_ZL14no_device_codePKciS0_iS0_.num_agpr)
	.set _ZL9mul_mat_fI7__half2Li32ELi3ELi1ELb1EEvPKT_PKfPKiPfiiiiiiiiiiiiiiii.numbered_sgpr, max(33, .L_ZL14no_device_codePKciS0_iS0_.numbered_sgpr)
	.set _ZL9mul_mat_fI7__half2Li32ELi3ELi1ELb1EEvPKT_PKfPKiPfiiiiiiiiiiiiiiii.num_named_barrier, max(0, .L_ZL14no_device_codePKciS0_iS0_.num_named_barrier)
	.set _ZL9mul_mat_fI7__half2Li32ELi3ELi1ELb1EEvPKT_PKfPKiPfiiiiiiiiiiiiiiii.private_seg_size, 0+max(.L_ZL14no_device_codePKciS0_iS0_.private_seg_size)
	.set _ZL9mul_mat_fI7__half2Li32ELi3ELi1ELb1EEvPKT_PKfPKiPfiiiiiiiiiiiiiiii.uses_vcc, or(1, .L_ZL14no_device_codePKciS0_iS0_.uses_vcc)
	.set _ZL9mul_mat_fI7__half2Li32ELi3ELi1ELb1EEvPKT_PKfPKiPfiiiiiiiiiiiiiiii.uses_flat_scratch, or(0, .L_ZL14no_device_codePKciS0_iS0_.uses_flat_scratch)
	.set _ZL9mul_mat_fI7__half2Li32ELi3ELi1ELb1EEvPKT_PKfPKiPfiiiiiiiiiiiiiiii.has_dyn_sized_stack, or(0, .L_ZL14no_device_codePKciS0_iS0_.has_dyn_sized_stack)
	.set _ZL9mul_mat_fI7__half2Li32ELi3ELi1ELb1EEvPKT_PKfPKiPfiiiiiiiiiiiiiiii.has_recursion, or(0, .L_ZL14no_device_codePKciS0_iS0_.has_recursion)
	.set _ZL9mul_mat_fI7__half2Li32ELi3ELi1ELb1EEvPKT_PKfPKiPfiiiiiiiiiiiiiiii.has_indirect_call, or(0, .L_ZL14no_device_codePKciS0_iS0_.has_indirect_call)
	.section	.AMDGPU.csdata,"",@progbits
; Kernel info:
; codeLenInByte = 72
; TotalNumSgprs: 40
; NumVgprs: 38
; NumAgprs: 0
; TotalNumVgprs: 38
; ScratchSize: 16
; MemoryBound: 0
; FloatMode: 240
; IeeeMode: 1
; LDSByteSize: 0 bytes/workgroup (compile time only)
; SGPRBlocks: 4
; VGPRBlocks: 4
; NumSGPRsForWavesPerEU: 40
; NumVGPRsForWavesPerEU: 38
; AccumOffset: 40
; Occupancy: 8
; WaveLimiterHint : 1
; COMPUTE_PGM_RSRC2:SCRATCH_EN: 1
; COMPUTE_PGM_RSRC2:USER_SGPR: 2
; COMPUTE_PGM_RSRC2:TRAP_HANDLER: 0
; COMPUTE_PGM_RSRC2:TGID_X_EN: 1
; COMPUTE_PGM_RSRC2:TGID_Y_EN: 0
; COMPUTE_PGM_RSRC2:TGID_Z_EN: 0
; COMPUTE_PGM_RSRC2:TIDIG_COMP_CNT: 0
; COMPUTE_PGM_RSRC3_GFX90A:ACCUM_OFFSET: 9
; COMPUTE_PGM_RSRC3_GFX90A:TG_SPLIT: 0
	.section	.text._ZL9mul_mat_fI7__half2Li32ELi3ELi1ELb0EEvPKT_PKfPKiPfiiiiiiiiiiiiiiii,"axG",@progbits,_ZL9mul_mat_fI7__half2Li32ELi3ELi1ELb0EEvPKT_PKfPKiPfiiiiiiiiiiiiiiii,comdat
	.globl	_ZL9mul_mat_fI7__half2Li32ELi3ELi1ELb0EEvPKT_PKfPKiPfiiiiiiiiiiiiiiii ; -- Begin function _ZL9mul_mat_fI7__half2Li32ELi3ELi1ELb0EEvPKT_PKfPKiPfiiiiiiiiiiiiiiii
	.p2align	8
	.type	_ZL9mul_mat_fI7__half2Li32ELi3ELi1ELb0EEvPKT_PKfPKiPfiiiiiiiiiiiiiiii,@function
_ZL9mul_mat_fI7__half2Li32ELi3ELi1ELb0EEvPKT_PKfPKiPfiiiiiiiiiiiiiiii: ; @_ZL9mul_mat_fI7__half2Li32ELi3ELi1ELb0EEvPKT_PKfPKiPfiiiiiiiiiiiiiiii
; %bb.0:
	s_add_u32 s8, s0, 0x60
	s_addc_u32 s9, s1, 0
	s_getpc_b64 s[0:1]
	s_add_u32 s0, s0, __FUNCTION__._ZL9mul_mat_fIfLi32ELi3ELi1ELb1EEvPKT_PKfPKiPfiiiiiiiiiiiiiiii@rel32@lo+4
	s_addc_u32 s1, s1, __FUNCTION__._ZL9mul_mat_fIfLi32ELi3ELi1ELb1EEvPKT_PKfPKiPfiiiiiiiiiiiiiiii@rel32@hi+12
	s_getpc_b64 s[2:3]
	s_add_u32 s2, s2, _ZL14no_device_codePKciS0_iS0_@rel32@lo+4
	s_addc_u32 s3, s3, _ZL14no_device_codePKciS0_iS0_@rel32@hi+12
	v_mov_b32_e32 v0, 64
	v_mov_b32_e32 v1, s0
	;; [unrolled: 1-line block ×3, first 2 shown]
	s_mov_b32 s32, 0
	s_swappc_b64 s[30:31], s[2:3]
	.section	.rodata,"a",@progbits
	.p2align	6, 0x0
	.amdhsa_kernel _ZL9mul_mat_fI7__half2Li32ELi3ELi1ELb0EEvPKT_PKfPKiPfiiiiiiiiiiiiiiii
		.amdhsa_group_segment_fixed_size 0
		.amdhsa_private_segment_fixed_size 16
		.amdhsa_kernarg_size 352
		.amdhsa_user_sgpr_count 2
		.amdhsa_user_sgpr_dispatch_ptr 0
		.amdhsa_user_sgpr_queue_ptr 0
		.amdhsa_user_sgpr_kernarg_segment_ptr 1
		.amdhsa_user_sgpr_dispatch_id 0
		.amdhsa_user_sgpr_kernarg_preload_length 0
		.amdhsa_user_sgpr_kernarg_preload_offset 0
		.amdhsa_user_sgpr_private_segment_size 0
		.amdhsa_uses_dynamic_stack 0
		.amdhsa_enable_private_segment 1
		.amdhsa_system_sgpr_workgroup_id_x 1
		.amdhsa_system_sgpr_workgroup_id_y 0
		.amdhsa_system_sgpr_workgroup_id_z 0
		.amdhsa_system_sgpr_workgroup_info 0
		.amdhsa_system_vgpr_workitem_id 0
		.amdhsa_next_free_vgpr 38
		.amdhsa_next_free_sgpr 34
		.amdhsa_accum_offset 40
		.amdhsa_reserve_vcc 1
		.amdhsa_float_round_mode_32 0
		.amdhsa_float_round_mode_16_64 0
		.amdhsa_float_denorm_mode_32 3
		.amdhsa_float_denorm_mode_16_64 3
		.amdhsa_dx10_clamp 1
		.amdhsa_ieee_mode 1
		.amdhsa_fp16_overflow 0
		.amdhsa_tg_split 0
		.amdhsa_exception_fp_ieee_invalid_op 0
		.amdhsa_exception_fp_denorm_src 0
		.amdhsa_exception_fp_ieee_div_zero 0
		.amdhsa_exception_fp_ieee_overflow 0
		.amdhsa_exception_fp_ieee_underflow 0
		.amdhsa_exception_fp_ieee_inexact 0
		.amdhsa_exception_int_div_zero 0
	.end_amdhsa_kernel
	.section	.text._ZL9mul_mat_fI7__half2Li32ELi3ELi1ELb0EEvPKT_PKfPKiPfiiiiiiiiiiiiiiii,"axG",@progbits,_ZL9mul_mat_fI7__half2Li32ELi3ELi1ELb0EEvPKT_PKfPKiPfiiiiiiiiiiiiiiii,comdat
.Lfunc_end29:
	.size	_ZL9mul_mat_fI7__half2Li32ELi3ELi1ELb0EEvPKT_PKfPKiPfiiiiiiiiiiiiiiii, .Lfunc_end29-_ZL9mul_mat_fI7__half2Li32ELi3ELi1ELb0EEvPKT_PKfPKiPfiiiiiiiiiiiiiiii
                                        ; -- End function
	.set _ZL9mul_mat_fI7__half2Li32ELi3ELi1ELb0EEvPKT_PKfPKiPfiiiiiiiiiiiiiiii.num_vgpr, max(3, .L_ZL14no_device_codePKciS0_iS0_.num_vgpr)
	.set _ZL9mul_mat_fI7__half2Li32ELi3ELi1ELb0EEvPKT_PKfPKiPfiiiiiiiiiiiiiiii.num_agpr, max(0, .L_ZL14no_device_codePKciS0_iS0_.num_agpr)
	.set _ZL9mul_mat_fI7__half2Li32ELi3ELi1ELb0EEvPKT_PKfPKiPfiiiiiiiiiiiiiiii.numbered_sgpr, max(33, .L_ZL14no_device_codePKciS0_iS0_.numbered_sgpr)
	.set _ZL9mul_mat_fI7__half2Li32ELi3ELi1ELb0EEvPKT_PKfPKiPfiiiiiiiiiiiiiiii.num_named_barrier, max(0, .L_ZL14no_device_codePKciS0_iS0_.num_named_barrier)
	.set _ZL9mul_mat_fI7__half2Li32ELi3ELi1ELb0EEvPKT_PKfPKiPfiiiiiiiiiiiiiiii.private_seg_size, 0+max(.L_ZL14no_device_codePKciS0_iS0_.private_seg_size)
	.set _ZL9mul_mat_fI7__half2Li32ELi3ELi1ELb0EEvPKT_PKfPKiPfiiiiiiiiiiiiiiii.uses_vcc, or(1, .L_ZL14no_device_codePKciS0_iS0_.uses_vcc)
	.set _ZL9mul_mat_fI7__half2Li32ELi3ELi1ELb0EEvPKT_PKfPKiPfiiiiiiiiiiiiiiii.uses_flat_scratch, or(0, .L_ZL14no_device_codePKciS0_iS0_.uses_flat_scratch)
	.set _ZL9mul_mat_fI7__half2Li32ELi3ELi1ELb0EEvPKT_PKfPKiPfiiiiiiiiiiiiiiii.has_dyn_sized_stack, or(0, .L_ZL14no_device_codePKciS0_iS0_.has_dyn_sized_stack)
	.set _ZL9mul_mat_fI7__half2Li32ELi3ELi1ELb0EEvPKT_PKfPKiPfiiiiiiiiiiiiiiii.has_recursion, or(0, .L_ZL14no_device_codePKciS0_iS0_.has_recursion)
	.set _ZL9mul_mat_fI7__half2Li32ELi3ELi1ELb0EEvPKT_PKfPKiPfiiiiiiiiiiiiiiii.has_indirect_call, or(0, .L_ZL14no_device_codePKciS0_iS0_.has_indirect_call)
	.section	.AMDGPU.csdata,"",@progbits
; Kernel info:
; codeLenInByte = 72
; TotalNumSgprs: 40
; NumVgprs: 38
; NumAgprs: 0
; TotalNumVgprs: 38
; ScratchSize: 16
; MemoryBound: 0
; FloatMode: 240
; IeeeMode: 1
; LDSByteSize: 0 bytes/workgroup (compile time only)
; SGPRBlocks: 4
; VGPRBlocks: 4
; NumSGPRsForWavesPerEU: 40
; NumVGPRsForWavesPerEU: 38
; AccumOffset: 40
; Occupancy: 8
; WaveLimiterHint : 1
; COMPUTE_PGM_RSRC2:SCRATCH_EN: 1
; COMPUTE_PGM_RSRC2:USER_SGPR: 2
; COMPUTE_PGM_RSRC2:TRAP_HANDLER: 0
; COMPUTE_PGM_RSRC2:TGID_X_EN: 1
; COMPUTE_PGM_RSRC2:TGID_Y_EN: 0
; COMPUTE_PGM_RSRC2:TGID_Z_EN: 0
; COMPUTE_PGM_RSRC2:TIDIG_COMP_CNT: 0
; COMPUTE_PGM_RSRC3_GFX90A:ACCUM_OFFSET: 9
; COMPUTE_PGM_RSRC3_GFX90A:TG_SPLIT: 0
	.section	.text._ZL13mul_mat_f_idsI7__half2Li32ELi3ELi2EEvPKT_PKfPKiS7_S7_Pfiiiiiiiiiiiiii15HIP_vector_typeIjLj3EESA_,"axG",@progbits,_ZL13mul_mat_f_idsI7__half2Li32ELi3ELi2EEvPKT_PKfPKiS7_S7_Pfiiiiiiiiiiiiii15HIP_vector_typeIjLj3EESA_,comdat
	.globl	_ZL13mul_mat_f_idsI7__half2Li32ELi3ELi2EEvPKT_PKfPKiS7_S7_Pfiiiiiiiiiiiiii15HIP_vector_typeIjLj3EESA_ ; -- Begin function _ZL13mul_mat_f_idsI7__half2Li32ELi3ELi2EEvPKT_PKfPKiS7_S7_Pfiiiiiiiiiiiiii15HIP_vector_typeIjLj3EESA_
	.p2align	8
	.type	_ZL13mul_mat_f_idsI7__half2Li32ELi3ELi2EEvPKT_PKfPKiS7_S7_Pfiiiiiiiiiiiiii15HIP_vector_typeIjLj3EESA_,@function
_ZL13mul_mat_f_idsI7__half2Li32ELi3ELi2EEvPKT_PKfPKiS7_S7_Pfiiiiiiiiiiiiii15HIP_vector_typeIjLj3EESA_: ; @_ZL13mul_mat_f_idsI7__half2Li32ELi3ELi2EEvPKT_PKfPKiS7_S7_Pfiiiiiiiiiiiiii15HIP_vector_typeIjLj3EESA_
; %bb.0:
	s_add_u32 s8, s0, 0x80
	s_addc_u32 s9, s1, 0
	s_getpc_b64 s[0:1]
	s_add_u32 s0, s0, __FUNCTION__._ZL13mul_mat_f_idsIfLi32ELi3ELi1EEvPKT_PKfPKiS6_S6_Pfiiiiiiiiiiiiii15HIP_vector_typeIjLj3EES9_@rel32@lo+4
	s_addc_u32 s1, s1, __FUNCTION__._ZL13mul_mat_f_idsIfLi32ELi3ELi1EEvPKT_PKfPKiS6_S6_Pfiiiiiiiiiiiiii15HIP_vector_typeIjLj3EES9_@rel32@hi+12
	s_getpc_b64 s[2:3]
	s_add_u32 s2, s2, _ZL14no_device_codePKciS0_iS0_@rel32@lo+4
	s_addc_u32 s3, s3, _ZL14no_device_codePKciS0_iS0_@rel32@hi+12
	v_mov_b32_e32 v0, 0x13b
	v_mov_b32_e32 v1, s0
	v_mov_b32_e32 v2, s1
	s_mov_b32 s32, 0
	s_swappc_b64 s[30:31], s[2:3]
	.section	.rodata,"a",@progbits
	.p2align	6, 0x0
	.amdhsa_kernel _ZL13mul_mat_f_idsI7__half2Li32ELi3ELi2EEvPKT_PKfPKiS7_S7_Pfiiiiiiiiiiiiii15HIP_vector_typeIjLj3EESA_
		.amdhsa_group_segment_fixed_size 0
		.amdhsa_private_segment_fixed_size 16
		.amdhsa_kernarg_size 384
		.amdhsa_user_sgpr_count 2
		.amdhsa_user_sgpr_dispatch_ptr 0
		.amdhsa_user_sgpr_queue_ptr 0
		.amdhsa_user_sgpr_kernarg_segment_ptr 1
		.amdhsa_user_sgpr_dispatch_id 0
		.amdhsa_user_sgpr_kernarg_preload_length 0
		.amdhsa_user_sgpr_kernarg_preload_offset 0
		.amdhsa_user_sgpr_private_segment_size 0
		.amdhsa_uses_dynamic_stack 0
		.amdhsa_enable_private_segment 1
		.amdhsa_system_sgpr_workgroup_id_x 1
		.amdhsa_system_sgpr_workgroup_id_y 0
		.amdhsa_system_sgpr_workgroup_id_z 0
		.amdhsa_system_sgpr_workgroup_info 0
		.amdhsa_system_vgpr_workitem_id 0
		.amdhsa_next_free_vgpr 38
		.amdhsa_next_free_sgpr 34
		.amdhsa_accum_offset 40
		.amdhsa_reserve_vcc 1
		.amdhsa_float_round_mode_32 0
		.amdhsa_float_round_mode_16_64 0
		.amdhsa_float_denorm_mode_32 3
		.amdhsa_float_denorm_mode_16_64 3
		.amdhsa_dx10_clamp 1
		.amdhsa_ieee_mode 1
		.amdhsa_fp16_overflow 0
		.amdhsa_tg_split 0
		.amdhsa_exception_fp_ieee_invalid_op 0
		.amdhsa_exception_fp_denorm_src 0
		.amdhsa_exception_fp_ieee_div_zero 0
		.amdhsa_exception_fp_ieee_overflow 0
		.amdhsa_exception_fp_ieee_underflow 0
		.amdhsa_exception_fp_ieee_inexact 0
		.amdhsa_exception_int_div_zero 0
	.end_amdhsa_kernel
	.section	.text._ZL13mul_mat_f_idsI7__half2Li32ELi3ELi2EEvPKT_PKfPKiS7_S7_Pfiiiiiiiiiiiiii15HIP_vector_typeIjLj3EESA_,"axG",@progbits,_ZL13mul_mat_f_idsI7__half2Li32ELi3ELi2EEvPKT_PKfPKiS7_S7_Pfiiiiiiiiiiiiii15HIP_vector_typeIjLj3EESA_,comdat
.Lfunc_end30:
	.size	_ZL13mul_mat_f_idsI7__half2Li32ELi3ELi2EEvPKT_PKfPKiS7_S7_Pfiiiiiiiiiiiiii15HIP_vector_typeIjLj3EESA_, .Lfunc_end30-_ZL13mul_mat_f_idsI7__half2Li32ELi3ELi2EEvPKT_PKfPKiS7_S7_Pfiiiiiiiiiiiiii15HIP_vector_typeIjLj3EESA_
                                        ; -- End function
	.set _ZL13mul_mat_f_idsI7__half2Li32ELi3ELi2EEvPKT_PKfPKiS7_S7_Pfiiiiiiiiiiiiii15HIP_vector_typeIjLj3EESA_.num_vgpr, max(3, .L_ZL14no_device_codePKciS0_iS0_.num_vgpr)
	.set _ZL13mul_mat_f_idsI7__half2Li32ELi3ELi2EEvPKT_PKfPKiS7_S7_Pfiiiiiiiiiiiiii15HIP_vector_typeIjLj3EESA_.num_agpr, max(0, .L_ZL14no_device_codePKciS0_iS0_.num_agpr)
	.set _ZL13mul_mat_f_idsI7__half2Li32ELi3ELi2EEvPKT_PKfPKiS7_S7_Pfiiiiiiiiiiiiii15HIP_vector_typeIjLj3EESA_.numbered_sgpr, max(33, .L_ZL14no_device_codePKciS0_iS0_.numbered_sgpr)
	.set _ZL13mul_mat_f_idsI7__half2Li32ELi3ELi2EEvPKT_PKfPKiS7_S7_Pfiiiiiiiiiiiiii15HIP_vector_typeIjLj3EESA_.num_named_barrier, max(0, .L_ZL14no_device_codePKciS0_iS0_.num_named_barrier)
	.set _ZL13mul_mat_f_idsI7__half2Li32ELi3ELi2EEvPKT_PKfPKiS7_S7_Pfiiiiiiiiiiiiii15HIP_vector_typeIjLj3EESA_.private_seg_size, 0+max(.L_ZL14no_device_codePKciS0_iS0_.private_seg_size)
	.set _ZL13mul_mat_f_idsI7__half2Li32ELi3ELi2EEvPKT_PKfPKiS7_S7_Pfiiiiiiiiiiiiii15HIP_vector_typeIjLj3EESA_.uses_vcc, or(1, .L_ZL14no_device_codePKciS0_iS0_.uses_vcc)
	.set _ZL13mul_mat_f_idsI7__half2Li32ELi3ELi2EEvPKT_PKfPKiS7_S7_Pfiiiiiiiiiiiiii15HIP_vector_typeIjLj3EESA_.uses_flat_scratch, or(0, .L_ZL14no_device_codePKciS0_iS0_.uses_flat_scratch)
	.set _ZL13mul_mat_f_idsI7__half2Li32ELi3ELi2EEvPKT_PKfPKiS7_S7_Pfiiiiiiiiiiiiii15HIP_vector_typeIjLj3EESA_.has_dyn_sized_stack, or(0, .L_ZL14no_device_codePKciS0_iS0_.has_dyn_sized_stack)
	.set _ZL13mul_mat_f_idsI7__half2Li32ELi3ELi2EEvPKT_PKfPKiS7_S7_Pfiiiiiiiiiiiiii15HIP_vector_typeIjLj3EESA_.has_recursion, or(0, .L_ZL14no_device_codePKciS0_iS0_.has_recursion)
	.set _ZL13mul_mat_f_idsI7__half2Li32ELi3ELi2EEvPKT_PKfPKiS7_S7_Pfiiiiiiiiiiiiii15HIP_vector_typeIjLj3EESA_.has_indirect_call, or(0, .L_ZL14no_device_codePKciS0_iS0_.has_indirect_call)
	.section	.AMDGPU.csdata,"",@progbits
; Kernel info:
; codeLenInByte = 76
; TotalNumSgprs: 40
; NumVgprs: 38
; NumAgprs: 0
; TotalNumVgprs: 38
; ScratchSize: 16
; MemoryBound: 0
; FloatMode: 240
; IeeeMode: 1
; LDSByteSize: 0 bytes/workgroup (compile time only)
; SGPRBlocks: 4
; VGPRBlocks: 4
; NumSGPRsForWavesPerEU: 40
; NumVGPRsForWavesPerEU: 38
; AccumOffset: 40
; Occupancy: 8
; WaveLimiterHint : 1
; COMPUTE_PGM_RSRC2:SCRATCH_EN: 1
; COMPUTE_PGM_RSRC2:USER_SGPR: 2
; COMPUTE_PGM_RSRC2:TRAP_HANDLER: 0
; COMPUTE_PGM_RSRC2:TGID_X_EN: 1
; COMPUTE_PGM_RSRC2:TGID_Y_EN: 0
; COMPUTE_PGM_RSRC2:TGID_Z_EN: 0
; COMPUTE_PGM_RSRC2:TIDIG_COMP_CNT: 0
; COMPUTE_PGM_RSRC3_GFX90A:ACCUM_OFFSET: 9
; COMPUTE_PGM_RSRC3_GFX90A:TG_SPLIT: 0
	.section	.text._ZL9mul_mat_fI7__half2Li32ELi3ELi2ELb1EEvPKT_PKfPKiPfiiiiiiiiiiiiiiii,"axG",@progbits,_ZL9mul_mat_fI7__half2Li32ELi3ELi2ELb1EEvPKT_PKfPKiPfiiiiiiiiiiiiiiii,comdat
	.globl	_ZL9mul_mat_fI7__half2Li32ELi3ELi2ELb1EEvPKT_PKfPKiPfiiiiiiiiiiiiiiii ; -- Begin function _ZL9mul_mat_fI7__half2Li32ELi3ELi2ELb1EEvPKT_PKfPKiPfiiiiiiiiiiiiiiii
	.p2align	8
	.type	_ZL9mul_mat_fI7__half2Li32ELi3ELi2ELb1EEvPKT_PKfPKiPfiiiiiiiiiiiiiiii,@function
_ZL9mul_mat_fI7__half2Li32ELi3ELi2ELb1EEvPKT_PKfPKiPfiiiiiiiiiiiiiiii: ; @_ZL9mul_mat_fI7__half2Li32ELi3ELi2ELb1EEvPKT_PKfPKiPfiiiiiiiiiiiiiiii
; %bb.0:
	s_add_u32 s8, s0, 0x60
	s_addc_u32 s9, s1, 0
	s_getpc_b64 s[0:1]
	s_add_u32 s0, s0, __FUNCTION__._ZL9mul_mat_fIfLi32ELi3ELi1ELb1EEvPKT_PKfPKiPfiiiiiiiiiiiiiiii@rel32@lo+4
	s_addc_u32 s1, s1, __FUNCTION__._ZL9mul_mat_fIfLi32ELi3ELi1ELb1EEvPKT_PKfPKiPfiiiiiiiiiiiiiiii@rel32@hi+12
	s_getpc_b64 s[2:3]
	s_add_u32 s2, s2, _ZL14no_device_codePKciS0_iS0_@rel32@lo+4
	s_addc_u32 s3, s3, _ZL14no_device_codePKciS0_iS0_@rel32@hi+12
	v_mov_b32_e32 v0, 64
	v_mov_b32_e32 v1, s0
	;; [unrolled: 1-line block ×3, first 2 shown]
	s_mov_b32 s32, 0
	s_swappc_b64 s[30:31], s[2:3]
	.section	.rodata,"a",@progbits
	.p2align	6, 0x0
	.amdhsa_kernel _ZL9mul_mat_fI7__half2Li32ELi3ELi2ELb1EEvPKT_PKfPKiPfiiiiiiiiiiiiiiii
		.amdhsa_group_segment_fixed_size 0
		.amdhsa_private_segment_fixed_size 16
		.amdhsa_kernarg_size 352
		.amdhsa_user_sgpr_count 2
		.amdhsa_user_sgpr_dispatch_ptr 0
		.amdhsa_user_sgpr_queue_ptr 0
		.amdhsa_user_sgpr_kernarg_segment_ptr 1
		.amdhsa_user_sgpr_dispatch_id 0
		.amdhsa_user_sgpr_kernarg_preload_length 0
		.amdhsa_user_sgpr_kernarg_preload_offset 0
		.amdhsa_user_sgpr_private_segment_size 0
		.amdhsa_uses_dynamic_stack 0
		.amdhsa_enable_private_segment 1
		.amdhsa_system_sgpr_workgroup_id_x 1
		.amdhsa_system_sgpr_workgroup_id_y 0
		.amdhsa_system_sgpr_workgroup_id_z 0
		.amdhsa_system_sgpr_workgroup_info 0
		.amdhsa_system_vgpr_workitem_id 0
		.amdhsa_next_free_vgpr 38
		.amdhsa_next_free_sgpr 34
		.amdhsa_accum_offset 40
		.amdhsa_reserve_vcc 1
		.amdhsa_float_round_mode_32 0
		.amdhsa_float_round_mode_16_64 0
		.amdhsa_float_denorm_mode_32 3
		.amdhsa_float_denorm_mode_16_64 3
		.amdhsa_dx10_clamp 1
		.amdhsa_ieee_mode 1
		.amdhsa_fp16_overflow 0
		.amdhsa_tg_split 0
		.amdhsa_exception_fp_ieee_invalid_op 0
		.amdhsa_exception_fp_denorm_src 0
		.amdhsa_exception_fp_ieee_div_zero 0
		.amdhsa_exception_fp_ieee_overflow 0
		.amdhsa_exception_fp_ieee_underflow 0
		.amdhsa_exception_fp_ieee_inexact 0
		.amdhsa_exception_int_div_zero 0
	.end_amdhsa_kernel
	.section	.text._ZL9mul_mat_fI7__half2Li32ELi3ELi2ELb1EEvPKT_PKfPKiPfiiiiiiiiiiiiiiii,"axG",@progbits,_ZL9mul_mat_fI7__half2Li32ELi3ELi2ELb1EEvPKT_PKfPKiPfiiiiiiiiiiiiiiii,comdat
.Lfunc_end31:
	.size	_ZL9mul_mat_fI7__half2Li32ELi3ELi2ELb1EEvPKT_PKfPKiPfiiiiiiiiiiiiiiii, .Lfunc_end31-_ZL9mul_mat_fI7__half2Li32ELi3ELi2ELb1EEvPKT_PKfPKiPfiiiiiiiiiiiiiiii
                                        ; -- End function
	.set _ZL9mul_mat_fI7__half2Li32ELi3ELi2ELb1EEvPKT_PKfPKiPfiiiiiiiiiiiiiiii.num_vgpr, max(3, .L_ZL14no_device_codePKciS0_iS0_.num_vgpr)
	.set _ZL9mul_mat_fI7__half2Li32ELi3ELi2ELb1EEvPKT_PKfPKiPfiiiiiiiiiiiiiiii.num_agpr, max(0, .L_ZL14no_device_codePKciS0_iS0_.num_agpr)
	.set _ZL9mul_mat_fI7__half2Li32ELi3ELi2ELb1EEvPKT_PKfPKiPfiiiiiiiiiiiiiiii.numbered_sgpr, max(33, .L_ZL14no_device_codePKciS0_iS0_.numbered_sgpr)
	.set _ZL9mul_mat_fI7__half2Li32ELi3ELi2ELb1EEvPKT_PKfPKiPfiiiiiiiiiiiiiiii.num_named_barrier, max(0, .L_ZL14no_device_codePKciS0_iS0_.num_named_barrier)
	.set _ZL9mul_mat_fI7__half2Li32ELi3ELi2ELb1EEvPKT_PKfPKiPfiiiiiiiiiiiiiiii.private_seg_size, 0+max(.L_ZL14no_device_codePKciS0_iS0_.private_seg_size)
	.set _ZL9mul_mat_fI7__half2Li32ELi3ELi2ELb1EEvPKT_PKfPKiPfiiiiiiiiiiiiiiii.uses_vcc, or(1, .L_ZL14no_device_codePKciS0_iS0_.uses_vcc)
	.set _ZL9mul_mat_fI7__half2Li32ELi3ELi2ELb1EEvPKT_PKfPKiPfiiiiiiiiiiiiiiii.uses_flat_scratch, or(0, .L_ZL14no_device_codePKciS0_iS0_.uses_flat_scratch)
	.set _ZL9mul_mat_fI7__half2Li32ELi3ELi2ELb1EEvPKT_PKfPKiPfiiiiiiiiiiiiiiii.has_dyn_sized_stack, or(0, .L_ZL14no_device_codePKciS0_iS0_.has_dyn_sized_stack)
	.set _ZL9mul_mat_fI7__half2Li32ELi3ELi2ELb1EEvPKT_PKfPKiPfiiiiiiiiiiiiiiii.has_recursion, or(0, .L_ZL14no_device_codePKciS0_iS0_.has_recursion)
	.set _ZL9mul_mat_fI7__half2Li32ELi3ELi2ELb1EEvPKT_PKfPKiPfiiiiiiiiiiiiiiii.has_indirect_call, or(0, .L_ZL14no_device_codePKciS0_iS0_.has_indirect_call)
	.section	.AMDGPU.csdata,"",@progbits
; Kernel info:
; codeLenInByte = 72
; TotalNumSgprs: 40
; NumVgprs: 38
; NumAgprs: 0
; TotalNumVgprs: 38
; ScratchSize: 16
; MemoryBound: 0
; FloatMode: 240
; IeeeMode: 1
; LDSByteSize: 0 bytes/workgroup (compile time only)
; SGPRBlocks: 4
; VGPRBlocks: 4
; NumSGPRsForWavesPerEU: 40
; NumVGPRsForWavesPerEU: 38
; AccumOffset: 40
; Occupancy: 8
; WaveLimiterHint : 1
; COMPUTE_PGM_RSRC2:SCRATCH_EN: 1
; COMPUTE_PGM_RSRC2:USER_SGPR: 2
; COMPUTE_PGM_RSRC2:TRAP_HANDLER: 0
; COMPUTE_PGM_RSRC2:TGID_X_EN: 1
; COMPUTE_PGM_RSRC2:TGID_Y_EN: 0
; COMPUTE_PGM_RSRC2:TGID_Z_EN: 0
; COMPUTE_PGM_RSRC2:TIDIG_COMP_CNT: 0
; COMPUTE_PGM_RSRC3_GFX90A:ACCUM_OFFSET: 9
; COMPUTE_PGM_RSRC3_GFX90A:TG_SPLIT: 0
	.section	.text._ZL9mul_mat_fI7__half2Li32ELi3ELi2ELb0EEvPKT_PKfPKiPfiiiiiiiiiiiiiiii,"axG",@progbits,_ZL9mul_mat_fI7__half2Li32ELi3ELi2ELb0EEvPKT_PKfPKiPfiiiiiiiiiiiiiiii,comdat
	.globl	_ZL9mul_mat_fI7__half2Li32ELi3ELi2ELb0EEvPKT_PKfPKiPfiiiiiiiiiiiiiiii ; -- Begin function _ZL9mul_mat_fI7__half2Li32ELi3ELi2ELb0EEvPKT_PKfPKiPfiiiiiiiiiiiiiiii
	.p2align	8
	.type	_ZL9mul_mat_fI7__half2Li32ELi3ELi2ELb0EEvPKT_PKfPKiPfiiiiiiiiiiiiiiii,@function
_ZL9mul_mat_fI7__half2Li32ELi3ELi2ELb0EEvPKT_PKfPKiPfiiiiiiiiiiiiiiii: ; @_ZL9mul_mat_fI7__half2Li32ELi3ELi2ELb0EEvPKT_PKfPKiPfiiiiiiiiiiiiiiii
; %bb.0:
	s_add_u32 s8, s0, 0x60
	s_addc_u32 s9, s1, 0
	s_getpc_b64 s[0:1]
	s_add_u32 s0, s0, __FUNCTION__._ZL9mul_mat_fIfLi32ELi3ELi1ELb1EEvPKT_PKfPKiPfiiiiiiiiiiiiiiii@rel32@lo+4
	s_addc_u32 s1, s1, __FUNCTION__._ZL9mul_mat_fIfLi32ELi3ELi1ELb1EEvPKT_PKfPKiPfiiiiiiiiiiiiiiii@rel32@hi+12
	s_getpc_b64 s[2:3]
	s_add_u32 s2, s2, _ZL14no_device_codePKciS0_iS0_@rel32@lo+4
	s_addc_u32 s3, s3, _ZL14no_device_codePKciS0_iS0_@rel32@hi+12
	v_mov_b32_e32 v0, 64
	v_mov_b32_e32 v1, s0
	;; [unrolled: 1-line block ×3, first 2 shown]
	s_mov_b32 s32, 0
	s_swappc_b64 s[30:31], s[2:3]
	.section	.rodata,"a",@progbits
	.p2align	6, 0x0
	.amdhsa_kernel _ZL9mul_mat_fI7__half2Li32ELi3ELi2ELb0EEvPKT_PKfPKiPfiiiiiiiiiiiiiiii
		.amdhsa_group_segment_fixed_size 0
		.amdhsa_private_segment_fixed_size 16
		.amdhsa_kernarg_size 352
		.amdhsa_user_sgpr_count 2
		.amdhsa_user_sgpr_dispatch_ptr 0
		.amdhsa_user_sgpr_queue_ptr 0
		.amdhsa_user_sgpr_kernarg_segment_ptr 1
		.amdhsa_user_sgpr_dispatch_id 0
		.amdhsa_user_sgpr_kernarg_preload_length 0
		.amdhsa_user_sgpr_kernarg_preload_offset 0
		.amdhsa_user_sgpr_private_segment_size 0
		.amdhsa_uses_dynamic_stack 0
		.amdhsa_enable_private_segment 1
		.amdhsa_system_sgpr_workgroup_id_x 1
		.amdhsa_system_sgpr_workgroup_id_y 0
		.amdhsa_system_sgpr_workgroup_id_z 0
		.amdhsa_system_sgpr_workgroup_info 0
		.amdhsa_system_vgpr_workitem_id 0
		.amdhsa_next_free_vgpr 38
		.amdhsa_next_free_sgpr 34
		.amdhsa_accum_offset 40
		.amdhsa_reserve_vcc 1
		.amdhsa_float_round_mode_32 0
		.amdhsa_float_round_mode_16_64 0
		.amdhsa_float_denorm_mode_32 3
		.amdhsa_float_denorm_mode_16_64 3
		.amdhsa_dx10_clamp 1
		.amdhsa_ieee_mode 1
		.amdhsa_fp16_overflow 0
		.amdhsa_tg_split 0
		.amdhsa_exception_fp_ieee_invalid_op 0
		.amdhsa_exception_fp_denorm_src 0
		.amdhsa_exception_fp_ieee_div_zero 0
		.amdhsa_exception_fp_ieee_overflow 0
		.amdhsa_exception_fp_ieee_underflow 0
		.amdhsa_exception_fp_ieee_inexact 0
		.amdhsa_exception_int_div_zero 0
	.end_amdhsa_kernel
	.section	.text._ZL9mul_mat_fI7__half2Li32ELi3ELi2ELb0EEvPKT_PKfPKiPfiiiiiiiiiiiiiiii,"axG",@progbits,_ZL9mul_mat_fI7__half2Li32ELi3ELi2ELb0EEvPKT_PKfPKiPfiiiiiiiiiiiiiiii,comdat
.Lfunc_end32:
	.size	_ZL9mul_mat_fI7__half2Li32ELi3ELi2ELb0EEvPKT_PKfPKiPfiiiiiiiiiiiiiiii, .Lfunc_end32-_ZL9mul_mat_fI7__half2Li32ELi3ELi2ELb0EEvPKT_PKfPKiPfiiiiiiiiiiiiiiii
                                        ; -- End function
	.set _ZL9mul_mat_fI7__half2Li32ELi3ELi2ELb0EEvPKT_PKfPKiPfiiiiiiiiiiiiiiii.num_vgpr, max(3, .L_ZL14no_device_codePKciS0_iS0_.num_vgpr)
	.set _ZL9mul_mat_fI7__half2Li32ELi3ELi2ELb0EEvPKT_PKfPKiPfiiiiiiiiiiiiiiii.num_agpr, max(0, .L_ZL14no_device_codePKciS0_iS0_.num_agpr)
	.set _ZL9mul_mat_fI7__half2Li32ELi3ELi2ELb0EEvPKT_PKfPKiPfiiiiiiiiiiiiiiii.numbered_sgpr, max(33, .L_ZL14no_device_codePKciS0_iS0_.numbered_sgpr)
	.set _ZL9mul_mat_fI7__half2Li32ELi3ELi2ELb0EEvPKT_PKfPKiPfiiiiiiiiiiiiiiii.num_named_barrier, max(0, .L_ZL14no_device_codePKciS0_iS0_.num_named_barrier)
	.set _ZL9mul_mat_fI7__half2Li32ELi3ELi2ELb0EEvPKT_PKfPKiPfiiiiiiiiiiiiiiii.private_seg_size, 0+max(.L_ZL14no_device_codePKciS0_iS0_.private_seg_size)
	.set _ZL9mul_mat_fI7__half2Li32ELi3ELi2ELb0EEvPKT_PKfPKiPfiiiiiiiiiiiiiiii.uses_vcc, or(1, .L_ZL14no_device_codePKciS0_iS0_.uses_vcc)
	.set _ZL9mul_mat_fI7__half2Li32ELi3ELi2ELb0EEvPKT_PKfPKiPfiiiiiiiiiiiiiiii.uses_flat_scratch, or(0, .L_ZL14no_device_codePKciS0_iS0_.uses_flat_scratch)
	.set _ZL9mul_mat_fI7__half2Li32ELi3ELi2ELb0EEvPKT_PKfPKiPfiiiiiiiiiiiiiiii.has_dyn_sized_stack, or(0, .L_ZL14no_device_codePKciS0_iS0_.has_dyn_sized_stack)
	.set _ZL9mul_mat_fI7__half2Li32ELi3ELi2ELb0EEvPKT_PKfPKiPfiiiiiiiiiiiiiiii.has_recursion, or(0, .L_ZL14no_device_codePKciS0_iS0_.has_recursion)
	.set _ZL9mul_mat_fI7__half2Li32ELi3ELi2ELb0EEvPKT_PKfPKiPfiiiiiiiiiiiiiiii.has_indirect_call, or(0, .L_ZL14no_device_codePKciS0_iS0_.has_indirect_call)
	.section	.AMDGPU.csdata,"",@progbits
; Kernel info:
; codeLenInByte = 72
; TotalNumSgprs: 40
; NumVgprs: 38
; NumAgprs: 0
; TotalNumVgprs: 38
; ScratchSize: 16
; MemoryBound: 0
; FloatMode: 240
; IeeeMode: 1
; LDSByteSize: 0 bytes/workgroup (compile time only)
; SGPRBlocks: 4
; VGPRBlocks: 4
; NumSGPRsForWavesPerEU: 40
; NumVGPRsForWavesPerEU: 38
; AccumOffset: 40
; Occupancy: 8
; WaveLimiterHint : 1
; COMPUTE_PGM_RSRC2:SCRATCH_EN: 1
; COMPUTE_PGM_RSRC2:USER_SGPR: 2
; COMPUTE_PGM_RSRC2:TRAP_HANDLER: 0
; COMPUTE_PGM_RSRC2:TGID_X_EN: 1
; COMPUTE_PGM_RSRC2:TGID_Y_EN: 0
; COMPUTE_PGM_RSRC2:TGID_Z_EN: 0
; COMPUTE_PGM_RSRC2:TIDIG_COMP_CNT: 0
; COMPUTE_PGM_RSRC3_GFX90A:ACCUM_OFFSET: 9
; COMPUTE_PGM_RSRC3_GFX90A:TG_SPLIT: 0
	.section	.text._ZL13mul_mat_f_idsI7__half2Li32ELi3ELi3EEvPKT_PKfPKiS7_S7_Pfiiiiiiiiiiiiii15HIP_vector_typeIjLj3EESA_,"axG",@progbits,_ZL13mul_mat_f_idsI7__half2Li32ELi3ELi3EEvPKT_PKfPKiS7_S7_Pfiiiiiiiiiiiiii15HIP_vector_typeIjLj3EESA_,comdat
	.globl	_ZL13mul_mat_f_idsI7__half2Li32ELi3ELi3EEvPKT_PKfPKiS7_S7_Pfiiiiiiiiiiiiii15HIP_vector_typeIjLj3EESA_ ; -- Begin function _ZL13mul_mat_f_idsI7__half2Li32ELi3ELi3EEvPKT_PKfPKiS7_S7_Pfiiiiiiiiiiiiii15HIP_vector_typeIjLj3EESA_
	.p2align	8
	.type	_ZL13mul_mat_f_idsI7__half2Li32ELi3ELi3EEvPKT_PKfPKiS7_S7_Pfiiiiiiiiiiiiii15HIP_vector_typeIjLj3EESA_,@function
_ZL13mul_mat_f_idsI7__half2Li32ELi3ELi3EEvPKT_PKfPKiS7_S7_Pfiiiiiiiiiiiiii15HIP_vector_typeIjLj3EESA_: ; @_ZL13mul_mat_f_idsI7__half2Li32ELi3ELi3EEvPKT_PKfPKiS7_S7_Pfiiiiiiiiiiiiii15HIP_vector_typeIjLj3EESA_
; %bb.0:
	s_add_u32 s8, s0, 0x80
	s_addc_u32 s9, s1, 0
	s_getpc_b64 s[0:1]
	s_add_u32 s0, s0, __FUNCTION__._ZL13mul_mat_f_idsIfLi32ELi3ELi1EEvPKT_PKfPKiS6_S6_Pfiiiiiiiiiiiiii15HIP_vector_typeIjLj3EES9_@rel32@lo+4
	s_addc_u32 s1, s1, __FUNCTION__._ZL13mul_mat_f_idsIfLi32ELi3ELi1EEvPKT_PKfPKiS6_S6_Pfiiiiiiiiiiiiii15HIP_vector_typeIjLj3EES9_@rel32@hi+12
	s_getpc_b64 s[2:3]
	s_add_u32 s2, s2, _ZL14no_device_codePKciS0_iS0_@rel32@lo+4
	s_addc_u32 s3, s3, _ZL14no_device_codePKciS0_iS0_@rel32@hi+12
	v_mov_b32_e32 v0, 0x13b
	v_mov_b32_e32 v1, s0
	;; [unrolled: 1-line block ×3, first 2 shown]
	s_mov_b32 s32, 0
	s_swappc_b64 s[30:31], s[2:3]
	.section	.rodata,"a",@progbits
	.p2align	6, 0x0
	.amdhsa_kernel _ZL13mul_mat_f_idsI7__half2Li32ELi3ELi3EEvPKT_PKfPKiS7_S7_Pfiiiiiiiiiiiiii15HIP_vector_typeIjLj3EESA_
		.amdhsa_group_segment_fixed_size 0
		.amdhsa_private_segment_fixed_size 16
		.amdhsa_kernarg_size 384
		.amdhsa_user_sgpr_count 2
		.amdhsa_user_sgpr_dispatch_ptr 0
		.amdhsa_user_sgpr_queue_ptr 0
		.amdhsa_user_sgpr_kernarg_segment_ptr 1
		.amdhsa_user_sgpr_dispatch_id 0
		.amdhsa_user_sgpr_kernarg_preload_length 0
		.amdhsa_user_sgpr_kernarg_preload_offset 0
		.amdhsa_user_sgpr_private_segment_size 0
		.amdhsa_uses_dynamic_stack 0
		.amdhsa_enable_private_segment 1
		.amdhsa_system_sgpr_workgroup_id_x 1
		.amdhsa_system_sgpr_workgroup_id_y 0
		.amdhsa_system_sgpr_workgroup_id_z 0
		.amdhsa_system_sgpr_workgroup_info 0
		.amdhsa_system_vgpr_workitem_id 0
		.amdhsa_next_free_vgpr 38
		.amdhsa_next_free_sgpr 34
		.amdhsa_accum_offset 40
		.amdhsa_reserve_vcc 1
		.amdhsa_float_round_mode_32 0
		.amdhsa_float_round_mode_16_64 0
		.amdhsa_float_denorm_mode_32 3
		.amdhsa_float_denorm_mode_16_64 3
		.amdhsa_dx10_clamp 1
		.amdhsa_ieee_mode 1
		.amdhsa_fp16_overflow 0
		.amdhsa_tg_split 0
		.amdhsa_exception_fp_ieee_invalid_op 0
		.amdhsa_exception_fp_denorm_src 0
		.amdhsa_exception_fp_ieee_div_zero 0
		.amdhsa_exception_fp_ieee_overflow 0
		.amdhsa_exception_fp_ieee_underflow 0
		.amdhsa_exception_fp_ieee_inexact 0
		.amdhsa_exception_int_div_zero 0
	.end_amdhsa_kernel
	.section	.text._ZL13mul_mat_f_idsI7__half2Li32ELi3ELi3EEvPKT_PKfPKiS7_S7_Pfiiiiiiiiiiiiii15HIP_vector_typeIjLj3EESA_,"axG",@progbits,_ZL13mul_mat_f_idsI7__half2Li32ELi3ELi3EEvPKT_PKfPKiS7_S7_Pfiiiiiiiiiiiiii15HIP_vector_typeIjLj3EESA_,comdat
.Lfunc_end33:
	.size	_ZL13mul_mat_f_idsI7__half2Li32ELi3ELi3EEvPKT_PKfPKiS7_S7_Pfiiiiiiiiiiiiii15HIP_vector_typeIjLj3EESA_, .Lfunc_end33-_ZL13mul_mat_f_idsI7__half2Li32ELi3ELi3EEvPKT_PKfPKiS7_S7_Pfiiiiiiiiiiiiii15HIP_vector_typeIjLj3EESA_
                                        ; -- End function
	.set _ZL13mul_mat_f_idsI7__half2Li32ELi3ELi3EEvPKT_PKfPKiS7_S7_Pfiiiiiiiiiiiiii15HIP_vector_typeIjLj3EESA_.num_vgpr, max(3, .L_ZL14no_device_codePKciS0_iS0_.num_vgpr)
	.set _ZL13mul_mat_f_idsI7__half2Li32ELi3ELi3EEvPKT_PKfPKiS7_S7_Pfiiiiiiiiiiiiii15HIP_vector_typeIjLj3EESA_.num_agpr, max(0, .L_ZL14no_device_codePKciS0_iS0_.num_agpr)
	.set _ZL13mul_mat_f_idsI7__half2Li32ELi3ELi3EEvPKT_PKfPKiS7_S7_Pfiiiiiiiiiiiiii15HIP_vector_typeIjLj3EESA_.numbered_sgpr, max(33, .L_ZL14no_device_codePKciS0_iS0_.numbered_sgpr)
	.set _ZL13mul_mat_f_idsI7__half2Li32ELi3ELi3EEvPKT_PKfPKiS7_S7_Pfiiiiiiiiiiiiii15HIP_vector_typeIjLj3EESA_.num_named_barrier, max(0, .L_ZL14no_device_codePKciS0_iS0_.num_named_barrier)
	.set _ZL13mul_mat_f_idsI7__half2Li32ELi3ELi3EEvPKT_PKfPKiS7_S7_Pfiiiiiiiiiiiiii15HIP_vector_typeIjLj3EESA_.private_seg_size, 0+max(.L_ZL14no_device_codePKciS0_iS0_.private_seg_size)
	.set _ZL13mul_mat_f_idsI7__half2Li32ELi3ELi3EEvPKT_PKfPKiS7_S7_Pfiiiiiiiiiiiiii15HIP_vector_typeIjLj3EESA_.uses_vcc, or(1, .L_ZL14no_device_codePKciS0_iS0_.uses_vcc)
	.set _ZL13mul_mat_f_idsI7__half2Li32ELi3ELi3EEvPKT_PKfPKiS7_S7_Pfiiiiiiiiiiiiii15HIP_vector_typeIjLj3EESA_.uses_flat_scratch, or(0, .L_ZL14no_device_codePKciS0_iS0_.uses_flat_scratch)
	.set _ZL13mul_mat_f_idsI7__half2Li32ELi3ELi3EEvPKT_PKfPKiS7_S7_Pfiiiiiiiiiiiiii15HIP_vector_typeIjLj3EESA_.has_dyn_sized_stack, or(0, .L_ZL14no_device_codePKciS0_iS0_.has_dyn_sized_stack)
	.set _ZL13mul_mat_f_idsI7__half2Li32ELi3ELi3EEvPKT_PKfPKiS7_S7_Pfiiiiiiiiiiiiii15HIP_vector_typeIjLj3EESA_.has_recursion, or(0, .L_ZL14no_device_codePKciS0_iS0_.has_recursion)
	.set _ZL13mul_mat_f_idsI7__half2Li32ELi3ELi3EEvPKT_PKfPKiS7_S7_Pfiiiiiiiiiiiiii15HIP_vector_typeIjLj3EESA_.has_indirect_call, or(0, .L_ZL14no_device_codePKciS0_iS0_.has_indirect_call)
	.section	.AMDGPU.csdata,"",@progbits
; Kernel info:
; codeLenInByte = 76
; TotalNumSgprs: 40
; NumVgprs: 38
; NumAgprs: 0
; TotalNumVgprs: 38
; ScratchSize: 16
; MemoryBound: 0
; FloatMode: 240
; IeeeMode: 1
; LDSByteSize: 0 bytes/workgroup (compile time only)
; SGPRBlocks: 4
; VGPRBlocks: 4
; NumSGPRsForWavesPerEU: 40
; NumVGPRsForWavesPerEU: 38
; AccumOffset: 40
; Occupancy: 8
; WaveLimiterHint : 1
; COMPUTE_PGM_RSRC2:SCRATCH_EN: 1
; COMPUTE_PGM_RSRC2:USER_SGPR: 2
; COMPUTE_PGM_RSRC2:TRAP_HANDLER: 0
; COMPUTE_PGM_RSRC2:TGID_X_EN: 1
; COMPUTE_PGM_RSRC2:TGID_Y_EN: 0
; COMPUTE_PGM_RSRC2:TGID_Z_EN: 0
; COMPUTE_PGM_RSRC2:TIDIG_COMP_CNT: 0
; COMPUTE_PGM_RSRC3_GFX90A:ACCUM_OFFSET: 9
; COMPUTE_PGM_RSRC3_GFX90A:TG_SPLIT: 0
	.section	.text._ZL9mul_mat_fI7__half2Li32ELi3ELi3ELb1EEvPKT_PKfPKiPfiiiiiiiiiiiiiiii,"axG",@progbits,_ZL9mul_mat_fI7__half2Li32ELi3ELi3ELb1EEvPKT_PKfPKiPfiiiiiiiiiiiiiiii,comdat
	.globl	_ZL9mul_mat_fI7__half2Li32ELi3ELi3ELb1EEvPKT_PKfPKiPfiiiiiiiiiiiiiiii ; -- Begin function _ZL9mul_mat_fI7__half2Li32ELi3ELi3ELb1EEvPKT_PKfPKiPfiiiiiiiiiiiiiiii
	.p2align	8
	.type	_ZL9mul_mat_fI7__half2Li32ELi3ELi3ELb1EEvPKT_PKfPKiPfiiiiiiiiiiiiiiii,@function
_ZL9mul_mat_fI7__half2Li32ELi3ELi3ELb1EEvPKT_PKfPKiPfiiiiiiiiiiiiiiii: ; @_ZL9mul_mat_fI7__half2Li32ELi3ELi3ELb1EEvPKT_PKfPKiPfiiiiiiiiiiiiiiii
; %bb.0:
	s_add_u32 s8, s0, 0x60
	s_addc_u32 s9, s1, 0
	s_getpc_b64 s[0:1]
	s_add_u32 s0, s0, __FUNCTION__._ZL9mul_mat_fIfLi32ELi3ELi1ELb1EEvPKT_PKfPKiPfiiiiiiiiiiiiiiii@rel32@lo+4
	s_addc_u32 s1, s1, __FUNCTION__._ZL9mul_mat_fIfLi32ELi3ELi1ELb1EEvPKT_PKfPKiPfiiiiiiiiiiiiiiii@rel32@hi+12
	s_getpc_b64 s[2:3]
	s_add_u32 s2, s2, _ZL14no_device_codePKciS0_iS0_@rel32@lo+4
	s_addc_u32 s3, s3, _ZL14no_device_codePKciS0_iS0_@rel32@hi+12
	v_mov_b32_e32 v0, 64
	v_mov_b32_e32 v1, s0
	;; [unrolled: 1-line block ×3, first 2 shown]
	s_mov_b32 s32, 0
	s_swappc_b64 s[30:31], s[2:3]
	.section	.rodata,"a",@progbits
	.p2align	6, 0x0
	.amdhsa_kernel _ZL9mul_mat_fI7__half2Li32ELi3ELi3ELb1EEvPKT_PKfPKiPfiiiiiiiiiiiiiiii
		.amdhsa_group_segment_fixed_size 0
		.amdhsa_private_segment_fixed_size 16
		.amdhsa_kernarg_size 352
		.amdhsa_user_sgpr_count 2
		.amdhsa_user_sgpr_dispatch_ptr 0
		.amdhsa_user_sgpr_queue_ptr 0
		.amdhsa_user_sgpr_kernarg_segment_ptr 1
		.amdhsa_user_sgpr_dispatch_id 0
		.amdhsa_user_sgpr_kernarg_preload_length 0
		.amdhsa_user_sgpr_kernarg_preload_offset 0
		.amdhsa_user_sgpr_private_segment_size 0
		.amdhsa_uses_dynamic_stack 0
		.amdhsa_enable_private_segment 1
		.amdhsa_system_sgpr_workgroup_id_x 1
		.amdhsa_system_sgpr_workgroup_id_y 0
		.amdhsa_system_sgpr_workgroup_id_z 0
		.amdhsa_system_sgpr_workgroup_info 0
		.amdhsa_system_vgpr_workitem_id 0
		.amdhsa_next_free_vgpr 38
		.amdhsa_next_free_sgpr 34
		.amdhsa_accum_offset 40
		.amdhsa_reserve_vcc 1
		.amdhsa_float_round_mode_32 0
		.amdhsa_float_round_mode_16_64 0
		.amdhsa_float_denorm_mode_32 3
		.amdhsa_float_denorm_mode_16_64 3
		.amdhsa_dx10_clamp 1
		.amdhsa_ieee_mode 1
		.amdhsa_fp16_overflow 0
		.amdhsa_tg_split 0
		.amdhsa_exception_fp_ieee_invalid_op 0
		.amdhsa_exception_fp_denorm_src 0
		.amdhsa_exception_fp_ieee_div_zero 0
		.amdhsa_exception_fp_ieee_overflow 0
		.amdhsa_exception_fp_ieee_underflow 0
		.amdhsa_exception_fp_ieee_inexact 0
		.amdhsa_exception_int_div_zero 0
	.end_amdhsa_kernel
	.section	.text._ZL9mul_mat_fI7__half2Li32ELi3ELi3ELb1EEvPKT_PKfPKiPfiiiiiiiiiiiiiiii,"axG",@progbits,_ZL9mul_mat_fI7__half2Li32ELi3ELi3ELb1EEvPKT_PKfPKiPfiiiiiiiiiiiiiiii,comdat
.Lfunc_end34:
	.size	_ZL9mul_mat_fI7__half2Li32ELi3ELi3ELb1EEvPKT_PKfPKiPfiiiiiiiiiiiiiiii, .Lfunc_end34-_ZL9mul_mat_fI7__half2Li32ELi3ELi3ELb1EEvPKT_PKfPKiPfiiiiiiiiiiiiiiii
                                        ; -- End function
	.set _ZL9mul_mat_fI7__half2Li32ELi3ELi3ELb1EEvPKT_PKfPKiPfiiiiiiiiiiiiiiii.num_vgpr, max(3, .L_ZL14no_device_codePKciS0_iS0_.num_vgpr)
	.set _ZL9mul_mat_fI7__half2Li32ELi3ELi3ELb1EEvPKT_PKfPKiPfiiiiiiiiiiiiiiii.num_agpr, max(0, .L_ZL14no_device_codePKciS0_iS0_.num_agpr)
	.set _ZL9mul_mat_fI7__half2Li32ELi3ELi3ELb1EEvPKT_PKfPKiPfiiiiiiiiiiiiiiii.numbered_sgpr, max(33, .L_ZL14no_device_codePKciS0_iS0_.numbered_sgpr)
	.set _ZL9mul_mat_fI7__half2Li32ELi3ELi3ELb1EEvPKT_PKfPKiPfiiiiiiiiiiiiiiii.num_named_barrier, max(0, .L_ZL14no_device_codePKciS0_iS0_.num_named_barrier)
	.set _ZL9mul_mat_fI7__half2Li32ELi3ELi3ELb1EEvPKT_PKfPKiPfiiiiiiiiiiiiiiii.private_seg_size, 0+max(.L_ZL14no_device_codePKciS0_iS0_.private_seg_size)
	.set _ZL9mul_mat_fI7__half2Li32ELi3ELi3ELb1EEvPKT_PKfPKiPfiiiiiiiiiiiiiiii.uses_vcc, or(1, .L_ZL14no_device_codePKciS0_iS0_.uses_vcc)
	.set _ZL9mul_mat_fI7__half2Li32ELi3ELi3ELb1EEvPKT_PKfPKiPfiiiiiiiiiiiiiiii.uses_flat_scratch, or(0, .L_ZL14no_device_codePKciS0_iS0_.uses_flat_scratch)
	.set _ZL9mul_mat_fI7__half2Li32ELi3ELi3ELb1EEvPKT_PKfPKiPfiiiiiiiiiiiiiiii.has_dyn_sized_stack, or(0, .L_ZL14no_device_codePKciS0_iS0_.has_dyn_sized_stack)
	.set _ZL9mul_mat_fI7__half2Li32ELi3ELi3ELb1EEvPKT_PKfPKiPfiiiiiiiiiiiiiiii.has_recursion, or(0, .L_ZL14no_device_codePKciS0_iS0_.has_recursion)
	.set _ZL9mul_mat_fI7__half2Li32ELi3ELi3ELb1EEvPKT_PKfPKiPfiiiiiiiiiiiiiiii.has_indirect_call, or(0, .L_ZL14no_device_codePKciS0_iS0_.has_indirect_call)
	.section	.AMDGPU.csdata,"",@progbits
; Kernel info:
; codeLenInByte = 72
; TotalNumSgprs: 40
; NumVgprs: 38
; NumAgprs: 0
; TotalNumVgprs: 38
; ScratchSize: 16
; MemoryBound: 0
; FloatMode: 240
; IeeeMode: 1
; LDSByteSize: 0 bytes/workgroup (compile time only)
; SGPRBlocks: 4
; VGPRBlocks: 4
; NumSGPRsForWavesPerEU: 40
; NumVGPRsForWavesPerEU: 38
; AccumOffset: 40
; Occupancy: 8
; WaveLimiterHint : 1
; COMPUTE_PGM_RSRC2:SCRATCH_EN: 1
; COMPUTE_PGM_RSRC2:USER_SGPR: 2
; COMPUTE_PGM_RSRC2:TRAP_HANDLER: 0
; COMPUTE_PGM_RSRC2:TGID_X_EN: 1
; COMPUTE_PGM_RSRC2:TGID_Y_EN: 0
; COMPUTE_PGM_RSRC2:TGID_Z_EN: 0
; COMPUTE_PGM_RSRC2:TIDIG_COMP_CNT: 0
; COMPUTE_PGM_RSRC3_GFX90A:ACCUM_OFFSET: 9
; COMPUTE_PGM_RSRC3_GFX90A:TG_SPLIT: 0
	.section	.text._ZL9mul_mat_fI7__half2Li32ELi3ELi3ELb0EEvPKT_PKfPKiPfiiiiiiiiiiiiiiii,"axG",@progbits,_ZL9mul_mat_fI7__half2Li32ELi3ELi3ELb0EEvPKT_PKfPKiPfiiiiiiiiiiiiiiii,comdat
	.globl	_ZL9mul_mat_fI7__half2Li32ELi3ELi3ELb0EEvPKT_PKfPKiPfiiiiiiiiiiiiiiii ; -- Begin function _ZL9mul_mat_fI7__half2Li32ELi3ELi3ELb0EEvPKT_PKfPKiPfiiiiiiiiiiiiiiii
	.p2align	8
	.type	_ZL9mul_mat_fI7__half2Li32ELi3ELi3ELb0EEvPKT_PKfPKiPfiiiiiiiiiiiiiiii,@function
_ZL9mul_mat_fI7__half2Li32ELi3ELi3ELb0EEvPKT_PKfPKiPfiiiiiiiiiiiiiiii: ; @_ZL9mul_mat_fI7__half2Li32ELi3ELi3ELb0EEvPKT_PKfPKiPfiiiiiiiiiiiiiiii
; %bb.0:
	s_add_u32 s8, s0, 0x60
	s_addc_u32 s9, s1, 0
	s_getpc_b64 s[0:1]
	s_add_u32 s0, s0, __FUNCTION__._ZL9mul_mat_fIfLi32ELi3ELi1ELb1EEvPKT_PKfPKiPfiiiiiiiiiiiiiiii@rel32@lo+4
	s_addc_u32 s1, s1, __FUNCTION__._ZL9mul_mat_fIfLi32ELi3ELi1ELb1EEvPKT_PKfPKiPfiiiiiiiiiiiiiiii@rel32@hi+12
	s_getpc_b64 s[2:3]
	s_add_u32 s2, s2, _ZL14no_device_codePKciS0_iS0_@rel32@lo+4
	s_addc_u32 s3, s3, _ZL14no_device_codePKciS0_iS0_@rel32@hi+12
	v_mov_b32_e32 v0, 64
	v_mov_b32_e32 v1, s0
	;; [unrolled: 1-line block ×3, first 2 shown]
	s_mov_b32 s32, 0
	s_swappc_b64 s[30:31], s[2:3]
	.section	.rodata,"a",@progbits
	.p2align	6, 0x0
	.amdhsa_kernel _ZL9mul_mat_fI7__half2Li32ELi3ELi3ELb0EEvPKT_PKfPKiPfiiiiiiiiiiiiiiii
		.amdhsa_group_segment_fixed_size 0
		.amdhsa_private_segment_fixed_size 16
		.amdhsa_kernarg_size 352
		.amdhsa_user_sgpr_count 2
		.amdhsa_user_sgpr_dispatch_ptr 0
		.amdhsa_user_sgpr_queue_ptr 0
		.amdhsa_user_sgpr_kernarg_segment_ptr 1
		.amdhsa_user_sgpr_dispatch_id 0
		.amdhsa_user_sgpr_kernarg_preload_length 0
		.amdhsa_user_sgpr_kernarg_preload_offset 0
		.amdhsa_user_sgpr_private_segment_size 0
		.amdhsa_uses_dynamic_stack 0
		.amdhsa_enable_private_segment 1
		.amdhsa_system_sgpr_workgroup_id_x 1
		.amdhsa_system_sgpr_workgroup_id_y 0
		.amdhsa_system_sgpr_workgroup_id_z 0
		.amdhsa_system_sgpr_workgroup_info 0
		.amdhsa_system_vgpr_workitem_id 0
		.amdhsa_next_free_vgpr 38
		.amdhsa_next_free_sgpr 34
		.amdhsa_accum_offset 40
		.amdhsa_reserve_vcc 1
		.amdhsa_float_round_mode_32 0
		.amdhsa_float_round_mode_16_64 0
		.amdhsa_float_denorm_mode_32 3
		.amdhsa_float_denorm_mode_16_64 3
		.amdhsa_dx10_clamp 1
		.amdhsa_ieee_mode 1
		.amdhsa_fp16_overflow 0
		.amdhsa_tg_split 0
		.amdhsa_exception_fp_ieee_invalid_op 0
		.amdhsa_exception_fp_denorm_src 0
		.amdhsa_exception_fp_ieee_div_zero 0
		.amdhsa_exception_fp_ieee_overflow 0
		.amdhsa_exception_fp_ieee_underflow 0
		.amdhsa_exception_fp_ieee_inexact 0
		.amdhsa_exception_int_div_zero 0
	.end_amdhsa_kernel
	.section	.text._ZL9mul_mat_fI7__half2Li32ELi3ELi3ELb0EEvPKT_PKfPKiPfiiiiiiiiiiiiiiii,"axG",@progbits,_ZL9mul_mat_fI7__half2Li32ELi3ELi3ELb0EEvPKT_PKfPKiPfiiiiiiiiiiiiiiii,comdat
.Lfunc_end35:
	.size	_ZL9mul_mat_fI7__half2Li32ELi3ELi3ELb0EEvPKT_PKfPKiPfiiiiiiiiiiiiiiii, .Lfunc_end35-_ZL9mul_mat_fI7__half2Li32ELi3ELi3ELb0EEvPKT_PKfPKiPfiiiiiiiiiiiiiiii
                                        ; -- End function
	.set _ZL9mul_mat_fI7__half2Li32ELi3ELi3ELb0EEvPKT_PKfPKiPfiiiiiiiiiiiiiiii.num_vgpr, max(3, .L_ZL14no_device_codePKciS0_iS0_.num_vgpr)
	.set _ZL9mul_mat_fI7__half2Li32ELi3ELi3ELb0EEvPKT_PKfPKiPfiiiiiiiiiiiiiiii.num_agpr, max(0, .L_ZL14no_device_codePKciS0_iS0_.num_agpr)
	.set _ZL9mul_mat_fI7__half2Li32ELi3ELi3ELb0EEvPKT_PKfPKiPfiiiiiiiiiiiiiiii.numbered_sgpr, max(33, .L_ZL14no_device_codePKciS0_iS0_.numbered_sgpr)
	.set _ZL9mul_mat_fI7__half2Li32ELi3ELi3ELb0EEvPKT_PKfPKiPfiiiiiiiiiiiiiiii.num_named_barrier, max(0, .L_ZL14no_device_codePKciS0_iS0_.num_named_barrier)
	.set _ZL9mul_mat_fI7__half2Li32ELi3ELi3ELb0EEvPKT_PKfPKiPfiiiiiiiiiiiiiiii.private_seg_size, 0+max(.L_ZL14no_device_codePKciS0_iS0_.private_seg_size)
	.set _ZL9mul_mat_fI7__half2Li32ELi3ELi3ELb0EEvPKT_PKfPKiPfiiiiiiiiiiiiiiii.uses_vcc, or(1, .L_ZL14no_device_codePKciS0_iS0_.uses_vcc)
	.set _ZL9mul_mat_fI7__half2Li32ELi3ELi3ELb0EEvPKT_PKfPKiPfiiiiiiiiiiiiiiii.uses_flat_scratch, or(0, .L_ZL14no_device_codePKciS0_iS0_.uses_flat_scratch)
	.set _ZL9mul_mat_fI7__half2Li32ELi3ELi3ELb0EEvPKT_PKfPKiPfiiiiiiiiiiiiiiii.has_dyn_sized_stack, or(0, .L_ZL14no_device_codePKciS0_iS0_.has_dyn_sized_stack)
	.set _ZL9mul_mat_fI7__half2Li32ELi3ELi3ELb0EEvPKT_PKfPKiPfiiiiiiiiiiiiiiii.has_recursion, or(0, .L_ZL14no_device_codePKciS0_iS0_.has_recursion)
	.set _ZL9mul_mat_fI7__half2Li32ELi3ELi3ELb0EEvPKT_PKfPKiPfiiiiiiiiiiiiiiii.has_indirect_call, or(0, .L_ZL14no_device_codePKciS0_iS0_.has_indirect_call)
	.section	.AMDGPU.csdata,"",@progbits
; Kernel info:
; codeLenInByte = 72
; TotalNumSgprs: 40
; NumVgprs: 38
; NumAgprs: 0
; TotalNumVgprs: 38
; ScratchSize: 16
; MemoryBound: 0
; FloatMode: 240
; IeeeMode: 1
; LDSByteSize: 0 bytes/workgroup (compile time only)
; SGPRBlocks: 4
; VGPRBlocks: 4
; NumSGPRsForWavesPerEU: 40
; NumVGPRsForWavesPerEU: 38
; AccumOffset: 40
; Occupancy: 8
; WaveLimiterHint : 1
; COMPUTE_PGM_RSRC2:SCRATCH_EN: 1
; COMPUTE_PGM_RSRC2:USER_SGPR: 2
; COMPUTE_PGM_RSRC2:TRAP_HANDLER: 0
; COMPUTE_PGM_RSRC2:TGID_X_EN: 1
; COMPUTE_PGM_RSRC2:TGID_Y_EN: 0
; COMPUTE_PGM_RSRC2:TGID_Z_EN: 0
; COMPUTE_PGM_RSRC2:TIDIG_COMP_CNT: 0
; COMPUTE_PGM_RSRC3_GFX90A:ACCUM_OFFSET: 9
; COMPUTE_PGM_RSRC3_GFX90A:TG_SPLIT: 0
	.section	.text._ZL13mul_mat_f_idsI7__half2Li32ELi3ELi4EEvPKT_PKfPKiS7_S7_Pfiiiiiiiiiiiiii15HIP_vector_typeIjLj3EESA_,"axG",@progbits,_ZL13mul_mat_f_idsI7__half2Li32ELi3ELi4EEvPKT_PKfPKiS7_S7_Pfiiiiiiiiiiiiii15HIP_vector_typeIjLj3EESA_,comdat
	.globl	_ZL13mul_mat_f_idsI7__half2Li32ELi3ELi4EEvPKT_PKfPKiS7_S7_Pfiiiiiiiiiiiiii15HIP_vector_typeIjLj3EESA_ ; -- Begin function _ZL13mul_mat_f_idsI7__half2Li32ELi3ELi4EEvPKT_PKfPKiS7_S7_Pfiiiiiiiiiiiiii15HIP_vector_typeIjLj3EESA_
	.p2align	8
	.type	_ZL13mul_mat_f_idsI7__half2Li32ELi3ELi4EEvPKT_PKfPKiS7_S7_Pfiiiiiiiiiiiiii15HIP_vector_typeIjLj3EESA_,@function
_ZL13mul_mat_f_idsI7__half2Li32ELi3ELi4EEvPKT_PKfPKiS7_S7_Pfiiiiiiiiiiiiii15HIP_vector_typeIjLj3EESA_: ; @_ZL13mul_mat_f_idsI7__half2Li32ELi3ELi4EEvPKT_PKfPKiS7_S7_Pfiiiiiiiiiiiiii15HIP_vector_typeIjLj3EESA_
; %bb.0:
	s_add_u32 s8, s0, 0x80
	s_addc_u32 s9, s1, 0
	s_getpc_b64 s[0:1]
	s_add_u32 s0, s0, __FUNCTION__._ZL13mul_mat_f_idsIfLi32ELi3ELi1EEvPKT_PKfPKiS6_S6_Pfiiiiiiiiiiiiii15HIP_vector_typeIjLj3EES9_@rel32@lo+4
	s_addc_u32 s1, s1, __FUNCTION__._ZL13mul_mat_f_idsIfLi32ELi3ELi1EEvPKT_PKfPKiS6_S6_Pfiiiiiiiiiiiiii15HIP_vector_typeIjLj3EES9_@rel32@hi+12
	s_getpc_b64 s[2:3]
	s_add_u32 s2, s2, _ZL14no_device_codePKciS0_iS0_@rel32@lo+4
	s_addc_u32 s3, s3, _ZL14no_device_codePKciS0_iS0_@rel32@hi+12
	v_mov_b32_e32 v0, 0x13b
	v_mov_b32_e32 v1, s0
	;; [unrolled: 1-line block ×3, first 2 shown]
	s_mov_b32 s32, 0
	s_swappc_b64 s[30:31], s[2:3]
	.section	.rodata,"a",@progbits
	.p2align	6, 0x0
	.amdhsa_kernel _ZL13mul_mat_f_idsI7__half2Li32ELi3ELi4EEvPKT_PKfPKiS7_S7_Pfiiiiiiiiiiiiii15HIP_vector_typeIjLj3EESA_
		.amdhsa_group_segment_fixed_size 0
		.amdhsa_private_segment_fixed_size 16
		.amdhsa_kernarg_size 384
		.amdhsa_user_sgpr_count 2
		.amdhsa_user_sgpr_dispatch_ptr 0
		.amdhsa_user_sgpr_queue_ptr 0
		.amdhsa_user_sgpr_kernarg_segment_ptr 1
		.amdhsa_user_sgpr_dispatch_id 0
		.amdhsa_user_sgpr_kernarg_preload_length 0
		.amdhsa_user_sgpr_kernarg_preload_offset 0
		.amdhsa_user_sgpr_private_segment_size 0
		.amdhsa_uses_dynamic_stack 0
		.amdhsa_enable_private_segment 1
		.amdhsa_system_sgpr_workgroup_id_x 1
		.amdhsa_system_sgpr_workgroup_id_y 0
		.amdhsa_system_sgpr_workgroup_id_z 0
		.amdhsa_system_sgpr_workgroup_info 0
		.amdhsa_system_vgpr_workitem_id 0
		.amdhsa_next_free_vgpr 38
		.amdhsa_next_free_sgpr 34
		.amdhsa_accum_offset 40
		.amdhsa_reserve_vcc 1
		.amdhsa_float_round_mode_32 0
		.amdhsa_float_round_mode_16_64 0
		.amdhsa_float_denorm_mode_32 3
		.amdhsa_float_denorm_mode_16_64 3
		.amdhsa_dx10_clamp 1
		.amdhsa_ieee_mode 1
		.amdhsa_fp16_overflow 0
		.amdhsa_tg_split 0
		.amdhsa_exception_fp_ieee_invalid_op 0
		.amdhsa_exception_fp_denorm_src 0
		.amdhsa_exception_fp_ieee_div_zero 0
		.amdhsa_exception_fp_ieee_overflow 0
		.amdhsa_exception_fp_ieee_underflow 0
		.amdhsa_exception_fp_ieee_inexact 0
		.amdhsa_exception_int_div_zero 0
	.end_amdhsa_kernel
	.section	.text._ZL13mul_mat_f_idsI7__half2Li32ELi3ELi4EEvPKT_PKfPKiS7_S7_Pfiiiiiiiiiiiiii15HIP_vector_typeIjLj3EESA_,"axG",@progbits,_ZL13mul_mat_f_idsI7__half2Li32ELi3ELi4EEvPKT_PKfPKiS7_S7_Pfiiiiiiiiiiiiii15HIP_vector_typeIjLj3EESA_,comdat
.Lfunc_end36:
	.size	_ZL13mul_mat_f_idsI7__half2Li32ELi3ELi4EEvPKT_PKfPKiS7_S7_Pfiiiiiiiiiiiiii15HIP_vector_typeIjLj3EESA_, .Lfunc_end36-_ZL13mul_mat_f_idsI7__half2Li32ELi3ELi4EEvPKT_PKfPKiS7_S7_Pfiiiiiiiiiiiiii15HIP_vector_typeIjLj3EESA_
                                        ; -- End function
	.set _ZL13mul_mat_f_idsI7__half2Li32ELi3ELi4EEvPKT_PKfPKiS7_S7_Pfiiiiiiiiiiiiii15HIP_vector_typeIjLj3EESA_.num_vgpr, max(3, .L_ZL14no_device_codePKciS0_iS0_.num_vgpr)
	.set _ZL13mul_mat_f_idsI7__half2Li32ELi3ELi4EEvPKT_PKfPKiS7_S7_Pfiiiiiiiiiiiiii15HIP_vector_typeIjLj3EESA_.num_agpr, max(0, .L_ZL14no_device_codePKciS0_iS0_.num_agpr)
	.set _ZL13mul_mat_f_idsI7__half2Li32ELi3ELi4EEvPKT_PKfPKiS7_S7_Pfiiiiiiiiiiiiii15HIP_vector_typeIjLj3EESA_.numbered_sgpr, max(33, .L_ZL14no_device_codePKciS0_iS0_.numbered_sgpr)
	.set _ZL13mul_mat_f_idsI7__half2Li32ELi3ELi4EEvPKT_PKfPKiS7_S7_Pfiiiiiiiiiiiiii15HIP_vector_typeIjLj3EESA_.num_named_barrier, max(0, .L_ZL14no_device_codePKciS0_iS0_.num_named_barrier)
	.set _ZL13mul_mat_f_idsI7__half2Li32ELi3ELi4EEvPKT_PKfPKiS7_S7_Pfiiiiiiiiiiiiii15HIP_vector_typeIjLj3EESA_.private_seg_size, 0+max(.L_ZL14no_device_codePKciS0_iS0_.private_seg_size)
	.set _ZL13mul_mat_f_idsI7__half2Li32ELi3ELi4EEvPKT_PKfPKiS7_S7_Pfiiiiiiiiiiiiii15HIP_vector_typeIjLj3EESA_.uses_vcc, or(1, .L_ZL14no_device_codePKciS0_iS0_.uses_vcc)
	.set _ZL13mul_mat_f_idsI7__half2Li32ELi3ELi4EEvPKT_PKfPKiS7_S7_Pfiiiiiiiiiiiiii15HIP_vector_typeIjLj3EESA_.uses_flat_scratch, or(0, .L_ZL14no_device_codePKciS0_iS0_.uses_flat_scratch)
	.set _ZL13mul_mat_f_idsI7__half2Li32ELi3ELi4EEvPKT_PKfPKiS7_S7_Pfiiiiiiiiiiiiii15HIP_vector_typeIjLj3EESA_.has_dyn_sized_stack, or(0, .L_ZL14no_device_codePKciS0_iS0_.has_dyn_sized_stack)
	.set _ZL13mul_mat_f_idsI7__half2Li32ELi3ELi4EEvPKT_PKfPKiS7_S7_Pfiiiiiiiiiiiiii15HIP_vector_typeIjLj3EESA_.has_recursion, or(0, .L_ZL14no_device_codePKciS0_iS0_.has_recursion)
	.set _ZL13mul_mat_f_idsI7__half2Li32ELi3ELi4EEvPKT_PKfPKiS7_S7_Pfiiiiiiiiiiiiii15HIP_vector_typeIjLj3EESA_.has_indirect_call, or(0, .L_ZL14no_device_codePKciS0_iS0_.has_indirect_call)
	.section	.AMDGPU.csdata,"",@progbits
; Kernel info:
; codeLenInByte = 76
; TotalNumSgprs: 40
; NumVgprs: 38
; NumAgprs: 0
; TotalNumVgprs: 38
; ScratchSize: 16
; MemoryBound: 0
; FloatMode: 240
; IeeeMode: 1
; LDSByteSize: 0 bytes/workgroup (compile time only)
; SGPRBlocks: 4
; VGPRBlocks: 4
; NumSGPRsForWavesPerEU: 40
; NumVGPRsForWavesPerEU: 38
; AccumOffset: 40
; Occupancy: 8
; WaveLimiterHint : 1
; COMPUTE_PGM_RSRC2:SCRATCH_EN: 1
; COMPUTE_PGM_RSRC2:USER_SGPR: 2
; COMPUTE_PGM_RSRC2:TRAP_HANDLER: 0
; COMPUTE_PGM_RSRC2:TGID_X_EN: 1
; COMPUTE_PGM_RSRC2:TGID_Y_EN: 0
; COMPUTE_PGM_RSRC2:TGID_Z_EN: 0
; COMPUTE_PGM_RSRC2:TIDIG_COMP_CNT: 0
; COMPUTE_PGM_RSRC3_GFX90A:ACCUM_OFFSET: 9
; COMPUTE_PGM_RSRC3_GFX90A:TG_SPLIT: 0
	.section	.text._ZL9mul_mat_fI7__half2Li32ELi3ELi4ELb1EEvPKT_PKfPKiPfiiiiiiiiiiiiiiii,"axG",@progbits,_ZL9mul_mat_fI7__half2Li32ELi3ELi4ELb1EEvPKT_PKfPKiPfiiiiiiiiiiiiiiii,comdat
	.globl	_ZL9mul_mat_fI7__half2Li32ELi3ELi4ELb1EEvPKT_PKfPKiPfiiiiiiiiiiiiiiii ; -- Begin function _ZL9mul_mat_fI7__half2Li32ELi3ELi4ELb1EEvPKT_PKfPKiPfiiiiiiiiiiiiiiii
	.p2align	8
	.type	_ZL9mul_mat_fI7__half2Li32ELi3ELi4ELb1EEvPKT_PKfPKiPfiiiiiiiiiiiiiiii,@function
_ZL9mul_mat_fI7__half2Li32ELi3ELi4ELb1EEvPKT_PKfPKiPfiiiiiiiiiiiiiiii: ; @_ZL9mul_mat_fI7__half2Li32ELi3ELi4ELb1EEvPKT_PKfPKiPfiiiiiiiiiiiiiiii
; %bb.0:
	s_add_u32 s8, s0, 0x60
	s_addc_u32 s9, s1, 0
	s_getpc_b64 s[0:1]
	s_add_u32 s0, s0, __FUNCTION__._ZL9mul_mat_fIfLi32ELi3ELi1ELb1EEvPKT_PKfPKiPfiiiiiiiiiiiiiiii@rel32@lo+4
	s_addc_u32 s1, s1, __FUNCTION__._ZL9mul_mat_fIfLi32ELi3ELi1ELb1EEvPKT_PKfPKiPfiiiiiiiiiiiiiiii@rel32@hi+12
	s_getpc_b64 s[2:3]
	s_add_u32 s2, s2, _ZL14no_device_codePKciS0_iS0_@rel32@lo+4
	s_addc_u32 s3, s3, _ZL14no_device_codePKciS0_iS0_@rel32@hi+12
	v_mov_b32_e32 v0, 64
	v_mov_b32_e32 v1, s0
	;; [unrolled: 1-line block ×3, first 2 shown]
	s_mov_b32 s32, 0
	s_swappc_b64 s[30:31], s[2:3]
	.section	.rodata,"a",@progbits
	.p2align	6, 0x0
	.amdhsa_kernel _ZL9mul_mat_fI7__half2Li32ELi3ELi4ELb1EEvPKT_PKfPKiPfiiiiiiiiiiiiiiii
		.amdhsa_group_segment_fixed_size 0
		.amdhsa_private_segment_fixed_size 16
		.amdhsa_kernarg_size 352
		.amdhsa_user_sgpr_count 2
		.amdhsa_user_sgpr_dispatch_ptr 0
		.amdhsa_user_sgpr_queue_ptr 0
		.amdhsa_user_sgpr_kernarg_segment_ptr 1
		.amdhsa_user_sgpr_dispatch_id 0
		.amdhsa_user_sgpr_kernarg_preload_length 0
		.amdhsa_user_sgpr_kernarg_preload_offset 0
		.amdhsa_user_sgpr_private_segment_size 0
		.amdhsa_uses_dynamic_stack 0
		.amdhsa_enable_private_segment 1
		.amdhsa_system_sgpr_workgroup_id_x 1
		.amdhsa_system_sgpr_workgroup_id_y 0
		.amdhsa_system_sgpr_workgroup_id_z 0
		.amdhsa_system_sgpr_workgroup_info 0
		.amdhsa_system_vgpr_workitem_id 0
		.amdhsa_next_free_vgpr 38
		.amdhsa_next_free_sgpr 34
		.amdhsa_accum_offset 40
		.amdhsa_reserve_vcc 1
		.amdhsa_float_round_mode_32 0
		.amdhsa_float_round_mode_16_64 0
		.amdhsa_float_denorm_mode_32 3
		.amdhsa_float_denorm_mode_16_64 3
		.amdhsa_dx10_clamp 1
		.amdhsa_ieee_mode 1
		.amdhsa_fp16_overflow 0
		.amdhsa_tg_split 0
		.amdhsa_exception_fp_ieee_invalid_op 0
		.amdhsa_exception_fp_denorm_src 0
		.amdhsa_exception_fp_ieee_div_zero 0
		.amdhsa_exception_fp_ieee_overflow 0
		.amdhsa_exception_fp_ieee_underflow 0
		.amdhsa_exception_fp_ieee_inexact 0
		.amdhsa_exception_int_div_zero 0
	.end_amdhsa_kernel
	.section	.text._ZL9mul_mat_fI7__half2Li32ELi3ELi4ELb1EEvPKT_PKfPKiPfiiiiiiiiiiiiiiii,"axG",@progbits,_ZL9mul_mat_fI7__half2Li32ELi3ELi4ELb1EEvPKT_PKfPKiPfiiiiiiiiiiiiiiii,comdat
.Lfunc_end37:
	.size	_ZL9mul_mat_fI7__half2Li32ELi3ELi4ELb1EEvPKT_PKfPKiPfiiiiiiiiiiiiiiii, .Lfunc_end37-_ZL9mul_mat_fI7__half2Li32ELi3ELi4ELb1EEvPKT_PKfPKiPfiiiiiiiiiiiiiiii
                                        ; -- End function
	.set _ZL9mul_mat_fI7__half2Li32ELi3ELi4ELb1EEvPKT_PKfPKiPfiiiiiiiiiiiiiiii.num_vgpr, max(3, .L_ZL14no_device_codePKciS0_iS0_.num_vgpr)
	.set _ZL9mul_mat_fI7__half2Li32ELi3ELi4ELb1EEvPKT_PKfPKiPfiiiiiiiiiiiiiiii.num_agpr, max(0, .L_ZL14no_device_codePKciS0_iS0_.num_agpr)
	.set _ZL9mul_mat_fI7__half2Li32ELi3ELi4ELb1EEvPKT_PKfPKiPfiiiiiiiiiiiiiiii.numbered_sgpr, max(33, .L_ZL14no_device_codePKciS0_iS0_.numbered_sgpr)
	.set _ZL9mul_mat_fI7__half2Li32ELi3ELi4ELb1EEvPKT_PKfPKiPfiiiiiiiiiiiiiiii.num_named_barrier, max(0, .L_ZL14no_device_codePKciS0_iS0_.num_named_barrier)
	.set _ZL9mul_mat_fI7__half2Li32ELi3ELi4ELb1EEvPKT_PKfPKiPfiiiiiiiiiiiiiiii.private_seg_size, 0+max(.L_ZL14no_device_codePKciS0_iS0_.private_seg_size)
	.set _ZL9mul_mat_fI7__half2Li32ELi3ELi4ELb1EEvPKT_PKfPKiPfiiiiiiiiiiiiiiii.uses_vcc, or(1, .L_ZL14no_device_codePKciS0_iS0_.uses_vcc)
	.set _ZL9mul_mat_fI7__half2Li32ELi3ELi4ELb1EEvPKT_PKfPKiPfiiiiiiiiiiiiiiii.uses_flat_scratch, or(0, .L_ZL14no_device_codePKciS0_iS0_.uses_flat_scratch)
	.set _ZL9mul_mat_fI7__half2Li32ELi3ELi4ELb1EEvPKT_PKfPKiPfiiiiiiiiiiiiiiii.has_dyn_sized_stack, or(0, .L_ZL14no_device_codePKciS0_iS0_.has_dyn_sized_stack)
	.set _ZL9mul_mat_fI7__half2Li32ELi3ELi4ELb1EEvPKT_PKfPKiPfiiiiiiiiiiiiiiii.has_recursion, or(0, .L_ZL14no_device_codePKciS0_iS0_.has_recursion)
	.set _ZL9mul_mat_fI7__half2Li32ELi3ELi4ELb1EEvPKT_PKfPKiPfiiiiiiiiiiiiiiii.has_indirect_call, or(0, .L_ZL14no_device_codePKciS0_iS0_.has_indirect_call)
	.section	.AMDGPU.csdata,"",@progbits
; Kernel info:
; codeLenInByte = 72
; TotalNumSgprs: 40
; NumVgprs: 38
; NumAgprs: 0
; TotalNumVgprs: 38
; ScratchSize: 16
; MemoryBound: 0
; FloatMode: 240
; IeeeMode: 1
; LDSByteSize: 0 bytes/workgroup (compile time only)
; SGPRBlocks: 4
; VGPRBlocks: 4
; NumSGPRsForWavesPerEU: 40
; NumVGPRsForWavesPerEU: 38
; AccumOffset: 40
; Occupancy: 8
; WaveLimiterHint : 1
; COMPUTE_PGM_RSRC2:SCRATCH_EN: 1
; COMPUTE_PGM_RSRC2:USER_SGPR: 2
; COMPUTE_PGM_RSRC2:TRAP_HANDLER: 0
; COMPUTE_PGM_RSRC2:TGID_X_EN: 1
; COMPUTE_PGM_RSRC2:TGID_Y_EN: 0
; COMPUTE_PGM_RSRC2:TGID_Z_EN: 0
; COMPUTE_PGM_RSRC2:TIDIG_COMP_CNT: 0
; COMPUTE_PGM_RSRC3_GFX90A:ACCUM_OFFSET: 9
; COMPUTE_PGM_RSRC3_GFX90A:TG_SPLIT: 0
	.section	.text._ZL9mul_mat_fI7__half2Li32ELi3ELi4ELb0EEvPKT_PKfPKiPfiiiiiiiiiiiiiiii,"axG",@progbits,_ZL9mul_mat_fI7__half2Li32ELi3ELi4ELb0EEvPKT_PKfPKiPfiiiiiiiiiiiiiiii,comdat
	.globl	_ZL9mul_mat_fI7__half2Li32ELi3ELi4ELb0EEvPKT_PKfPKiPfiiiiiiiiiiiiiiii ; -- Begin function _ZL9mul_mat_fI7__half2Li32ELi3ELi4ELb0EEvPKT_PKfPKiPfiiiiiiiiiiiiiiii
	.p2align	8
	.type	_ZL9mul_mat_fI7__half2Li32ELi3ELi4ELb0EEvPKT_PKfPKiPfiiiiiiiiiiiiiiii,@function
_ZL9mul_mat_fI7__half2Li32ELi3ELi4ELb0EEvPKT_PKfPKiPfiiiiiiiiiiiiiiii: ; @_ZL9mul_mat_fI7__half2Li32ELi3ELi4ELb0EEvPKT_PKfPKiPfiiiiiiiiiiiiiiii
; %bb.0:
	s_add_u32 s8, s0, 0x60
	s_addc_u32 s9, s1, 0
	s_getpc_b64 s[0:1]
	s_add_u32 s0, s0, __FUNCTION__._ZL9mul_mat_fIfLi32ELi3ELi1ELb1EEvPKT_PKfPKiPfiiiiiiiiiiiiiiii@rel32@lo+4
	s_addc_u32 s1, s1, __FUNCTION__._ZL9mul_mat_fIfLi32ELi3ELi1ELb1EEvPKT_PKfPKiPfiiiiiiiiiiiiiiii@rel32@hi+12
	s_getpc_b64 s[2:3]
	s_add_u32 s2, s2, _ZL14no_device_codePKciS0_iS0_@rel32@lo+4
	s_addc_u32 s3, s3, _ZL14no_device_codePKciS0_iS0_@rel32@hi+12
	v_mov_b32_e32 v0, 64
	v_mov_b32_e32 v1, s0
	;; [unrolled: 1-line block ×3, first 2 shown]
	s_mov_b32 s32, 0
	s_swappc_b64 s[30:31], s[2:3]
	.section	.rodata,"a",@progbits
	.p2align	6, 0x0
	.amdhsa_kernel _ZL9mul_mat_fI7__half2Li32ELi3ELi4ELb0EEvPKT_PKfPKiPfiiiiiiiiiiiiiiii
		.amdhsa_group_segment_fixed_size 0
		.amdhsa_private_segment_fixed_size 16
		.amdhsa_kernarg_size 352
		.amdhsa_user_sgpr_count 2
		.amdhsa_user_sgpr_dispatch_ptr 0
		.amdhsa_user_sgpr_queue_ptr 0
		.amdhsa_user_sgpr_kernarg_segment_ptr 1
		.amdhsa_user_sgpr_dispatch_id 0
		.amdhsa_user_sgpr_kernarg_preload_length 0
		.amdhsa_user_sgpr_kernarg_preload_offset 0
		.amdhsa_user_sgpr_private_segment_size 0
		.amdhsa_uses_dynamic_stack 0
		.amdhsa_enable_private_segment 1
		.amdhsa_system_sgpr_workgroup_id_x 1
		.amdhsa_system_sgpr_workgroup_id_y 0
		.amdhsa_system_sgpr_workgroup_id_z 0
		.amdhsa_system_sgpr_workgroup_info 0
		.amdhsa_system_vgpr_workitem_id 0
		.amdhsa_next_free_vgpr 38
		.amdhsa_next_free_sgpr 34
		.amdhsa_accum_offset 40
		.amdhsa_reserve_vcc 1
		.amdhsa_float_round_mode_32 0
		.amdhsa_float_round_mode_16_64 0
		.amdhsa_float_denorm_mode_32 3
		.amdhsa_float_denorm_mode_16_64 3
		.amdhsa_dx10_clamp 1
		.amdhsa_ieee_mode 1
		.amdhsa_fp16_overflow 0
		.amdhsa_tg_split 0
		.amdhsa_exception_fp_ieee_invalid_op 0
		.amdhsa_exception_fp_denorm_src 0
		.amdhsa_exception_fp_ieee_div_zero 0
		.amdhsa_exception_fp_ieee_overflow 0
		.amdhsa_exception_fp_ieee_underflow 0
		.amdhsa_exception_fp_ieee_inexact 0
		.amdhsa_exception_int_div_zero 0
	.end_amdhsa_kernel
	.section	.text._ZL9mul_mat_fI7__half2Li32ELi3ELi4ELb0EEvPKT_PKfPKiPfiiiiiiiiiiiiiiii,"axG",@progbits,_ZL9mul_mat_fI7__half2Li32ELi3ELi4ELb0EEvPKT_PKfPKiPfiiiiiiiiiiiiiiii,comdat
.Lfunc_end38:
	.size	_ZL9mul_mat_fI7__half2Li32ELi3ELi4ELb0EEvPKT_PKfPKiPfiiiiiiiiiiiiiiii, .Lfunc_end38-_ZL9mul_mat_fI7__half2Li32ELi3ELi4ELb0EEvPKT_PKfPKiPfiiiiiiiiiiiiiiii
                                        ; -- End function
	.set _ZL9mul_mat_fI7__half2Li32ELi3ELi4ELb0EEvPKT_PKfPKiPfiiiiiiiiiiiiiiii.num_vgpr, max(3, .L_ZL14no_device_codePKciS0_iS0_.num_vgpr)
	.set _ZL9mul_mat_fI7__half2Li32ELi3ELi4ELb0EEvPKT_PKfPKiPfiiiiiiiiiiiiiiii.num_agpr, max(0, .L_ZL14no_device_codePKciS0_iS0_.num_agpr)
	.set _ZL9mul_mat_fI7__half2Li32ELi3ELi4ELb0EEvPKT_PKfPKiPfiiiiiiiiiiiiiiii.numbered_sgpr, max(33, .L_ZL14no_device_codePKciS0_iS0_.numbered_sgpr)
	.set _ZL9mul_mat_fI7__half2Li32ELi3ELi4ELb0EEvPKT_PKfPKiPfiiiiiiiiiiiiiiii.num_named_barrier, max(0, .L_ZL14no_device_codePKciS0_iS0_.num_named_barrier)
	.set _ZL9mul_mat_fI7__half2Li32ELi3ELi4ELb0EEvPKT_PKfPKiPfiiiiiiiiiiiiiiii.private_seg_size, 0+max(.L_ZL14no_device_codePKciS0_iS0_.private_seg_size)
	.set _ZL9mul_mat_fI7__half2Li32ELi3ELi4ELb0EEvPKT_PKfPKiPfiiiiiiiiiiiiiiii.uses_vcc, or(1, .L_ZL14no_device_codePKciS0_iS0_.uses_vcc)
	.set _ZL9mul_mat_fI7__half2Li32ELi3ELi4ELb0EEvPKT_PKfPKiPfiiiiiiiiiiiiiiii.uses_flat_scratch, or(0, .L_ZL14no_device_codePKciS0_iS0_.uses_flat_scratch)
	.set _ZL9mul_mat_fI7__half2Li32ELi3ELi4ELb0EEvPKT_PKfPKiPfiiiiiiiiiiiiiiii.has_dyn_sized_stack, or(0, .L_ZL14no_device_codePKciS0_iS0_.has_dyn_sized_stack)
	.set _ZL9mul_mat_fI7__half2Li32ELi3ELi4ELb0EEvPKT_PKfPKiPfiiiiiiiiiiiiiiii.has_recursion, or(0, .L_ZL14no_device_codePKciS0_iS0_.has_recursion)
	.set _ZL9mul_mat_fI7__half2Li32ELi3ELi4ELb0EEvPKT_PKfPKiPfiiiiiiiiiiiiiiii.has_indirect_call, or(0, .L_ZL14no_device_codePKciS0_iS0_.has_indirect_call)
	.section	.AMDGPU.csdata,"",@progbits
; Kernel info:
; codeLenInByte = 72
; TotalNumSgprs: 40
; NumVgprs: 38
; NumAgprs: 0
; TotalNumVgprs: 38
; ScratchSize: 16
; MemoryBound: 0
; FloatMode: 240
; IeeeMode: 1
; LDSByteSize: 0 bytes/workgroup (compile time only)
; SGPRBlocks: 4
; VGPRBlocks: 4
; NumSGPRsForWavesPerEU: 40
; NumVGPRsForWavesPerEU: 38
; AccumOffset: 40
; Occupancy: 8
; WaveLimiterHint : 1
; COMPUTE_PGM_RSRC2:SCRATCH_EN: 1
; COMPUTE_PGM_RSRC2:USER_SGPR: 2
; COMPUTE_PGM_RSRC2:TRAP_HANDLER: 0
; COMPUTE_PGM_RSRC2:TGID_X_EN: 1
; COMPUTE_PGM_RSRC2:TGID_Y_EN: 0
; COMPUTE_PGM_RSRC2:TGID_Z_EN: 0
; COMPUTE_PGM_RSRC2:TIDIG_COMP_CNT: 0
; COMPUTE_PGM_RSRC3_GFX90A:ACCUM_OFFSET: 9
; COMPUTE_PGM_RSRC3_GFX90A:TG_SPLIT: 0
	.section	.text._ZL13mul_mat_f_idsI7__half2Li32ELi3ELi5EEvPKT_PKfPKiS7_S7_Pfiiiiiiiiiiiiii15HIP_vector_typeIjLj3EESA_,"axG",@progbits,_ZL13mul_mat_f_idsI7__half2Li32ELi3ELi5EEvPKT_PKfPKiS7_S7_Pfiiiiiiiiiiiiii15HIP_vector_typeIjLj3EESA_,comdat
	.globl	_ZL13mul_mat_f_idsI7__half2Li32ELi3ELi5EEvPKT_PKfPKiS7_S7_Pfiiiiiiiiiiiiii15HIP_vector_typeIjLj3EESA_ ; -- Begin function _ZL13mul_mat_f_idsI7__half2Li32ELi3ELi5EEvPKT_PKfPKiS7_S7_Pfiiiiiiiiiiiiii15HIP_vector_typeIjLj3EESA_
	.p2align	8
	.type	_ZL13mul_mat_f_idsI7__half2Li32ELi3ELi5EEvPKT_PKfPKiS7_S7_Pfiiiiiiiiiiiiii15HIP_vector_typeIjLj3EESA_,@function
_ZL13mul_mat_f_idsI7__half2Li32ELi3ELi5EEvPKT_PKfPKiS7_S7_Pfiiiiiiiiiiiiii15HIP_vector_typeIjLj3EESA_: ; @_ZL13mul_mat_f_idsI7__half2Li32ELi3ELi5EEvPKT_PKfPKiS7_S7_Pfiiiiiiiiiiiiii15HIP_vector_typeIjLj3EESA_
; %bb.0:
	s_add_u32 s8, s0, 0x80
	s_addc_u32 s9, s1, 0
	s_getpc_b64 s[0:1]
	s_add_u32 s0, s0, __FUNCTION__._ZL13mul_mat_f_idsIfLi32ELi3ELi1EEvPKT_PKfPKiS6_S6_Pfiiiiiiiiiiiiii15HIP_vector_typeIjLj3EES9_@rel32@lo+4
	s_addc_u32 s1, s1, __FUNCTION__._ZL13mul_mat_f_idsIfLi32ELi3ELi1EEvPKT_PKfPKiS6_S6_Pfiiiiiiiiiiiiii15HIP_vector_typeIjLj3EES9_@rel32@hi+12
	s_getpc_b64 s[2:3]
	s_add_u32 s2, s2, _ZL14no_device_codePKciS0_iS0_@rel32@lo+4
	s_addc_u32 s3, s3, _ZL14no_device_codePKciS0_iS0_@rel32@hi+12
	v_mov_b32_e32 v0, 0x13b
	v_mov_b32_e32 v1, s0
	;; [unrolled: 1-line block ×3, first 2 shown]
	s_mov_b32 s32, 0
	s_swappc_b64 s[30:31], s[2:3]
	.section	.rodata,"a",@progbits
	.p2align	6, 0x0
	.amdhsa_kernel _ZL13mul_mat_f_idsI7__half2Li32ELi3ELi5EEvPKT_PKfPKiS7_S7_Pfiiiiiiiiiiiiii15HIP_vector_typeIjLj3EESA_
		.amdhsa_group_segment_fixed_size 0
		.amdhsa_private_segment_fixed_size 16
		.amdhsa_kernarg_size 384
		.amdhsa_user_sgpr_count 2
		.amdhsa_user_sgpr_dispatch_ptr 0
		.amdhsa_user_sgpr_queue_ptr 0
		.amdhsa_user_sgpr_kernarg_segment_ptr 1
		.amdhsa_user_sgpr_dispatch_id 0
		.amdhsa_user_sgpr_kernarg_preload_length 0
		.amdhsa_user_sgpr_kernarg_preload_offset 0
		.amdhsa_user_sgpr_private_segment_size 0
		.amdhsa_uses_dynamic_stack 0
		.amdhsa_enable_private_segment 1
		.amdhsa_system_sgpr_workgroup_id_x 1
		.amdhsa_system_sgpr_workgroup_id_y 0
		.amdhsa_system_sgpr_workgroup_id_z 0
		.amdhsa_system_sgpr_workgroup_info 0
		.amdhsa_system_vgpr_workitem_id 0
		.amdhsa_next_free_vgpr 38
		.amdhsa_next_free_sgpr 34
		.amdhsa_accum_offset 40
		.amdhsa_reserve_vcc 1
		.amdhsa_float_round_mode_32 0
		.amdhsa_float_round_mode_16_64 0
		.amdhsa_float_denorm_mode_32 3
		.amdhsa_float_denorm_mode_16_64 3
		.amdhsa_dx10_clamp 1
		.amdhsa_ieee_mode 1
		.amdhsa_fp16_overflow 0
		.amdhsa_tg_split 0
		.amdhsa_exception_fp_ieee_invalid_op 0
		.amdhsa_exception_fp_denorm_src 0
		.amdhsa_exception_fp_ieee_div_zero 0
		.amdhsa_exception_fp_ieee_overflow 0
		.amdhsa_exception_fp_ieee_underflow 0
		.amdhsa_exception_fp_ieee_inexact 0
		.amdhsa_exception_int_div_zero 0
	.end_amdhsa_kernel
	.section	.text._ZL13mul_mat_f_idsI7__half2Li32ELi3ELi5EEvPKT_PKfPKiS7_S7_Pfiiiiiiiiiiiiii15HIP_vector_typeIjLj3EESA_,"axG",@progbits,_ZL13mul_mat_f_idsI7__half2Li32ELi3ELi5EEvPKT_PKfPKiS7_S7_Pfiiiiiiiiiiiiii15HIP_vector_typeIjLj3EESA_,comdat
.Lfunc_end39:
	.size	_ZL13mul_mat_f_idsI7__half2Li32ELi3ELi5EEvPKT_PKfPKiS7_S7_Pfiiiiiiiiiiiiii15HIP_vector_typeIjLj3EESA_, .Lfunc_end39-_ZL13mul_mat_f_idsI7__half2Li32ELi3ELi5EEvPKT_PKfPKiS7_S7_Pfiiiiiiiiiiiiii15HIP_vector_typeIjLj3EESA_
                                        ; -- End function
	.set _ZL13mul_mat_f_idsI7__half2Li32ELi3ELi5EEvPKT_PKfPKiS7_S7_Pfiiiiiiiiiiiiii15HIP_vector_typeIjLj3EESA_.num_vgpr, max(3, .L_ZL14no_device_codePKciS0_iS0_.num_vgpr)
	.set _ZL13mul_mat_f_idsI7__half2Li32ELi3ELi5EEvPKT_PKfPKiS7_S7_Pfiiiiiiiiiiiiii15HIP_vector_typeIjLj3EESA_.num_agpr, max(0, .L_ZL14no_device_codePKciS0_iS0_.num_agpr)
	.set _ZL13mul_mat_f_idsI7__half2Li32ELi3ELi5EEvPKT_PKfPKiS7_S7_Pfiiiiiiiiiiiiii15HIP_vector_typeIjLj3EESA_.numbered_sgpr, max(33, .L_ZL14no_device_codePKciS0_iS0_.numbered_sgpr)
	.set _ZL13mul_mat_f_idsI7__half2Li32ELi3ELi5EEvPKT_PKfPKiS7_S7_Pfiiiiiiiiiiiiii15HIP_vector_typeIjLj3EESA_.num_named_barrier, max(0, .L_ZL14no_device_codePKciS0_iS0_.num_named_barrier)
	.set _ZL13mul_mat_f_idsI7__half2Li32ELi3ELi5EEvPKT_PKfPKiS7_S7_Pfiiiiiiiiiiiiii15HIP_vector_typeIjLj3EESA_.private_seg_size, 0+max(.L_ZL14no_device_codePKciS0_iS0_.private_seg_size)
	.set _ZL13mul_mat_f_idsI7__half2Li32ELi3ELi5EEvPKT_PKfPKiS7_S7_Pfiiiiiiiiiiiiii15HIP_vector_typeIjLj3EESA_.uses_vcc, or(1, .L_ZL14no_device_codePKciS0_iS0_.uses_vcc)
	.set _ZL13mul_mat_f_idsI7__half2Li32ELi3ELi5EEvPKT_PKfPKiS7_S7_Pfiiiiiiiiiiiiii15HIP_vector_typeIjLj3EESA_.uses_flat_scratch, or(0, .L_ZL14no_device_codePKciS0_iS0_.uses_flat_scratch)
	.set _ZL13mul_mat_f_idsI7__half2Li32ELi3ELi5EEvPKT_PKfPKiS7_S7_Pfiiiiiiiiiiiiii15HIP_vector_typeIjLj3EESA_.has_dyn_sized_stack, or(0, .L_ZL14no_device_codePKciS0_iS0_.has_dyn_sized_stack)
	.set _ZL13mul_mat_f_idsI7__half2Li32ELi3ELi5EEvPKT_PKfPKiS7_S7_Pfiiiiiiiiiiiiii15HIP_vector_typeIjLj3EESA_.has_recursion, or(0, .L_ZL14no_device_codePKciS0_iS0_.has_recursion)
	.set _ZL13mul_mat_f_idsI7__half2Li32ELi3ELi5EEvPKT_PKfPKiS7_S7_Pfiiiiiiiiiiiiii15HIP_vector_typeIjLj3EESA_.has_indirect_call, or(0, .L_ZL14no_device_codePKciS0_iS0_.has_indirect_call)
	.section	.AMDGPU.csdata,"",@progbits
; Kernel info:
; codeLenInByte = 76
; TotalNumSgprs: 40
; NumVgprs: 38
; NumAgprs: 0
; TotalNumVgprs: 38
; ScratchSize: 16
; MemoryBound: 0
; FloatMode: 240
; IeeeMode: 1
; LDSByteSize: 0 bytes/workgroup (compile time only)
; SGPRBlocks: 4
; VGPRBlocks: 4
; NumSGPRsForWavesPerEU: 40
; NumVGPRsForWavesPerEU: 38
; AccumOffset: 40
; Occupancy: 8
; WaveLimiterHint : 1
; COMPUTE_PGM_RSRC2:SCRATCH_EN: 1
; COMPUTE_PGM_RSRC2:USER_SGPR: 2
; COMPUTE_PGM_RSRC2:TRAP_HANDLER: 0
; COMPUTE_PGM_RSRC2:TGID_X_EN: 1
; COMPUTE_PGM_RSRC2:TGID_Y_EN: 0
; COMPUTE_PGM_RSRC2:TGID_Z_EN: 0
; COMPUTE_PGM_RSRC2:TIDIG_COMP_CNT: 0
; COMPUTE_PGM_RSRC3_GFX90A:ACCUM_OFFSET: 9
; COMPUTE_PGM_RSRC3_GFX90A:TG_SPLIT: 0
	.section	.text._ZL9mul_mat_fI7__half2Li32ELi3ELi5ELb1EEvPKT_PKfPKiPfiiiiiiiiiiiiiiii,"axG",@progbits,_ZL9mul_mat_fI7__half2Li32ELi3ELi5ELb1EEvPKT_PKfPKiPfiiiiiiiiiiiiiiii,comdat
	.globl	_ZL9mul_mat_fI7__half2Li32ELi3ELi5ELb1EEvPKT_PKfPKiPfiiiiiiiiiiiiiiii ; -- Begin function _ZL9mul_mat_fI7__half2Li32ELi3ELi5ELb1EEvPKT_PKfPKiPfiiiiiiiiiiiiiiii
	.p2align	8
	.type	_ZL9mul_mat_fI7__half2Li32ELi3ELi5ELb1EEvPKT_PKfPKiPfiiiiiiiiiiiiiiii,@function
_ZL9mul_mat_fI7__half2Li32ELi3ELi5ELb1EEvPKT_PKfPKiPfiiiiiiiiiiiiiiii: ; @_ZL9mul_mat_fI7__half2Li32ELi3ELi5ELb1EEvPKT_PKfPKiPfiiiiiiiiiiiiiiii
; %bb.0:
	s_add_u32 s8, s0, 0x60
	s_addc_u32 s9, s1, 0
	s_getpc_b64 s[0:1]
	s_add_u32 s0, s0, __FUNCTION__._ZL9mul_mat_fIfLi32ELi3ELi1ELb1EEvPKT_PKfPKiPfiiiiiiiiiiiiiiii@rel32@lo+4
	s_addc_u32 s1, s1, __FUNCTION__._ZL9mul_mat_fIfLi32ELi3ELi1ELb1EEvPKT_PKfPKiPfiiiiiiiiiiiiiiii@rel32@hi+12
	s_getpc_b64 s[2:3]
	s_add_u32 s2, s2, _ZL14no_device_codePKciS0_iS0_@rel32@lo+4
	s_addc_u32 s3, s3, _ZL14no_device_codePKciS0_iS0_@rel32@hi+12
	v_mov_b32_e32 v0, 64
	v_mov_b32_e32 v1, s0
	;; [unrolled: 1-line block ×3, first 2 shown]
	s_mov_b32 s32, 0
	s_swappc_b64 s[30:31], s[2:3]
	.section	.rodata,"a",@progbits
	.p2align	6, 0x0
	.amdhsa_kernel _ZL9mul_mat_fI7__half2Li32ELi3ELi5ELb1EEvPKT_PKfPKiPfiiiiiiiiiiiiiiii
		.amdhsa_group_segment_fixed_size 0
		.amdhsa_private_segment_fixed_size 16
		.amdhsa_kernarg_size 352
		.amdhsa_user_sgpr_count 2
		.amdhsa_user_sgpr_dispatch_ptr 0
		.amdhsa_user_sgpr_queue_ptr 0
		.amdhsa_user_sgpr_kernarg_segment_ptr 1
		.amdhsa_user_sgpr_dispatch_id 0
		.amdhsa_user_sgpr_kernarg_preload_length 0
		.amdhsa_user_sgpr_kernarg_preload_offset 0
		.amdhsa_user_sgpr_private_segment_size 0
		.amdhsa_uses_dynamic_stack 0
		.amdhsa_enable_private_segment 1
		.amdhsa_system_sgpr_workgroup_id_x 1
		.amdhsa_system_sgpr_workgroup_id_y 0
		.amdhsa_system_sgpr_workgroup_id_z 0
		.amdhsa_system_sgpr_workgroup_info 0
		.amdhsa_system_vgpr_workitem_id 0
		.amdhsa_next_free_vgpr 38
		.amdhsa_next_free_sgpr 34
		.amdhsa_accum_offset 40
		.amdhsa_reserve_vcc 1
		.amdhsa_float_round_mode_32 0
		.amdhsa_float_round_mode_16_64 0
		.amdhsa_float_denorm_mode_32 3
		.amdhsa_float_denorm_mode_16_64 3
		.amdhsa_dx10_clamp 1
		.amdhsa_ieee_mode 1
		.amdhsa_fp16_overflow 0
		.amdhsa_tg_split 0
		.amdhsa_exception_fp_ieee_invalid_op 0
		.amdhsa_exception_fp_denorm_src 0
		.amdhsa_exception_fp_ieee_div_zero 0
		.amdhsa_exception_fp_ieee_overflow 0
		.amdhsa_exception_fp_ieee_underflow 0
		.amdhsa_exception_fp_ieee_inexact 0
		.amdhsa_exception_int_div_zero 0
	.end_amdhsa_kernel
	.section	.text._ZL9mul_mat_fI7__half2Li32ELi3ELi5ELb1EEvPKT_PKfPKiPfiiiiiiiiiiiiiiii,"axG",@progbits,_ZL9mul_mat_fI7__half2Li32ELi3ELi5ELb1EEvPKT_PKfPKiPfiiiiiiiiiiiiiiii,comdat
.Lfunc_end40:
	.size	_ZL9mul_mat_fI7__half2Li32ELi3ELi5ELb1EEvPKT_PKfPKiPfiiiiiiiiiiiiiiii, .Lfunc_end40-_ZL9mul_mat_fI7__half2Li32ELi3ELi5ELb1EEvPKT_PKfPKiPfiiiiiiiiiiiiiiii
                                        ; -- End function
	.set _ZL9mul_mat_fI7__half2Li32ELi3ELi5ELb1EEvPKT_PKfPKiPfiiiiiiiiiiiiiiii.num_vgpr, max(3, .L_ZL14no_device_codePKciS0_iS0_.num_vgpr)
	.set _ZL9mul_mat_fI7__half2Li32ELi3ELi5ELb1EEvPKT_PKfPKiPfiiiiiiiiiiiiiiii.num_agpr, max(0, .L_ZL14no_device_codePKciS0_iS0_.num_agpr)
	.set _ZL9mul_mat_fI7__half2Li32ELi3ELi5ELb1EEvPKT_PKfPKiPfiiiiiiiiiiiiiiii.numbered_sgpr, max(33, .L_ZL14no_device_codePKciS0_iS0_.numbered_sgpr)
	.set _ZL9mul_mat_fI7__half2Li32ELi3ELi5ELb1EEvPKT_PKfPKiPfiiiiiiiiiiiiiiii.num_named_barrier, max(0, .L_ZL14no_device_codePKciS0_iS0_.num_named_barrier)
	.set _ZL9mul_mat_fI7__half2Li32ELi3ELi5ELb1EEvPKT_PKfPKiPfiiiiiiiiiiiiiiii.private_seg_size, 0+max(.L_ZL14no_device_codePKciS0_iS0_.private_seg_size)
	.set _ZL9mul_mat_fI7__half2Li32ELi3ELi5ELb1EEvPKT_PKfPKiPfiiiiiiiiiiiiiiii.uses_vcc, or(1, .L_ZL14no_device_codePKciS0_iS0_.uses_vcc)
	.set _ZL9mul_mat_fI7__half2Li32ELi3ELi5ELb1EEvPKT_PKfPKiPfiiiiiiiiiiiiiiii.uses_flat_scratch, or(0, .L_ZL14no_device_codePKciS0_iS0_.uses_flat_scratch)
	.set _ZL9mul_mat_fI7__half2Li32ELi3ELi5ELb1EEvPKT_PKfPKiPfiiiiiiiiiiiiiiii.has_dyn_sized_stack, or(0, .L_ZL14no_device_codePKciS0_iS0_.has_dyn_sized_stack)
	.set _ZL9mul_mat_fI7__half2Li32ELi3ELi5ELb1EEvPKT_PKfPKiPfiiiiiiiiiiiiiiii.has_recursion, or(0, .L_ZL14no_device_codePKciS0_iS0_.has_recursion)
	.set _ZL9mul_mat_fI7__half2Li32ELi3ELi5ELb1EEvPKT_PKfPKiPfiiiiiiiiiiiiiiii.has_indirect_call, or(0, .L_ZL14no_device_codePKciS0_iS0_.has_indirect_call)
	.section	.AMDGPU.csdata,"",@progbits
; Kernel info:
; codeLenInByte = 72
; TotalNumSgprs: 40
; NumVgprs: 38
; NumAgprs: 0
; TotalNumVgprs: 38
; ScratchSize: 16
; MemoryBound: 0
; FloatMode: 240
; IeeeMode: 1
; LDSByteSize: 0 bytes/workgroup (compile time only)
; SGPRBlocks: 4
; VGPRBlocks: 4
; NumSGPRsForWavesPerEU: 40
; NumVGPRsForWavesPerEU: 38
; AccumOffset: 40
; Occupancy: 8
; WaveLimiterHint : 1
; COMPUTE_PGM_RSRC2:SCRATCH_EN: 1
; COMPUTE_PGM_RSRC2:USER_SGPR: 2
; COMPUTE_PGM_RSRC2:TRAP_HANDLER: 0
; COMPUTE_PGM_RSRC2:TGID_X_EN: 1
; COMPUTE_PGM_RSRC2:TGID_Y_EN: 0
; COMPUTE_PGM_RSRC2:TGID_Z_EN: 0
; COMPUTE_PGM_RSRC2:TIDIG_COMP_CNT: 0
; COMPUTE_PGM_RSRC3_GFX90A:ACCUM_OFFSET: 9
; COMPUTE_PGM_RSRC3_GFX90A:TG_SPLIT: 0
	.section	.text._ZL9mul_mat_fI7__half2Li32ELi3ELi5ELb0EEvPKT_PKfPKiPfiiiiiiiiiiiiiiii,"axG",@progbits,_ZL9mul_mat_fI7__half2Li32ELi3ELi5ELb0EEvPKT_PKfPKiPfiiiiiiiiiiiiiiii,comdat
	.globl	_ZL9mul_mat_fI7__half2Li32ELi3ELi5ELb0EEvPKT_PKfPKiPfiiiiiiiiiiiiiiii ; -- Begin function _ZL9mul_mat_fI7__half2Li32ELi3ELi5ELb0EEvPKT_PKfPKiPfiiiiiiiiiiiiiiii
	.p2align	8
	.type	_ZL9mul_mat_fI7__half2Li32ELi3ELi5ELb0EEvPKT_PKfPKiPfiiiiiiiiiiiiiiii,@function
_ZL9mul_mat_fI7__half2Li32ELi3ELi5ELb0EEvPKT_PKfPKiPfiiiiiiiiiiiiiiii: ; @_ZL9mul_mat_fI7__half2Li32ELi3ELi5ELb0EEvPKT_PKfPKiPfiiiiiiiiiiiiiiii
; %bb.0:
	s_add_u32 s8, s0, 0x60
	s_addc_u32 s9, s1, 0
	s_getpc_b64 s[0:1]
	s_add_u32 s0, s0, __FUNCTION__._ZL9mul_mat_fIfLi32ELi3ELi1ELb1EEvPKT_PKfPKiPfiiiiiiiiiiiiiiii@rel32@lo+4
	s_addc_u32 s1, s1, __FUNCTION__._ZL9mul_mat_fIfLi32ELi3ELi1ELb1EEvPKT_PKfPKiPfiiiiiiiiiiiiiiii@rel32@hi+12
	s_getpc_b64 s[2:3]
	s_add_u32 s2, s2, _ZL14no_device_codePKciS0_iS0_@rel32@lo+4
	s_addc_u32 s3, s3, _ZL14no_device_codePKciS0_iS0_@rel32@hi+12
	v_mov_b32_e32 v0, 64
	v_mov_b32_e32 v1, s0
	;; [unrolled: 1-line block ×3, first 2 shown]
	s_mov_b32 s32, 0
	s_swappc_b64 s[30:31], s[2:3]
	.section	.rodata,"a",@progbits
	.p2align	6, 0x0
	.amdhsa_kernel _ZL9mul_mat_fI7__half2Li32ELi3ELi5ELb0EEvPKT_PKfPKiPfiiiiiiiiiiiiiiii
		.amdhsa_group_segment_fixed_size 0
		.amdhsa_private_segment_fixed_size 16
		.amdhsa_kernarg_size 352
		.amdhsa_user_sgpr_count 2
		.amdhsa_user_sgpr_dispatch_ptr 0
		.amdhsa_user_sgpr_queue_ptr 0
		.amdhsa_user_sgpr_kernarg_segment_ptr 1
		.amdhsa_user_sgpr_dispatch_id 0
		.amdhsa_user_sgpr_kernarg_preload_length 0
		.amdhsa_user_sgpr_kernarg_preload_offset 0
		.amdhsa_user_sgpr_private_segment_size 0
		.amdhsa_uses_dynamic_stack 0
		.amdhsa_enable_private_segment 1
		.amdhsa_system_sgpr_workgroup_id_x 1
		.amdhsa_system_sgpr_workgroup_id_y 0
		.amdhsa_system_sgpr_workgroup_id_z 0
		.amdhsa_system_sgpr_workgroup_info 0
		.amdhsa_system_vgpr_workitem_id 0
		.amdhsa_next_free_vgpr 38
		.amdhsa_next_free_sgpr 34
		.amdhsa_accum_offset 40
		.amdhsa_reserve_vcc 1
		.amdhsa_float_round_mode_32 0
		.amdhsa_float_round_mode_16_64 0
		.amdhsa_float_denorm_mode_32 3
		.amdhsa_float_denorm_mode_16_64 3
		.amdhsa_dx10_clamp 1
		.amdhsa_ieee_mode 1
		.amdhsa_fp16_overflow 0
		.amdhsa_tg_split 0
		.amdhsa_exception_fp_ieee_invalid_op 0
		.amdhsa_exception_fp_denorm_src 0
		.amdhsa_exception_fp_ieee_div_zero 0
		.amdhsa_exception_fp_ieee_overflow 0
		.amdhsa_exception_fp_ieee_underflow 0
		.amdhsa_exception_fp_ieee_inexact 0
		.amdhsa_exception_int_div_zero 0
	.end_amdhsa_kernel
	.section	.text._ZL9mul_mat_fI7__half2Li32ELi3ELi5ELb0EEvPKT_PKfPKiPfiiiiiiiiiiiiiiii,"axG",@progbits,_ZL9mul_mat_fI7__half2Li32ELi3ELi5ELb0EEvPKT_PKfPKiPfiiiiiiiiiiiiiiii,comdat
.Lfunc_end41:
	.size	_ZL9mul_mat_fI7__half2Li32ELi3ELi5ELb0EEvPKT_PKfPKiPfiiiiiiiiiiiiiiii, .Lfunc_end41-_ZL9mul_mat_fI7__half2Li32ELi3ELi5ELb0EEvPKT_PKfPKiPfiiiiiiiiiiiiiiii
                                        ; -- End function
	.set _ZL9mul_mat_fI7__half2Li32ELi3ELi5ELb0EEvPKT_PKfPKiPfiiiiiiiiiiiiiiii.num_vgpr, max(3, .L_ZL14no_device_codePKciS0_iS0_.num_vgpr)
	.set _ZL9mul_mat_fI7__half2Li32ELi3ELi5ELb0EEvPKT_PKfPKiPfiiiiiiiiiiiiiiii.num_agpr, max(0, .L_ZL14no_device_codePKciS0_iS0_.num_agpr)
	.set _ZL9mul_mat_fI7__half2Li32ELi3ELi5ELb0EEvPKT_PKfPKiPfiiiiiiiiiiiiiiii.numbered_sgpr, max(33, .L_ZL14no_device_codePKciS0_iS0_.numbered_sgpr)
	.set _ZL9mul_mat_fI7__half2Li32ELi3ELi5ELb0EEvPKT_PKfPKiPfiiiiiiiiiiiiiiii.num_named_barrier, max(0, .L_ZL14no_device_codePKciS0_iS0_.num_named_barrier)
	.set _ZL9mul_mat_fI7__half2Li32ELi3ELi5ELb0EEvPKT_PKfPKiPfiiiiiiiiiiiiiiii.private_seg_size, 0+max(.L_ZL14no_device_codePKciS0_iS0_.private_seg_size)
	.set _ZL9mul_mat_fI7__half2Li32ELi3ELi5ELb0EEvPKT_PKfPKiPfiiiiiiiiiiiiiiii.uses_vcc, or(1, .L_ZL14no_device_codePKciS0_iS0_.uses_vcc)
	.set _ZL9mul_mat_fI7__half2Li32ELi3ELi5ELb0EEvPKT_PKfPKiPfiiiiiiiiiiiiiiii.uses_flat_scratch, or(0, .L_ZL14no_device_codePKciS0_iS0_.uses_flat_scratch)
	.set _ZL9mul_mat_fI7__half2Li32ELi3ELi5ELb0EEvPKT_PKfPKiPfiiiiiiiiiiiiiiii.has_dyn_sized_stack, or(0, .L_ZL14no_device_codePKciS0_iS0_.has_dyn_sized_stack)
	.set _ZL9mul_mat_fI7__half2Li32ELi3ELi5ELb0EEvPKT_PKfPKiPfiiiiiiiiiiiiiiii.has_recursion, or(0, .L_ZL14no_device_codePKciS0_iS0_.has_recursion)
	.set _ZL9mul_mat_fI7__half2Li32ELi3ELi5ELb0EEvPKT_PKfPKiPfiiiiiiiiiiiiiiii.has_indirect_call, or(0, .L_ZL14no_device_codePKciS0_iS0_.has_indirect_call)
	.section	.AMDGPU.csdata,"",@progbits
; Kernel info:
; codeLenInByte = 72
; TotalNumSgprs: 40
; NumVgprs: 38
; NumAgprs: 0
; TotalNumVgprs: 38
; ScratchSize: 16
; MemoryBound: 0
; FloatMode: 240
; IeeeMode: 1
; LDSByteSize: 0 bytes/workgroup (compile time only)
; SGPRBlocks: 4
; VGPRBlocks: 4
; NumSGPRsForWavesPerEU: 40
; NumVGPRsForWavesPerEU: 38
; AccumOffset: 40
; Occupancy: 8
; WaveLimiterHint : 1
; COMPUTE_PGM_RSRC2:SCRATCH_EN: 1
; COMPUTE_PGM_RSRC2:USER_SGPR: 2
; COMPUTE_PGM_RSRC2:TRAP_HANDLER: 0
; COMPUTE_PGM_RSRC2:TGID_X_EN: 1
; COMPUTE_PGM_RSRC2:TGID_Y_EN: 0
; COMPUTE_PGM_RSRC2:TGID_Z_EN: 0
; COMPUTE_PGM_RSRC2:TIDIG_COMP_CNT: 0
; COMPUTE_PGM_RSRC3_GFX90A:ACCUM_OFFSET: 9
; COMPUTE_PGM_RSRC3_GFX90A:TG_SPLIT: 0
	.section	.text._ZL13mul_mat_f_idsI7__half2Li32ELi3ELi6EEvPKT_PKfPKiS7_S7_Pfiiiiiiiiiiiiii15HIP_vector_typeIjLj3EESA_,"axG",@progbits,_ZL13mul_mat_f_idsI7__half2Li32ELi3ELi6EEvPKT_PKfPKiS7_S7_Pfiiiiiiiiiiiiii15HIP_vector_typeIjLj3EESA_,comdat
	.globl	_ZL13mul_mat_f_idsI7__half2Li32ELi3ELi6EEvPKT_PKfPKiS7_S7_Pfiiiiiiiiiiiiii15HIP_vector_typeIjLj3EESA_ ; -- Begin function _ZL13mul_mat_f_idsI7__half2Li32ELi3ELi6EEvPKT_PKfPKiS7_S7_Pfiiiiiiiiiiiiii15HIP_vector_typeIjLj3EESA_
	.p2align	8
	.type	_ZL13mul_mat_f_idsI7__half2Li32ELi3ELi6EEvPKT_PKfPKiS7_S7_Pfiiiiiiiiiiiiii15HIP_vector_typeIjLj3EESA_,@function
_ZL13mul_mat_f_idsI7__half2Li32ELi3ELi6EEvPKT_PKfPKiS7_S7_Pfiiiiiiiiiiiiii15HIP_vector_typeIjLj3EESA_: ; @_ZL13mul_mat_f_idsI7__half2Li32ELi3ELi6EEvPKT_PKfPKiS7_S7_Pfiiiiiiiiiiiiii15HIP_vector_typeIjLj3EESA_
; %bb.0:
	s_add_u32 s8, s0, 0x80
	s_addc_u32 s9, s1, 0
	s_getpc_b64 s[0:1]
	s_add_u32 s0, s0, __FUNCTION__._ZL13mul_mat_f_idsIfLi32ELi3ELi1EEvPKT_PKfPKiS6_S6_Pfiiiiiiiiiiiiii15HIP_vector_typeIjLj3EES9_@rel32@lo+4
	s_addc_u32 s1, s1, __FUNCTION__._ZL13mul_mat_f_idsIfLi32ELi3ELi1EEvPKT_PKfPKiS6_S6_Pfiiiiiiiiiiiiii15HIP_vector_typeIjLj3EES9_@rel32@hi+12
	s_getpc_b64 s[2:3]
	s_add_u32 s2, s2, _ZL14no_device_codePKciS0_iS0_@rel32@lo+4
	s_addc_u32 s3, s3, _ZL14no_device_codePKciS0_iS0_@rel32@hi+12
	v_mov_b32_e32 v0, 0x13b
	v_mov_b32_e32 v1, s0
	;; [unrolled: 1-line block ×3, first 2 shown]
	s_mov_b32 s32, 0
	s_swappc_b64 s[30:31], s[2:3]
	.section	.rodata,"a",@progbits
	.p2align	6, 0x0
	.amdhsa_kernel _ZL13mul_mat_f_idsI7__half2Li32ELi3ELi6EEvPKT_PKfPKiS7_S7_Pfiiiiiiiiiiiiii15HIP_vector_typeIjLj3EESA_
		.amdhsa_group_segment_fixed_size 0
		.amdhsa_private_segment_fixed_size 16
		.amdhsa_kernarg_size 384
		.amdhsa_user_sgpr_count 2
		.amdhsa_user_sgpr_dispatch_ptr 0
		.amdhsa_user_sgpr_queue_ptr 0
		.amdhsa_user_sgpr_kernarg_segment_ptr 1
		.amdhsa_user_sgpr_dispatch_id 0
		.amdhsa_user_sgpr_kernarg_preload_length 0
		.amdhsa_user_sgpr_kernarg_preload_offset 0
		.amdhsa_user_sgpr_private_segment_size 0
		.amdhsa_uses_dynamic_stack 0
		.amdhsa_enable_private_segment 1
		.amdhsa_system_sgpr_workgroup_id_x 1
		.amdhsa_system_sgpr_workgroup_id_y 0
		.amdhsa_system_sgpr_workgroup_id_z 0
		.amdhsa_system_sgpr_workgroup_info 0
		.amdhsa_system_vgpr_workitem_id 0
		.amdhsa_next_free_vgpr 38
		.amdhsa_next_free_sgpr 34
		.amdhsa_accum_offset 40
		.amdhsa_reserve_vcc 1
		.amdhsa_float_round_mode_32 0
		.amdhsa_float_round_mode_16_64 0
		.amdhsa_float_denorm_mode_32 3
		.amdhsa_float_denorm_mode_16_64 3
		.amdhsa_dx10_clamp 1
		.amdhsa_ieee_mode 1
		.amdhsa_fp16_overflow 0
		.amdhsa_tg_split 0
		.amdhsa_exception_fp_ieee_invalid_op 0
		.amdhsa_exception_fp_denorm_src 0
		.amdhsa_exception_fp_ieee_div_zero 0
		.amdhsa_exception_fp_ieee_overflow 0
		.amdhsa_exception_fp_ieee_underflow 0
		.amdhsa_exception_fp_ieee_inexact 0
		.amdhsa_exception_int_div_zero 0
	.end_amdhsa_kernel
	.section	.text._ZL13mul_mat_f_idsI7__half2Li32ELi3ELi6EEvPKT_PKfPKiS7_S7_Pfiiiiiiiiiiiiii15HIP_vector_typeIjLj3EESA_,"axG",@progbits,_ZL13mul_mat_f_idsI7__half2Li32ELi3ELi6EEvPKT_PKfPKiS7_S7_Pfiiiiiiiiiiiiii15HIP_vector_typeIjLj3EESA_,comdat
.Lfunc_end42:
	.size	_ZL13mul_mat_f_idsI7__half2Li32ELi3ELi6EEvPKT_PKfPKiS7_S7_Pfiiiiiiiiiiiiii15HIP_vector_typeIjLj3EESA_, .Lfunc_end42-_ZL13mul_mat_f_idsI7__half2Li32ELi3ELi6EEvPKT_PKfPKiS7_S7_Pfiiiiiiiiiiiiii15HIP_vector_typeIjLj3EESA_
                                        ; -- End function
	.set _ZL13mul_mat_f_idsI7__half2Li32ELi3ELi6EEvPKT_PKfPKiS7_S7_Pfiiiiiiiiiiiiii15HIP_vector_typeIjLj3EESA_.num_vgpr, max(3, .L_ZL14no_device_codePKciS0_iS0_.num_vgpr)
	.set _ZL13mul_mat_f_idsI7__half2Li32ELi3ELi6EEvPKT_PKfPKiS7_S7_Pfiiiiiiiiiiiiii15HIP_vector_typeIjLj3EESA_.num_agpr, max(0, .L_ZL14no_device_codePKciS0_iS0_.num_agpr)
	.set _ZL13mul_mat_f_idsI7__half2Li32ELi3ELi6EEvPKT_PKfPKiS7_S7_Pfiiiiiiiiiiiiii15HIP_vector_typeIjLj3EESA_.numbered_sgpr, max(33, .L_ZL14no_device_codePKciS0_iS0_.numbered_sgpr)
	.set _ZL13mul_mat_f_idsI7__half2Li32ELi3ELi6EEvPKT_PKfPKiS7_S7_Pfiiiiiiiiiiiiii15HIP_vector_typeIjLj3EESA_.num_named_barrier, max(0, .L_ZL14no_device_codePKciS0_iS0_.num_named_barrier)
	.set _ZL13mul_mat_f_idsI7__half2Li32ELi3ELi6EEvPKT_PKfPKiS7_S7_Pfiiiiiiiiiiiiii15HIP_vector_typeIjLj3EESA_.private_seg_size, 0+max(.L_ZL14no_device_codePKciS0_iS0_.private_seg_size)
	.set _ZL13mul_mat_f_idsI7__half2Li32ELi3ELi6EEvPKT_PKfPKiS7_S7_Pfiiiiiiiiiiiiii15HIP_vector_typeIjLj3EESA_.uses_vcc, or(1, .L_ZL14no_device_codePKciS0_iS0_.uses_vcc)
	.set _ZL13mul_mat_f_idsI7__half2Li32ELi3ELi6EEvPKT_PKfPKiS7_S7_Pfiiiiiiiiiiiiii15HIP_vector_typeIjLj3EESA_.uses_flat_scratch, or(0, .L_ZL14no_device_codePKciS0_iS0_.uses_flat_scratch)
	.set _ZL13mul_mat_f_idsI7__half2Li32ELi3ELi6EEvPKT_PKfPKiS7_S7_Pfiiiiiiiiiiiiii15HIP_vector_typeIjLj3EESA_.has_dyn_sized_stack, or(0, .L_ZL14no_device_codePKciS0_iS0_.has_dyn_sized_stack)
	.set _ZL13mul_mat_f_idsI7__half2Li32ELi3ELi6EEvPKT_PKfPKiS7_S7_Pfiiiiiiiiiiiiii15HIP_vector_typeIjLj3EESA_.has_recursion, or(0, .L_ZL14no_device_codePKciS0_iS0_.has_recursion)
	.set _ZL13mul_mat_f_idsI7__half2Li32ELi3ELi6EEvPKT_PKfPKiS7_S7_Pfiiiiiiiiiiiiii15HIP_vector_typeIjLj3EESA_.has_indirect_call, or(0, .L_ZL14no_device_codePKciS0_iS0_.has_indirect_call)
	.section	.AMDGPU.csdata,"",@progbits
; Kernel info:
; codeLenInByte = 76
; TotalNumSgprs: 40
; NumVgprs: 38
; NumAgprs: 0
; TotalNumVgprs: 38
; ScratchSize: 16
; MemoryBound: 0
; FloatMode: 240
; IeeeMode: 1
; LDSByteSize: 0 bytes/workgroup (compile time only)
; SGPRBlocks: 4
; VGPRBlocks: 4
; NumSGPRsForWavesPerEU: 40
; NumVGPRsForWavesPerEU: 38
; AccumOffset: 40
; Occupancy: 8
; WaveLimiterHint : 1
; COMPUTE_PGM_RSRC2:SCRATCH_EN: 1
; COMPUTE_PGM_RSRC2:USER_SGPR: 2
; COMPUTE_PGM_RSRC2:TRAP_HANDLER: 0
; COMPUTE_PGM_RSRC2:TGID_X_EN: 1
; COMPUTE_PGM_RSRC2:TGID_Y_EN: 0
; COMPUTE_PGM_RSRC2:TGID_Z_EN: 0
; COMPUTE_PGM_RSRC2:TIDIG_COMP_CNT: 0
; COMPUTE_PGM_RSRC3_GFX90A:ACCUM_OFFSET: 9
; COMPUTE_PGM_RSRC3_GFX90A:TG_SPLIT: 0
	.section	.text._ZL9mul_mat_fI7__half2Li32ELi3ELi6ELb1EEvPKT_PKfPKiPfiiiiiiiiiiiiiiii,"axG",@progbits,_ZL9mul_mat_fI7__half2Li32ELi3ELi6ELb1EEvPKT_PKfPKiPfiiiiiiiiiiiiiiii,comdat
	.globl	_ZL9mul_mat_fI7__half2Li32ELi3ELi6ELb1EEvPKT_PKfPKiPfiiiiiiiiiiiiiiii ; -- Begin function _ZL9mul_mat_fI7__half2Li32ELi3ELi6ELb1EEvPKT_PKfPKiPfiiiiiiiiiiiiiiii
	.p2align	8
	.type	_ZL9mul_mat_fI7__half2Li32ELi3ELi6ELb1EEvPKT_PKfPKiPfiiiiiiiiiiiiiiii,@function
_ZL9mul_mat_fI7__half2Li32ELi3ELi6ELb1EEvPKT_PKfPKiPfiiiiiiiiiiiiiiii: ; @_ZL9mul_mat_fI7__half2Li32ELi3ELi6ELb1EEvPKT_PKfPKiPfiiiiiiiiiiiiiiii
; %bb.0:
	s_add_u32 s8, s0, 0x60
	s_addc_u32 s9, s1, 0
	s_getpc_b64 s[0:1]
	s_add_u32 s0, s0, __FUNCTION__._ZL9mul_mat_fIfLi32ELi3ELi1ELb1EEvPKT_PKfPKiPfiiiiiiiiiiiiiiii@rel32@lo+4
	s_addc_u32 s1, s1, __FUNCTION__._ZL9mul_mat_fIfLi32ELi3ELi1ELb1EEvPKT_PKfPKiPfiiiiiiiiiiiiiiii@rel32@hi+12
	s_getpc_b64 s[2:3]
	s_add_u32 s2, s2, _ZL14no_device_codePKciS0_iS0_@rel32@lo+4
	s_addc_u32 s3, s3, _ZL14no_device_codePKciS0_iS0_@rel32@hi+12
	v_mov_b32_e32 v0, 64
	v_mov_b32_e32 v1, s0
	;; [unrolled: 1-line block ×3, first 2 shown]
	s_mov_b32 s32, 0
	s_swappc_b64 s[30:31], s[2:3]
	.section	.rodata,"a",@progbits
	.p2align	6, 0x0
	.amdhsa_kernel _ZL9mul_mat_fI7__half2Li32ELi3ELi6ELb1EEvPKT_PKfPKiPfiiiiiiiiiiiiiiii
		.amdhsa_group_segment_fixed_size 0
		.amdhsa_private_segment_fixed_size 16
		.amdhsa_kernarg_size 352
		.amdhsa_user_sgpr_count 2
		.amdhsa_user_sgpr_dispatch_ptr 0
		.amdhsa_user_sgpr_queue_ptr 0
		.amdhsa_user_sgpr_kernarg_segment_ptr 1
		.amdhsa_user_sgpr_dispatch_id 0
		.amdhsa_user_sgpr_kernarg_preload_length 0
		.amdhsa_user_sgpr_kernarg_preload_offset 0
		.amdhsa_user_sgpr_private_segment_size 0
		.amdhsa_uses_dynamic_stack 0
		.amdhsa_enable_private_segment 1
		.amdhsa_system_sgpr_workgroup_id_x 1
		.amdhsa_system_sgpr_workgroup_id_y 0
		.amdhsa_system_sgpr_workgroup_id_z 0
		.amdhsa_system_sgpr_workgroup_info 0
		.amdhsa_system_vgpr_workitem_id 0
		.amdhsa_next_free_vgpr 38
		.amdhsa_next_free_sgpr 34
		.amdhsa_accum_offset 40
		.amdhsa_reserve_vcc 1
		.amdhsa_float_round_mode_32 0
		.amdhsa_float_round_mode_16_64 0
		.amdhsa_float_denorm_mode_32 3
		.amdhsa_float_denorm_mode_16_64 3
		.amdhsa_dx10_clamp 1
		.amdhsa_ieee_mode 1
		.amdhsa_fp16_overflow 0
		.amdhsa_tg_split 0
		.amdhsa_exception_fp_ieee_invalid_op 0
		.amdhsa_exception_fp_denorm_src 0
		.amdhsa_exception_fp_ieee_div_zero 0
		.amdhsa_exception_fp_ieee_overflow 0
		.amdhsa_exception_fp_ieee_underflow 0
		.amdhsa_exception_fp_ieee_inexact 0
		.amdhsa_exception_int_div_zero 0
	.end_amdhsa_kernel
	.section	.text._ZL9mul_mat_fI7__half2Li32ELi3ELi6ELb1EEvPKT_PKfPKiPfiiiiiiiiiiiiiiii,"axG",@progbits,_ZL9mul_mat_fI7__half2Li32ELi3ELi6ELb1EEvPKT_PKfPKiPfiiiiiiiiiiiiiiii,comdat
.Lfunc_end43:
	.size	_ZL9mul_mat_fI7__half2Li32ELi3ELi6ELb1EEvPKT_PKfPKiPfiiiiiiiiiiiiiiii, .Lfunc_end43-_ZL9mul_mat_fI7__half2Li32ELi3ELi6ELb1EEvPKT_PKfPKiPfiiiiiiiiiiiiiiii
                                        ; -- End function
	.set _ZL9mul_mat_fI7__half2Li32ELi3ELi6ELb1EEvPKT_PKfPKiPfiiiiiiiiiiiiiiii.num_vgpr, max(3, .L_ZL14no_device_codePKciS0_iS0_.num_vgpr)
	.set _ZL9mul_mat_fI7__half2Li32ELi3ELi6ELb1EEvPKT_PKfPKiPfiiiiiiiiiiiiiiii.num_agpr, max(0, .L_ZL14no_device_codePKciS0_iS0_.num_agpr)
	.set _ZL9mul_mat_fI7__half2Li32ELi3ELi6ELb1EEvPKT_PKfPKiPfiiiiiiiiiiiiiiii.numbered_sgpr, max(33, .L_ZL14no_device_codePKciS0_iS0_.numbered_sgpr)
	.set _ZL9mul_mat_fI7__half2Li32ELi3ELi6ELb1EEvPKT_PKfPKiPfiiiiiiiiiiiiiiii.num_named_barrier, max(0, .L_ZL14no_device_codePKciS0_iS0_.num_named_barrier)
	.set _ZL9mul_mat_fI7__half2Li32ELi3ELi6ELb1EEvPKT_PKfPKiPfiiiiiiiiiiiiiiii.private_seg_size, 0+max(.L_ZL14no_device_codePKciS0_iS0_.private_seg_size)
	.set _ZL9mul_mat_fI7__half2Li32ELi3ELi6ELb1EEvPKT_PKfPKiPfiiiiiiiiiiiiiiii.uses_vcc, or(1, .L_ZL14no_device_codePKciS0_iS0_.uses_vcc)
	.set _ZL9mul_mat_fI7__half2Li32ELi3ELi6ELb1EEvPKT_PKfPKiPfiiiiiiiiiiiiiiii.uses_flat_scratch, or(0, .L_ZL14no_device_codePKciS0_iS0_.uses_flat_scratch)
	.set _ZL9mul_mat_fI7__half2Li32ELi3ELi6ELb1EEvPKT_PKfPKiPfiiiiiiiiiiiiiiii.has_dyn_sized_stack, or(0, .L_ZL14no_device_codePKciS0_iS0_.has_dyn_sized_stack)
	.set _ZL9mul_mat_fI7__half2Li32ELi3ELi6ELb1EEvPKT_PKfPKiPfiiiiiiiiiiiiiiii.has_recursion, or(0, .L_ZL14no_device_codePKciS0_iS0_.has_recursion)
	.set _ZL9mul_mat_fI7__half2Li32ELi3ELi6ELb1EEvPKT_PKfPKiPfiiiiiiiiiiiiiiii.has_indirect_call, or(0, .L_ZL14no_device_codePKciS0_iS0_.has_indirect_call)
	.section	.AMDGPU.csdata,"",@progbits
; Kernel info:
; codeLenInByte = 72
; TotalNumSgprs: 40
; NumVgprs: 38
; NumAgprs: 0
; TotalNumVgprs: 38
; ScratchSize: 16
; MemoryBound: 0
; FloatMode: 240
; IeeeMode: 1
; LDSByteSize: 0 bytes/workgroup (compile time only)
; SGPRBlocks: 4
; VGPRBlocks: 4
; NumSGPRsForWavesPerEU: 40
; NumVGPRsForWavesPerEU: 38
; AccumOffset: 40
; Occupancy: 8
; WaveLimiterHint : 1
; COMPUTE_PGM_RSRC2:SCRATCH_EN: 1
; COMPUTE_PGM_RSRC2:USER_SGPR: 2
; COMPUTE_PGM_RSRC2:TRAP_HANDLER: 0
; COMPUTE_PGM_RSRC2:TGID_X_EN: 1
; COMPUTE_PGM_RSRC2:TGID_Y_EN: 0
; COMPUTE_PGM_RSRC2:TGID_Z_EN: 0
; COMPUTE_PGM_RSRC2:TIDIG_COMP_CNT: 0
; COMPUTE_PGM_RSRC3_GFX90A:ACCUM_OFFSET: 9
; COMPUTE_PGM_RSRC3_GFX90A:TG_SPLIT: 0
	.section	.text._ZL9mul_mat_fI7__half2Li32ELi3ELi6ELb0EEvPKT_PKfPKiPfiiiiiiiiiiiiiiii,"axG",@progbits,_ZL9mul_mat_fI7__half2Li32ELi3ELi6ELb0EEvPKT_PKfPKiPfiiiiiiiiiiiiiiii,comdat
	.globl	_ZL9mul_mat_fI7__half2Li32ELi3ELi6ELb0EEvPKT_PKfPKiPfiiiiiiiiiiiiiiii ; -- Begin function _ZL9mul_mat_fI7__half2Li32ELi3ELi6ELb0EEvPKT_PKfPKiPfiiiiiiiiiiiiiiii
	.p2align	8
	.type	_ZL9mul_mat_fI7__half2Li32ELi3ELi6ELb0EEvPKT_PKfPKiPfiiiiiiiiiiiiiiii,@function
_ZL9mul_mat_fI7__half2Li32ELi3ELi6ELb0EEvPKT_PKfPKiPfiiiiiiiiiiiiiiii: ; @_ZL9mul_mat_fI7__half2Li32ELi3ELi6ELb0EEvPKT_PKfPKiPfiiiiiiiiiiiiiiii
; %bb.0:
	s_add_u32 s8, s0, 0x60
	s_addc_u32 s9, s1, 0
	s_getpc_b64 s[0:1]
	s_add_u32 s0, s0, __FUNCTION__._ZL9mul_mat_fIfLi32ELi3ELi1ELb1EEvPKT_PKfPKiPfiiiiiiiiiiiiiiii@rel32@lo+4
	s_addc_u32 s1, s1, __FUNCTION__._ZL9mul_mat_fIfLi32ELi3ELi1ELb1EEvPKT_PKfPKiPfiiiiiiiiiiiiiiii@rel32@hi+12
	s_getpc_b64 s[2:3]
	s_add_u32 s2, s2, _ZL14no_device_codePKciS0_iS0_@rel32@lo+4
	s_addc_u32 s3, s3, _ZL14no_device_codePKciS0_iS0_@rel32@hi+12
	v_mov_b32_e32 v0, 64
	v_mov_b32_e32 v1, s0
	v_mov_b32_e32 v2, s1
	s_mov_b32 s32, 0
	s_swappc_b64 s[30:31], s[2:3]
	.section	.rodata,"a",@progbits
	.p2align	6, 0x0
	.amdhsa_kernel _ZL9mul_mat_fI7__half2Li32ELi3ELi6ELb0EEvPKT_PKfPKiPfiiiiiiiiiiiiiiii
		.amdhsa_group_segment_fixed_size 0
		.amdhsa_private_segment_fixed_size 16
		.amdhsa_kernarg_size 352
		.amdhsa_user_sgpr_count 2
		.amdhsa_user_sgpr_dispatch_ptr 0
		.amdhsa_user_sgpr_queue_ptr 0
		.amdhsa_user_sgpr_kernarg_segment_ptr 1
		.amdhsa_user_sgpr_dispatch_id 0
		.amdhsa_user_sgpr_kernarg_preload_length 0
		.amdhsa_user_sgpr_kernarg_preload_offset 0
		.amdhsa_user_sgpr_private_segment_size 0
		.amdhsa_uses_dynamic_stack 0
		.amdhsa_enable_private_segment 1
		.amdhsa_system_sgpr_workgroup_id_x 1
		.amdhsa_system_sgpr_workgroup_id_y 0
		.amdhsa_system_sgpr_workgroup_id_z 0
		.amdhsa_system_sgpr_workgroup_info 0
		.amdhsa_system_vgpr_workitem_id 0
		.amdhsa_next_free_vgpr 38
		.amdhsa_next_free_sgpr 34
		.amdhsa_accum_offset 40
		.amdhsa_reserve_vcc 1
		.amdhsa_float_round_mode_32 0
		.amdhsa_float_round_mode_16_64 0
		.amdhsa_float_denorm_mode_32 3
		.amdhsa_float_denorm_mode_16_64 3
		.amdhsa_dx10_clamp 1
		.amdhsa_ieee_mode 1
		.amdhsa_fp16_overflow 0
		.amdhsa_tg_split 0
		.amdhsa_exception_fp_ieee_invalid_op 0
		.amdhsa_exception_fp_denorm_src 0
		.amdhsa_exception_fp_ieee_div_zero 0
		.amdhsa_exception_fp_ieee_overflow 0
		.amdhsa_exception_fp_ieee_underflow 0
		.amdhsa_exception_fp_ieee_inexact 0
		.amdhsa_exception_int_div_zero 0
	.end_amdhsa_kernel
	.section	.text._ZL9mul_mat_fI7__half2Li32ELi3ELi6ELb0EEvPKT_PKfPKiPfiiiiiiiiiiiiiiii,"axG",@progbits,_ZL9mul_mat_fI7__half2Li32ELi3ELi6ELb0EEvPKT_PKfPKiPfiiiiiiiiiiiiiiii,comdat
.Lfunc_end44:
	.size	_ZL9mul_mat_fI7__half2Li32ELi3ELi6ELb0EEvPKT_PKfPKiPfiiiiiiiiiiiiiiii, .Lfunc_end44-_ZL9mul_mat_fI7__half2Li32ELi3ELi6ELb0EEvPKT_PKfPKiPfiiiiiiiiiiiiiiii
                                        ; -- End function
	.set _ZL9mul_mat_fI7__half2Li32ELi3ELi6ELb0EEvPKT_PKfPKiPfiiiiiiiiiiiiiiii.num_vgpr, max(3, .L_ZL14no_device_codePKciS0_iS0_.num_vgpr)
	.set _ZL9mul_mat_fI7__half2Li32ELi3ELi6ELb0EEvPKT_PKfPKiPfiiiiiiiiiiiiiiii.num_agpr, max(0, .L_ZL14no_device_codePKciS0_iS0_.num_agpr)
	.set _ZL9mul_mat_fI7__half2Li32ELi3ELi6ELb0EEvPKT_PKfPKiPfiiiiiiiiiiiiiiii.numbered_sgpr, max(33, .L_ZL14no_device_codePKciS0_iS0_.numbered_sgpr)
	.set _ZL9mul_mat_fI7__half2Li32ELi3ELi6ELb0EEvPKT_PKfPKiPfiiiiiiiiiiiiiiii.num_named_barrier, max(0, .L_ZL14no_device_codePKciS0_iS0_.num_named_barrier)
	.set _ZL9mul_mat_fI7__half2Li32ELi3ELi6ELb0EEvPKT_PKfPKiPfiiiiiiiiiiiiiiii.private_seg_size, 0+max(.L_ZL14no_device_codePKciS0_iS0_.private_seg_size)
	.set _ZL9mul_mat_fI7__half2Li32ELi3ELi6ELb0EEvPKT_PKfPKiPfiiiiiiiiiiiiiiii.uses_vcc, or(1, .L_ZL14no_device_codePKciS0_iS0_.uses_vcc)
	.set _ZL9mul_mat_fI7__half2Li32ELi3ELi6ELb0EEvPKT_PKfPKiPfiiiiiiiiiiiiiiii.uses_flat_scratch, or(0, .L_ZL14no_device_codePKciS0_iS0_.uses_flat_scratch)
	.set _ZL9mul_mat_fI7__half2Li32ELi3ELi6ELb0EEvPKT_PKfPKiPfiiiiiiiiiiiiiiii.has_dyn_sized_stack, or(0, .L_ZL14no_device_codePKciS0_iS0_.has_dyn_sized_stack)
	.set _ZL9mul_mat_fI7__half2Li32ELi3ELi6ELb0EEvPKT_PKfPKiPfiiiiiiiiiiiiiiii.has_recursion, or(0, .L_ZL14no_device_codePKciS0_iS0_.has_recursion)
	.set _ZL9mul_mat_fI7__half2Li32ELi3ELi6ELb0EEvPKT_PKfPKiPfiiiiiiiiiiiiiiii.has_indirect_call, or(0, .L_ZL14no_device_codePKciS0_iS0_.has_indirect_call)
	.section	.AMDGPU.csdata,"",@progbits
; Kernel info:
; codeLenInByte = 72
; TotalNumSgprs: 40
; NumVgprs: 38
; NumAgprs: 0
; TotalNumVgprs: 38
; ScratchSize: 16
; MemoryBound: 0
; FloatMode: 240
; IeeeMode: 1
; LDSByteSize: 0 bytes/workgroup (compile time only)
; SGPRBlocks: 4
; VGPRBlocks: 4
; NumSGPRsForWavesPerEU: 40
; NumVGPRsForWavesPerEU: 38
; AccumOffset: 40
; Occupancy: 8
; WaveLimiterHint : 1
; COMPUTE_PGM_RSRC2:SCRATCH_EN: 1
; COMPUTE_PGM_RSRC2:USER_SGPR: 2
; COMPUTE_PGM_RSRC2:TRAP_HANDLER: 0
; COMPUTE_PGM_RSRC2:TGID_X_EN: 1
; COMPUTE_PGM_RSRC2:TGID_Y_EN: 0
; COMPUTE_PGM_RSRC2:TGID_Z_EN: 0
; COMPUTE_PGM_RSRC2:TIDIG_COMP_CNT: 0
; COMPUTE_PGM_RSRC3_GFX90A:ACCUM_OFFSET: 9
; COMPUTE_PGM_RSRC3_GFX90A:TG_SPLIT: 0
	.section	.text._ZL13mul_mat_f_idsI7__half2Li32ELi3ELi7EEvPKT_PKfPKiS7_S7_Pfiiiiiiiiiiiiii15HIP_vector_typeIjLj3EESA_,"axG",@progbits,_ZL13mul_mat_f_idsI7__half2Li32ELi3ELi7EEvPKT_PKfPKiS7_S7_Pfiiiiiiiiiiiiii15HIP_vector_typeIjLj3EESA_,comdat
	.globl	_ZL13mul_mat_f_idsI7__half2Li32ELi3ELi7EEvPKT_PKfPKiS7_S7_Pfiiiiiiiiiiiiii15HIP_vector_typeIjLj3EESA_ ; -- Begin function _ZL13mul_mat_f_idsI7__half2Li32ELi3ELi7EEvPKT_PKfPKiS7_S7_Pfiiiiiiiiiiiiii15HIP_vector_typeIjLj3EESA_
	.p2align	8
	.type	_ZL13mul_mat_f_idsI7__half2Li32ELi3ELi7EEvPKT_PKfPKiS7_S7_Pfiiiiiiiiiiiiii15HIP_vector_typeIjLj3EESA_,@function
_ZL13mul_mat_f_idsI7__half2Li32ELi3ELi7EEvPKT_PKfPKiS7_S7_Pfiiiiiiiiiiiiii15HIP_vector_typeIjLj3EESA_: ; @_ZL13mul_mat_f_idsI7__half2Li32ELi3ELi7EEvPKT_PKfPKiS7_S7_Pfiiiiiiiiiiiiii15HIP_vector_typeIjLj3EESA_
; %bb.0:
	s_add_u32 s8, s0, 0x80
	s_addc_u32 s9, s1, 0
	s_getpc_b64 s[0:1]
	s_add_u32 s0, s0, __FUNCTION__._ZL13mul_mat_f_idsIfLi32ELi3ELi1EEvPKT_PKfPKiS6_S6_Pfiiiiiiiiiiiiii15HIP_vector_typeIjLj3EES9_@rel32@lo+4
	s_addc_u32 s1, s1, __FUNCTION__._ZL13mul_mat_f_idsIfLi32ELi3ELi1EEvPKT_PKfPKiS6_S6_Pfiiiiiiiiiiiiii15HIP_vector_typeIjLj3EES9_@rel32@hi+12
	s_getpc_b64 s[2:3]
	s_add_u32 s2, s2, _ZL14no_device_codePKciS0_iS0_@rel32@lo+4
	s_addc_u32 s3, s3, _ZL14no_device_codePKciS0_iS0_@rel32@hi+12
	v_mov_b32_e32 v0, 0x13b
	v_mov_b32_e32 v1, s0
	;; [unrolled: 1-line block ×3, first 2 shown]
	s_mov_b32 s32, 0
	s_swappc_b64 s[30:31], s[2:3]
	.section	.rodata,"a",@progbits
	.p2align	6, 0x0
	.amdhsa_kernel _ZL13mul_mat_f_idsI7__half2Li32ELi3ELi7EEvPKT_PKfPKiS7_S7_Pfiiiiiiiiiiiiii15HIP_vector_typeIjLj3EESA_
		.amdhsa_group_segment_fixed_size 0
		.amdhsa_private_segment_fixed_size 16
		.amdhsa_kernarg_size 384
		.amdhsa_user_sgpr_count 2
		.amdhsa_user_sgpr_dispatch_ptr 0
		.amdhsa_user_sgpr_queue_ptr 0
		.amdhsa_user_sgpr_kernarg_segment_ptr 1
		.amdhsa_user_sgpr_dispatch_id 0
		.amdhsa_user_sgpr_kernarg_preload_length 0
		.amdhsa_user_sgpr_kernarg_preload_offset 0
		.amdhsa_user_sgpr_private_segment_size 0
		.amdhsa_uses_dynamic_stack 0
		.amdhsa_enable_private_segment 1
		.amdhsa_system_sgpr_workgroup_id_x 1
		.amdhsa_system_sgpr_workgroup_id_y 0
		.amdhsa_system_sgpr_workgroup_id_z 0
		.amdhsa_system_sgpr_workgroup_info 0
		.amdhsa_system_vgpr_workitem_id 0
		.amdhsa_next_free_vgpr 38
		.amdhsa_next_free_sgpr 34
		.amdhsa_accum_offset 40
		.amdhsa_reserve_vcc 1
		.amdhsa_float_round_mode_32 0
		.amdhsa_float_round_mode_16_64 0
		.amdhsa_float_denorm_mode_32 3
		.amdhsa_float_denorm_mode_16_64 3
		.amdhsa_dx10_clamp 1
		.amdhsa_ieee_mode 1
		.amdhsa_fp16_overflow 0
		.amdhsa_tg_split 0
		.amdhsa_exception_fp_ieee_invalid_op 0
		.amdhsa_exception_fp_denorm_src 0
		.amdhsa_exception_fp_ieee_div_zero 0
		.amdhsa_exception_fp_ieee_overflow 0
		.amdhsa_exception_fp_ieee_underflow 0
		.amdhsa_exception_fp_ieee_inexact 0
		.amdhsa_exception_int_div_zero 0
	.end_amdhsa_kernel
	.section	.text._ZL13mul_mat_f_idsI7__half2Li32ELi3ELi7EEvPKT_PKfPKiS7_S7_Pfiiiiiiiiiiiiii15HIP_vector_typeIjLj3EESA_,"axG",@progbits,_ZL13mul_mat_f_idsI7__half2Li32ELi3ELi7EEvPKT_PKfPKiS7_S7_Pfiiiiiiiiiiiiii15HIP_vector_typeIjLj3EESA_,comdat
.Lfunc_end45:
	.size	_ZL13mul_mat_f_idsI7__half2Li32ELi3ELi7EEvPKT_PKfPKiS7_S7_Pfiiiiiiiiiiiiii15HIP_vector_typeIjLj3EESA_, .Lfunc_end45-_ZL13mul_mat_f_idsI7__half2Li32ELi3ELi7EEvPKT_PKfPKiS7_S7_Pfiiiiiiiiiiiiii15HIP_vector_typeIjLj3EESA_
                                        ; -- End function
	.set _ZL13mul_mat_f_idsI7__half2Li32ELi3ELi7EEvPKT_PKfPKiS7_S7_Pfiiiiiiiiiiiiii15HIP_vector_typeIjLj3EESA_.num_vgpr, max(3, .L_ZL14no_device_codePKciS0_iS0_.num_vgpr)
	.set _ZL13mul_mat_f_idsI7__half2Li32ELi3ELi7EEvPKT_PKfPKiS7_S7_Pfiiiiiiiiiiiiii15HIP_vector_typeIjLj3EESA_.num_agpr, max(0, .L_ZL14no_device_codePKciS0_iS0_.num_agpr)
	.set _ZL13mul_mat_f_idsI7__half2Li32ELi3ELi7EEvPKT_PKfPKiS7_S7_Pfiiiiiiiiiiiiii15HIP_vector_typeIjLj3EESA_.numbered_sgpr, max(33, .L_ZL14no_device_codePKciS0_iS0_.numbered_sgpr)
	.set _ZL13mul_mat_f_idsI7__half2Li32ELi3ELi7EEvPKT_PKfPKiS7_S7_Pfiiiiiiiiiiiiii15HIP_vector_typeIjLj3EESA_.num_named_barrier, max(0, .L_ZL14no_device_codePKciS0_iS0_.num_named_barrier)
	.set _ZL13mul_mat_f_idsI7__half2Li32ELi3ELi7EEvPKT_PKfPKiS7_S7_Pfiiiiiiiiiiiiii15HIP_vector_typeIjLj3EESA_.private_seg_size, 0+max(.L_ZL14no_device_codePKciS0_iS0_.private_seg_size)
	.set _ZL13mul_mat_f_idsI7__half2Li32ELi3ELi7EEvPKT_PKfPKiS7_S7_Pfiiiiiiiiiiiiii15HIP_vector_typeIjLj3EESA_.uses_vcc, or(1, .L_ZL14no_device_codePKciS0_iS0_.uses_vcc)
	.set _ZL13mul_mat_f_idsI7__half2Li32ELi3ELi7EEvPKT_PKfPKiS7_S7_Pfiiiiiiiiiiiiii15HIP_vector_typeIjLj3EESA_.uses_flat_scratch, or(0, .L_ZL14no_device_codePKciS0_iS0_.uses_flat_scratch)
	.set _ZL13mul_mat_f_idsI7__half2Li32ELi3ELi7EEvPKT_PKfPKiS7_S7_Pfiiiiiiiiiiiiii15HIP_vector_typeIjLj3EESA_.has_dyn_sized_stack, or(0, .L_ZL14no_device_codePKciS0_iS0_.has_dyn_sized_stack)
	.set _ZL13mul_mat_f_idsI7__half2Li32ELi3ELi7EEvPKT_PKfPKiS7_S7_Pfiiiiiiiiiiiiii15HIP_vector_typeIjLj3EESA_.has_recursion, or(0, .L_ZL14no_device_codePKciS0_iS0_.has_recursion)
	.set _ZL13mul_mat_f_idsI7__half2Li32ELi3ELi7EEvPKT_PKfPKiS7_S7_Pfiiiiiiiiiiiiii15HIP_vector_typeIjLj3EESA_.has_indirect_call, or(0, .L_ZL14no_device_codePKciS0_iS0_.has_indirect_call)
	.section	.AMDGPU.csdata,"",@progbits
; Kernel info:
; codeLenInByte = 76
; TotalNumSgprs: 40
; NumVgprs: 38
; NumAgprs: 0
; TotalNumVgprs: 38
; ScratchSize: 16
; MemoryBound: 0
; FloatMode: 240
; IeeeMode: 1
; LDSByteSize: 0 bytes/workgroup (compile time only)
; SGPRBlocks: 4
; VGPRBlocks: 4
; NumSGPRsForWavesPerEU: 40
; NumVGPRsForWavesPerEU: 38
; AccumOffset: 40
; Occupancy: 8
; WaveLimiterHint : 1
; COMPUTE_PGM_RSRC2:SCRATCH_EN: 1
; COMPUTE_PGM_RSRC2:USER_SGPR: 2
; COMPUTE_PGM_RSRC2:TRAP_HANDLER: 0
; COMPUTE_PGM_RSRC2:TGID_X_EN: 1
; COMPUTE_PGM_RSRC2:TGID_Y_EN: 0
; COMPUTE_PGM_RSRC2:TGID_Z_EN: 0
; COMPUTE_PGM_RSRC2:TIDIG_COMP_CNT: 0
; COMPUTE_PGM_RSRC3_GFX90A:ACCUM_OFFSET: 9
; COMPUTE_PGM_RSRC3_GFX90A:TG_SPLIT: 0
	.section	.text._ZL9mul_mat_fI7__half2Li32ELi3ELi7ELb1EEvPKT_PKfPKiPfiiiiiiiiiiiiiiii,"axG",@progbits,_ZL9mul_mat_fI7__half2Li32ELi3ELi7ELb1EEvPKT_PKfPKiPfiiiiiiiiiiiiiiii,comdat
	.globl	_ZL9mul_mat_fI7__half2Li32ELi3ELi7ELb1EEvPKT_PKfPKiPfiiiiiiiiiiiiiiii ; -- Begin function _ZL9mul_mat_fI7__half2Li32ELi3ELi7ELb1EEvPKT_PKfPKiPfiiiiiiiiiiiiiiii
	.p2align	8
	.type	_ZL9mul_mat_fI7__half2Li32ELi3ELi7ELb1EEvPKT_PKfPKiPfiiiiiiiiiiiiiiii,@function
_ZL9mul_mat_fI7__half2Li32ELi3ELi7ELb1EEvPKT_PKfPKiPfiiiiiiiiiiiiiiii: ; @_ZL9mul_mat_fI7__half2Li32ELi3ELi7ELb1EEvPKT_PKfPKiPfiiiiiiiiiiiiiiii
; %bb.0:
	s_add_u32 s8, s0, 0x60
	s_addc_u32 s9, s1, 0
	s_getpc_b64 s[0:1]
	s_add_u32 s0, s0, __FUNCTION__._ZL9mul_mat_fIfLi32ELi3ELi1ELb1EEvPKT_PKfPKiPfiiiiiiiiiiiiiiii@rel32@lo+4
	s_addc_u32 s1, s1, __FUNCTION__._ZL9mul_mat_fIfLi32ELi3ELi1ELb1EEvPKT_PKfPKiPfiiiiiiiiiiiiiiii@rel32@hi+12
	s_getpc_b64 s[2:3]
	s_add_u32 s2, s2, _ZL14no_device_codePKciS0_iS0_@rel32@lo+4
	s_addc_u32 s3, s3, _ZL14no_device_codePKciS0_iS0_@rel32@hi+12
	v_mov_b32_e32 v0, 64
	v_mov_b32_e32 v1, s0
	v_mov_b32_e32 v2, s1
	s_mov_b32 s32, 0
	s_swappc_b64 s[30:31], s[2:3]
	.section	.rodata,"a",@progbits
	.p2align	6, 0x0
	.amdhsa_kernel _ZL9mul_mat_fI7__half2Li32ELi3ELi7ELb1EEvPKT_PKfPKiPfiiiiiiiiiiiiiiii
		.amdhsa_group_segment_fixed_size 0
		.amdhsa_private_segment_fixed_size 16
		.amdhsa_kernarg_size 352
		.amdhsa_user_sgpr_count 2
		.amdhsa_user_sgpr_dispatch_ptr 0
		.amdhsa_user_sgpr_queue_ptr 0
		.amdhsa_user_sgpr_kernarg_segment_ptr 1
		.amdhsa_user_sgpr_dispatch_id 0
		.amdhsa_user_sgpr_kernarg_preload_length 0
		.amdhsa_user_sgpr_kernarg_preload_offset 0
		.amdhsa_user_sgpr_private_segment_size 0
		.amdhsa_uses_dynamic_stack 0
		.amdhsa_enable_private_segment 1
		.amdhsa_system_sgpr_workgroup_id_x 1
		.amdhsa_system_sgpr_workgroup_id_y 0
		.amdhsa_system_sgpr_workgroup_id_z 0
		.amdhsa_system_sgpr_workgroup_info 0
		.amdhsa_system_vgpr_workitem_id 0
		.amdhsa_next_free_vgpr 38
		.amdhsa_next_free_sgpr 34
		.amdhsa_accum_offset 40
		.amdhsa_reserve_vcc 1
		.amdhsa_float_round_mode_32 0
		.amdhsa_float_round_mode_16_64 0
		.amdhsa_float_denorm_mode_32 3
		.amdhsa_float_denorm_mode_16_64 3
		.amdhsa_dx10_clamp 1
		.amdhsa_ieee_mode 1
		.amdhsa_fp16_overflow 0
		.amdhsa_tg_split 0
		.amdhsa_exception_fp_ieee_invalid_op 0
		.amdhsa_exception_fp_denorm_src 0
		.amdhsa_exception_fp_ieee_div_zero 0
		.amdhsa_exception_fp_ieee_overflow 0
		.amdhsa_exception_fp_ieee_underflow 0
		.amdhsa_exception_fp_ieee_inexact 0
		.amdhsa_exception_int_div_zero 0
	.end_amdhsa_kernel
	.section	.text._ZL9mul_mat_fI7__half2Li32ELi3ELi7ELb1EEvPKT_PKfPKiPfiiiiiiiiiiiiiiii,"axG",@progbits,_ZL9mul_mat_fI7__half2Li32ELi3ELi7ELb1EEvPKT_PKfPKiPfiiiiiiiiiiiiiiii,comdat
.Lfunc_end46:
	.size	_ZL9mul_mat_fI7__half2Li32ELi3ELi7ELb1EEvPKT_PKfPKiPfiiiiiiiiiiiiiiii, .Lfunc_end46-_ZL9mul_mat_fI7__half2Li32ELi3ELi7ELb1EEvPKT_PKfPKiPfiiiiiiiiiiiiiiii
                                        ; -- End function
	.set _ZL9mul_mat_fI7__half2Li32ELi3ELi7ELb1EEvPKT_PKfPKiPfiiiiiiiiiiiiiiii.num_vgpr, max(3, .L_ZL14no_device_codePKciS0_iS0_.num_vgpr)
	.set _ZL9mul_mat_fI7__half2Li32ELi3ELi7ELb1EEvPKT_PKfPKiPfiiiiiiiiiiiiiiii.num_agpr, max(0, .L_ZL14no_device_codePKciS0_iS0_.num_agpr)
	.set _ZL9mul_mat_fI7__half2Li32ELi3ELi7ELb1EEvPKT_PKfPKiPfiiiiiiiiiiiiiiii.numbered_sgpr, max(33, .L_ZL14no_device_codePKciS0_iS0_.numbered_sgpr)
	.set _ZL9mul_mat_fI7__half2Li32ELi3ELi7ELb1EEvPKT_PKfPKiPfiiiiiiiiiiiiiiii.num_named_barrier, max(0, .L_ZL14no_device_codePKciS0_iS0_.num_named_barrier)
	.set _ZL9mul_mat_fI7__half2Li32ELi3ELi7ELb1EEvPKT_PKfPKiPfiiiiiiiiiiiiiiii.private_seg_size, 0+max(.L_ZL14no_device_codePKciS0_iS0_.private_seg_size)
	.set _ZL9mul_mat_fI7__half2Li32ELi3ELi7ELb1EEvPKT_PKfPKiPfiiiiiiiiiiiiiiii.uses_vcc, or(1, .L_ZL14no_device_codePKciS0_iS0_.uses_vcc)
	.set _ZL9mul_mat_fI7__half2Li32ELi3ELi7ELb1EEvPKT_PKfPKiPfiiiiiiiiiiiiiiii.uses_flat_scratch, or(0, .L_ZL14no_device_codePKciS0_iS0_.uses_flat_scratch)
	.set _ZL9mul_mat_fI7__half2Li32ELi3ELi7ELb1EEvPKT_PKfPKiPfiiiiiiiiiiiiiiii.has_dyn_sized_stack, or(0, .L_ZL14no_device_codePKciS0_iS0_.has_dyn_sized_stack)
	.set _ZL9mul_mat_fI7__half2Li32ELi3ELi7ELb1EEvPKT_PKfPKiPfiiiiiiiiiiiiiiii.has_recursion, or(0, .L_ZL14no_device_codePKciS0_iS0_.has_recursion)
	.set _ZL9mul_mat_fI7__half2Li32ELi3ELi7ELb1EEvPKT_PKfPKiPfiiiiiiiiiiiiiiii.has_indirect_call, or(0, .L_ZL14no_device_codePKciS0_iS0_.has_indirect_call)
	.section	.AMDGPU.csdata,"",@progbits
; Kernel info:
; codeLenInByte = 72
; TotalNumSgprs: 40
; NumVgprs: 38
; NumAgprs: 0
; TotalNumVgprs: 38
; ScratchSize: 16
; MemoryBound: 0
; FloatMode: 240
; IeeeMode: 1
; LDSByteSize: 0 bytes/workgroup (compile time only)
; SGPRBlocks: 4
; VGPRBlocks: 4
; NumSGPRsForWavesPerEU: 40
; NumVGPRsForWavesPerEU: 38
; AccumOffset: 40
; Occupancy: 8
; WaveLimiterHint : 1
; COMPUTE_PGM_RSRC2:SCRATCH_EN: 1
; COMPUTE_PGM_RSRC2:USER_SGPR: 2
; COMPUTE_PGM_RSRC2:TRAP_HANDLER: 0
; COMPUTE_PGM_RSRC2:TGID_X_EN: 1
; COMPUTE_PGM_RSRC2:TGID_Y_EN: 0
; COMPUTE_PGM_RSRC2:TGID_Z_EN: 0
; COMPUTE_PGM_RSRC2:TIDIG_COMP_CNT: 0
; COMPUTE_PGM_RSRC3_GFX90A:ACCUM_OFFSET: 9
; COMPUTE_PGM_RSRC3_GFX90A:TG_SPLIT: 0
	.section	.text._ZL9mul_mat_fI7__half2Li32ELi3ELi7ELb0EEvPKT_PKfPKiPfiiiiiiiiiiiiiiii,"axG",@progbits,_ZL9mul_mat_fI7__half2Li32ELi3ELi7ELb0EEvPKT_PKfPKiPfiiiiiiiiiiiiiiii,comdat
	.globl	_ZL9mul_mat_fI7__half2Li32ELi3ELi7ELb0EEvPKT_PKfPKiPfiiiiiiiiiiiiiiii ; -- Begin function _ZL9mul_mat_fI7__half2Li32ELi3ELi7ELb0EEvPKT_PKfPKiPfiiiiiiiiiiiiiiii
	.p2align	8
	.type	_ZL9mul_mat_fI7__half2Li32ELi3ELi7ELb0EEvPKT_PKfPKiPfiiiiiiiiiiiiiiii,@function
_ZL9mul_mat_fI7__half2Li32ELi3ELi7ELb0EEvPKT_PKfPKiPfiiiiiiiiiiiiiiii: ; @_ZL9mul_mat_fI7__half2Li32ELi3ELi7ELb0EEvPKT_PKfPKiPfiiiiiiiiiiiiiiii
; %bb.0:
	s_add_u32 s8, s0, 0x60
	s_addc_u32 s9, s1, 0
	s_getpc_b64 s[0:1]
	s_add_u32 s0, s0, __FUNCTION__._ZL9mul_mat_fIfLi32ELi3ELi1ELb1EEvPKT_PKfPKiPfiiiiiiiiiiiiiiii@rel32@lo+4
	s_addc_u32 s1, s1, __FUNCTION__._ZL9mul_mat_fIfLi32ELi3ELi1ELb1EEvPKT_PKfPKiPfiiiiiiiiiiiiiiii@rel32@hi+12
	s_getpc_b64 s[2:3]
	s_add_u32 s2, s2, _ZL14no_device_codePKciS0_iS0_@rel32@lo+4
	s_addc_u32 s3, s3, _ZL14no_device_codePKciS0_iS0_@rel32@hi+12
	v_mov_b32_e32 v0, 64
	v_mov_b32_e32 v1, s0
	;; [unrolled: 1-line block ×3, first 2 shown]
	s_mov_b32 s32, 0
	s_swappc_b64 s[30:31], s[2:3]
	.section	.rodata,"a",@progbits
	.p2align	6, 0x0
	.amdhsa_kernel _ZL9mul_mat_fI7__half2Li32ELi3ELi7ELb0EEvPKT_PKfPKiPfiiiiiiiiiiiiiiii
		.amdhsa_group_segment_fixed_size 0
		.amdhsa_private_segment_fixed_size 16
		.amdhsa_kernarg_size 352
		.amdhsa_user_sgpr_count 2
		.amdhsa_user_sgpr_dispatch_ptr 0
		.amdhsa_user_sgpr_queue_ptr 0
		.amdhsa_user_sgpr_kernarg_segment_ptr 1
		.amdhsa_user_sgpr_dispatch_id 0
		.amdhsa_user_sgpr_kernarg_preload_length 0
		.amdhsa_user_sgpr_kernarg_preload_offset 0
		.amdhsa_user_sgpr_private_segment_size 0
		.amdhsa_uses_dynamic_stack 0
		.amdhsa_enable_private_segment 1
		.amdhsa_system_sgpr_workgroup_id_x 1
		.amdhsa_system_sgpr_workgroup_id_y 0
		.amdhsa_system_sgpr_workgroup_id_z 0
		.amdhsa_system_sgpr_workgroup_info 0
		.amdhsa_system_vgpr_workitem_id 0
		.amdhsa_next_free_vgpr 38
		.amdhsa_next_free_sgpr 34
		.amdhsa_accum_offset 40
		.amdhsa_reserve_vcc 1
		.amdhsa_float_round_mode_32 0
		.amdhsa_float_round_mode_16_64 0
		.amdhsa_float_denorm_mode_32 3
		.amdhsa_float_denorm_mode_16_64 3
		.amdhsa_dx10_clamp 1
		.amdhsa_ieee_mode 1
		.amdhsa_fp16_overflow 0
		.amdhsa_tg_split 0
		.amdhsa_exception_fp_ieee_invalid_op 0
		.amdhsa_exception_fp_denorm_src 0
		.amdhsa_exception_fp_ieee_div_zero 0
		.amdhsa_exception_fp_ieee_overflow 0
		.amdhsa_exception_fp_ieee_underflow 0
		.amdhsa_exception_fp_ieee_inexact 0
		.amdhsa_exception_int_div_zero 0
	.end_amdhsa_kernel
	.section	.text._ZL9mul_mat_fI7__half2Li32ELi3ELi7ELb0EEvPKT_PKfPKiPfiiiiiiiiiiiiiiii,"axG",@progbits,_ZL9mul_mat_fI7__half2Li32ELi3ELi7ELb0EEvPKT_PKfPKiPfiiiiiiiiiiiiiiii,comdat
.Lfunc_end47:
	.size	_ZL9mul_mat_fI7__half2Li32ELi3ELi7ELb0EEvPKT_PKfPKiPfiiiiiiiiiiiiiiii, .Lfunc_end47-_ZL9mul_mat_fI7__half2Li32ELi3ELi7ELb0EEvPKT_PKfPKiPfiiiiiiiiiiiiiiii
                                        ; -- End function
	.set _ZL9mul_mat_fI7__half2Li32ELi3ELi7ELb0EEvPKT_PKfPKiPfiiiiiiiiiiiiiiii.num_vgpr, max(3, .L_ZL14no_device_codePKciS0_iS0_.num_vgpr)
	.set _ZL9mul_mat_fI7__half2Li32ELi3ELi7ELb0EEvPKT_PKfPKiPfiiiiiiiiiiiiiiii.num_agpr, max(0, .L_ZL14no_device_codePKciS0_iS0_.num_agpr)
	.set _ZL9mul_mat_fI7__half2Li32ELi3ELi7ELb0EEvPKT_PKfPKiPfiiiiiiiiiiiiiiii.numbered_sgpr, max(33, .L_ZL14no_device_codePKciS0_iS0_.numbered_sgpr)
	.set _ZL9mul_mat_fI7__half2Li32ELi3ELi7ELb0EEvPKT_PKfPKiPfiiiiiiiiiiiiiiii.num_named_barrier, max(0, .L_ZL14no_device_codePKciS0_iS0_.num_named_barrier)
	.set _ZL9mul_mat_fI7__half2Li32ELi3ELi7ELb0EEvPKT_PKfPKiPfiiiiiiiiiiiiiiii.private_seg_size, 0+max(.L_ZL14no_device_codePKciS0_iS0_.private_seg_size)
	.set _ZL9mul_mat_fI7__half2Li32ELi3ELi7ELb0EEvPKT_PKfPKiPfiiiiiiiiiiiiiiii.uses_vcc, or(1, .L_ZL14no_device_codePKciS0_iS0_.uses_vcc)
	.set _ZL9mul_mat_fI7__half2Li32ELi3ELi7ELb0EEvPKT_PKfPKiPfiiiiiiiiiiiiiiii.uses_flat_scratch, or(0, .L_ZL14no_device_codePKciS0_iS0_.uses_flat_scratch)
	.set _ZL9mul_mat_fI7__half2Li32ELi3ELi7ELb0EEvPKT_PKfPKiPfiiiiiiiiiiiiiiii.has_dyn_sized_stack, or(0, .L_ZL14no_device_codePKciS0_iS0_.has_dyn_sized_stack)
	.set _ZL9mul_mat_fI7__half2Li32ELi3ELi7ELb0EEvPKT_PKfPKiPfiiiiiiiiiiiiiiii.has_recursion, or(0, .L_ZL14no_device_codePKciS0_iS0_.has_recursion)
	.set _ZL9mul_mat_fI7__half2Li32ELi3ELi7ELb0EEvPKT_PKfPKiPfiiiiiiiiiiiiiiii.has_indirect_call, or(0, .L_ZL14no_device_codePKciS0_iS0_.has_indirect_call)
	.section	.AMDGPU.csdata,"",@progbits
; Kernel info:
; codeLenInByte = 72
; TotalNumSgprs: 40
; NumVgprs: 38
; NumAgprs: 0
; TotalNumVgprs: 38
; ScratchSize: 16
; MemoryBound: 0
; FloatMode: 240
; IeeeMode: 1
; LDSByteSize: 0 bytes/workgroup (compile time only)
; SGPRBlocks: 4
; VGPRBlocks: 4
; NumSGPRsForWavesPerEU: 40
; NumVGPRsForWavesPerEU: 38
; AccumOffset: 40
; Occupancy: 8
; WaveLimiterHint : 1
; COMPUTE_PGM_RSRC2:SCRATCH_EN: 1
; COMPUTE_PGM_RSRC2:USER_SGPR: 2
; COMPUTE_PGM_RSRC2:TRAP_HANDLER: 0
; COMPUTE_PGM_RSRC2:TGID_X_EN: 1
; COMPUTE_PGM_RSRC2:TGID_Y_EN: 0
; COMPUTE_PGM_RSRC2:TGID_Z_EN: 0
; COMPUTE_PGM_RSRC2:TIDIG_COMP_CNT: 0
; COMPUTE_PGM_RSRC3_GFX90A:ACCUM_OFFSET: 9
; COMPUTE_PGM_RSRC3_GFX90A:TG_SPLIT: 0
	.section	.text._ZL13mul_mat_f_idsI7__half2Li32ELi3ELi8EEvPKT_PKfPKiS7_S7_Pfiiiiiiiiiiiiii15HIP_vector_typeIjLj3EESA_,"axG",@progbits,_ZL13mul_mat_f_idsI7__half2Li32ELi3ELi8EEvPKT_PKfPKiS7_S7_Pfiiiiiiiiiiiiii15HIP_vector_typeIjLj3EESA_,comdat
	.globl	_ZL13mul_mat_f_idsI7__half2Li32ELi3ELi8EEvPKT_PKfPKiS7_S7_Pfiiiiiiiiiiiiii15HIP_vector_typeIjLj3EESA_ ; -- Begin function _ZL13mul_mat_f_idsI7__half2Li32ELi3ELi8EEvPKT_PKfPKiS7_S7_Pfiiiiiiiiiiiiii15HIP_vector_typeIjLj3EESA_
	.p2align	8
	.type	_ZL13mul_mat_f_idsI7__half2Li32ELi3ELi8EEvPKT_PKfPKiS7_S7_Pfiiiiiiiiiiiiii15HIP_vector_typeIjLj3EESA_,@function
_ZL13mul_mat_f_idsI7__half2Li32ELi3ELi8EEvPKT_PKfPKiS7_S7_Pfiiiiiiiiiiiiii15HIP_vector_typeIjLj3EESA_: ; @_ZL13mul_mat_f_idsI7__half2Li32ELi3ELi8EEvPKT_PKfPKiS7_S7_Pfiiiiiiiiiiiiii15HIP_vector_typeIjLj3EESA_
; %bb.0:
	s_add_u32 s8, s0, 0x80
	s_addc_u32 s9, s1, 0
	s_getpc_b64 s[0:1]
	s_add_u32 s0, s0, __FUNCTION__._ZL13mul_mat_f_idsIfLi32ELi3ELi1EEvPKT_PKfPKiS6_S6_Pfiiiiiiiiiiiiii15HIP_vector_typeIjLj3EES9_@rel32@lo+4
	s_addc_u32 s1, s1, __FUNCTION__._ZL13mul_mat_f_idsIfLi32ELi3ELi1EEvPKT_PKfPKiS6_S6_Pfiiiiiiiiiiiiii15HIP_vector_typeIjLj3EES9_@rel32@hi+12
	s_getpc_b64 s[2:3]
	s_add_u32 s2, s2, _ZL14no_device_codePKciS0_iS0_@rel32@lo+4
	s_addc_u32 s3, s3, _ZL14no_device_codePKciS0_iS0_@rel32@hi+12
	v_mov_b32_e32 v0, 0x13b
	v_mov_b32_e32 v1, s0
	;; [unrolled: 1-line block ×3, first 2 shown]
	s_mov_b32 s32, 0
	s_swappc_b64 s[30:31], s[2:3]
	.section	.rodata,"a",@progbits
	.p2align	6, 0x0
	.amdhsa_kernel _ZL13mul_mat_f_idsI7__half2Li32ELi3ELi8EEvPKT_PKfPKiS7_S7_Pfiiiiiiiiiiiiii15HIP_vector_typeIjLj3EESA_
		.amdhsa_group_segment_fixed_size 0
		.amdhsa_private_segment_fixed_size 16
		.amdhsa_kernarg_size 384
		.amdhsa_user_sgpr_count 2
		.amdhsa_user_sgpr_dispatch_ptr 0
		.amdhsa_user_sgpr_queue_ptr 0
		.amdhsa_user_sgpr_kernarg_segment_ptr 1
		.amdhsa_user_sgpr_dispatch_id 0
		.amdhsa_user_sgpr_kernarg_preload_length 0
		.amdhsa_user_sgpr_kernarg_preload_offset 0
		.amdhsa_user_sgpr_private_segment_size 0
		.amdhsa_uses_dynamic_stack 0
		.amdhsa_enable_private_segment 1
		.amdhsa_system_sgpr_workgroup_id_x 1
		.amdhsa_system_sgpr_workgroup_id_y 0
		.amdhsa_system_sgpr_workgroup_id_z 0
		.amdhsa_system_sgpr_workgroup_info 0
		.amdhsa_system_vgpr_workitem_id 0
		.amdhsa_next_free_vgpr 38
		.amdhsa_next_free_sgpr 34
		.amdhsa_accum_offset 40
		.amdhsa_reserve_vcc 1
		.amdhsa_float_round_mode_32 0
		.amdhsa_float_round_mode_16_64 0
		.amdhsa_float_denorm_mode_32 3
		.amdhsa_float_denorm_mode_16_64 3
		.amdhsa_dx10_clamp 1
		.amdhsa_ieee_mode 1
		.amdhsa_fp16_overflow 0
		.amdhsa_tg_split 0
		.amdhsa_exception_fp_ieee_invalid_op 0
		.amdhsa_exception_fp_denorm_src 0
		.amdhsa_exception_fp_ieee_div_zero 0
		.amdhsa_exception_fp_ieee_overflow 0
		.amdhsa_exception_fp_ieee_underflow 0
		.amdhsa_exception_fp_ieee_inexact 0
		.amdhsa_exception_int_div_zero 0
	.end_amdhsa_kernel
	.section	.text._ZL13mul_mat_f_idsI7__half2Li32ELi3ELi8EEvPKT_PKfPKiS7_S7_Pfiiiiiiiiiiiiii15HIP_vector_typeIjLj3EESA_,"axG",@progbits,_ZL13mul_mat_f_idsI7__half2Li32ELi3ELi8EEvPKT_PKfPKiS7_S7_Pfiiiiiiiiiiiiii15HIP_vector_typeIjLj3EESA_,comdat
.Lfunc_end48:
	.size	_ZL13mul_mat_f_idsI7__half2Li32ELi3ELi8EEvPKT_PKfPKiS7_S7_Pfiiiiiiiiiiiiii15HIP_vector_typeIjLj3EESA_, .Lfunc_end48-_ZL13mul_mat_f_idsI7__half2Li32ELi3ELi8EEvPKT_PKfPKiS7_S7_Pfiiiiiiiiiiiiii15HIP_vector_typeIjLj3EESA_
                                        ; -- End function
	.set _ZL13mul_mat_f_idsI7__half2Li32ELi3ELi8EEvPKT_PKfPKiS7_S7_Pfiiiiiiiiiiiiii15HIP_vector_typeIjLj3EESA_.num_vgpr, max(3, .L_ZL14no_device_codePKciS0_iS0_.num_vgpr)
	.set _ZL13mul_mat_f_idsI7__half2Li32ELi3ELi8EEvPKT_PKfPKiS7_S7_Pfiiiiiiiiiiiiii15HIP_vector_typeIjLj3EESA_.num_agpr, max(0, .L_ZL14no_device_codePKciS0_iS0_.num_agpr)
	.set _ZL13mul_mat_f_idsI7__half2Li32ELi3ELi8EEvPKT_PKfPKiS7_S7_Pfiiiiiiiiiiiiii15HIP_vector_typeIjLj3EESA_.numbered_sgpr, max(33, .L_ZL14no_device_codePKciS0_iS0_.numbered_sgpr)
	.set _ZL13mul_mat_f_idsI7__half2Li32ELi3ELi8EEvPKT_PKfPKiS7_S7_Pfiiiiiiiiiiiiii15HIP_vector_typeIjLj3EESA_.num_named_barrier, max(0, .L_ZL14no_device_codePKciS0_iS0_.num_named_barrier)
	.set _ZL13mul_mat_f_idsI7__half2Li32ELi3ELi8EEvPKT_PKfPKiS7_S7_Pfiiiiiiiiiiiiii15HIP_vector_typeIjLj3EESA_.private_seg_size, 0+max(.L_ZL14no_device_codePKciS0_iS0_.private_seg_size)
	.set _ZL13mul_mat_f_idsI7__half2Li32ELi3ELi8EEvPKT_PKfPKiS7_S7_Pfiiiiiiiiiiiiii15HIP_vector_typeIjLj3EESA_.uses_vcc, or(1, .L_ZL14no_device_codePKciS0_iS0_.uses_vcc)
	.set _ZL13mul_mat_f_idsI7__half2Li32ELi3ELi8EEvPKT_PKfPKiS7_S7_Pfiiiiiiiiiiiiii15HIP_vector_typeIjLj3EESA_.uses_flat_scratch, or(0, .L_ZL14no_device_codePKciS0_iS0_.uses_flat_scratch)
	.set _ZL13mul_mat_f_idsI7__half2Li32ELi3ELi8EEvPKT_PKfPKiS7_S7_Pfiiiiiiiiiiiiii15HIP_vector_typeIjLj3EESA_.has_dyn_sized_stack, or(0, .L_ZL14no_device_codePKciS0_iS0_.has_dyn_sized_stack)
	.set _ZL13mul_mat_f_idsI7__half2Li32ELi3ELi8EEvPKT_PKfPKiS7_S7_Pfiiiiiiiiiiiiii15HIP_vector_typeIjLj3EESA_.has_recursion, or(0, .L_ZL14no_device_codePKciS0_iS0_.has_recursion)
	.set _ZL13mul_mat_f_idsI7__half2Li32ELi3ELi8EEvPKT_PKfPKiS7_S7_Pfiiiiiiiiiiiiii15HIP_vector_typeIjLj3EESA_.has_indirect_call, or(0, .L_ZL14no_device_codePKciS0_iS0_.has_indirect_call)
	.section	.AMDGPU.csdata,"",@progbits
; Kernel info:
; codeLenInByte = 76
; TotalNumSgprs: 40
; NumVgprs: 38
; NumAgprs: 0
; TotalNumVgprs: 38
; ScratchSize: 16
; MemoryBound: 0
; FloatMode: 240
; IeeeMode: 1
; LDSByteSize: 0 bytes/workgroup (compile time only)
; SGPRBlocks: 4
; VGPRBlocks: 4
; NumSGPRsForWavesPerEU: 40
; NumVGPRsForWavesPerEU: 38
; AccumOffset: 40
; Occupancy: 8
; WaveLimiterHint : 1
; COMPUTE_PGM_RSRC2:SCRATCH_EN: 1
; COMPUTE_PGM_RSRC2:USER_SGPR: 2
; COMPUTE_PGM_RSRC2:TRAP_HANDLER: 0
; COMPUTE_PGM_RSRC2:TGID_X_EN: 1
; COMPUTE_PGM_RSRC2:TGID_Y_EN: 0
; COMPUTE_PGM_RSRC2:TGID_Z_EN: 0
; COMPUTE_PGM_RSRC2:TIDIG_COMP_CNT: 0
; COMPUTE_PGM_RSRC3_GFX90A:ACCUM_OFFSET: 9
; COMPUTE_PGM_RSRC3_GFX90A:TG_SPLIT: 0
	.section	.text._ZL9mul_mat_fI7__half2Li32ELi3ELi8ELb1EEvPKT_PKfPKiPfiiiiiiiiiiiiiiii,"axG",@progbits,_ZL9mul_mat_fI7__half2Li32ELi3ELi8ELb1EEvPKT_PKfPKiPfiiiiiiiiiiiiiiii,comdat
	.globl	_ZL9mul_mat_fI7__half2Li32ELi3ELi8ELb1EEvPKT_PKfPKiPfiiiiiiiiiiiiiiii ; -- Begin function _ZL9mul_mat_fI7__half2Li32ELi3ELi8ELb1EEvPKT_PKfPKiPfiiiiiiiiiiiiiiii
	.p2align	8
	.type	_ZL9mul_mat_fI7__half2Li32ELi3ELi8ELb1EEvPKT_PKfPKiPfiiiiiiiiiiiiiiii,@function
_ZL9mul_mat_fI7__half2Li32ELi3ELi8ELb1EEvPKT_PKfPKiPfiiiiiiiiiiiiiiii: ; @_ZL9mul_mat_fI7__half2Li32ELi3ELi8ELb1EEvPKT_PKfPKiPfiiiiiiiiiiiiiiii
; %bb.0:
	s_add_u32 s8, s0, 0x60
	s_addc_u32 s9, s1, 0
	s_getpc_b64 s[0:1]
	s_add_u32 s0, s0, __FUNCTION__._ZL9mul_mat_fIfLi32ELi3ELi1ELb1EEvPKT_PKfPKiPfiiiiiiiiiiiiiiii@rel32@lo+4
	s_addc_u32 s1, s1, __FUNCTION__._ZL9mul_mat_fIfLi32ELi3ELi1ELb1EEvPKT_PKfPKiPfiiiiiiiiiiiiiiii@rel32@hi+12
	s_getpc_b64 s[2:3]
	s_add_u32 s2, s2, _ZL14no_device_codePKciS0_iS0_@rel32@lo+4
	s_addc_u32 s3, s3, _ZL14no_device_codePKciS0_iS0_@rel32@hi+12
	v_mov_b32_e32 v0, 64
	v_mov_b32_e32 v1, s0
	;; [unrolled: 1-line block ×3, first 2 shown]
	s_mov_b32 s32, 0
	s_swappc_b64 s[30:31], s[2:3]
	.section	.rodata,"a",@progbits
	.p2align	6, 0x0
	.amdhsa_kernel _ZL9mul_mat_fI7__half2Li32ELi3ELi8ELb1EEvPKT_PKfPKiPfiiiiiiiiiiiiiiii
		.amdhsa_group_segment_fixed_size 0
		.amdhsa_private_segment_fixed_size 16
		.amdhsa_kernarg_size 352
		.amdhsa_user_sgpr_count 2
		.amdhsa_user_sgpr_dispatch_ptr 0
		.amdhsa_user_sgpr_queue_ptr 0
		.amdhsa_user_sgpr_kernarg_segment_ptr 1
		.amdhsa_user_sgpr_dispatch_id 0
		.amdhsa_user_sgpr_kernarg_preload_length 0
		.amdhsa_user_sgpr_kernarg_preload_offset 0
		.amdhsa_user_sgpr_private_segment_size 0
		.amdhsa_uses_dynamic_stack 0
		.amdhsa_enable_private_segment 1
		.amdhsa_system_sgpr_workgroup_id_x 1
		.amdhsa_system_sgpr_workgroup_id_y 0
		.amdhsa_system_sgpr_workgroup_id_z 0
		.amdhsa_system_sgpr_workgroup_info 0
		.amdhsa_system_vgpr_workitem_id 0
		.amdhsa_next_free_vgpr 38
		.amdhsa_next_free_sgpr 34
		.amdhsa_accum_offset 40
		.amdhsa_reserve_vcc 1
		.amdhsa_float_round_mode_32 0
		.amdhsa_float_round_mode_16_64 0
		.amdhsa_float_denorm_mode_32 3
		.amdhsa_float_denorm_mode_16_64 3
		.amdhsa_dx10_clamp 1
		.amdhsa_ieee_mode 1
		.amdhsa_fp16_overflow 0
		.amdhsa_tg_split 0
		.amdhsa_exception_fp_ieee_invalid_op 0
		.amdhsa_exception_fp_denorm_src 0
		.amdhsa_exception_fp_ieee_div_zero 0
		.amdhsa_exception_fp_ieee_overflow 0
		.amdhsa_exception_fp_ieee_underflow 0
		.amdhsa_exception_fp_ieee_inexact 0
		.amdhsa_exception_int_div_zero 0
	.end_amdhsa_kernel
	.section	.text._ZL9mul_mat_fI7__half2Li32ELi3ELi8ELb1EEvPKT_PKfPKiPfiiiiiiiiiiiiiiii,"axG",@progbits,_ZL9mul_mat_fI7__half2Li32ELi3ELi8ELb1EEvPKT_PKfPKiPfiiiiiiiiiiiiiiii,comdat
.Lfunc_end49:
	.size	_ZL9mul_mat_fI7__half2Li32ELi3ELi8ELb1EEvPKT_PKfPKiPfiiiiiiiiiiiiiiii, .Lfunc_end49-_ZL9mul_mat_fI7__half2Li32ELi3ELi8ELb1EEvPKT_PKfPKiPfiiiiiiiiiiiiiiii
                                        ; -- End function
	.set _ZL9mul_mat_fI7__half2Li32ELi3ELi8ELb1EEvPKT_PKfPKiPfiiiiiiiiiiiiiiii.num_vgpr, max(3, .L_ZL14no_device_codePKciS0_iS0_.num_vgpr)
	.set _ZL9mul_mat_fI7__half2Li32ELi3ELi8ELb1EEvPKT_PKfPKiPfiiiiiiiiiiiiiiii.num_agpr, max(0, .L_ZL14no_device_codePKciS0_iS0_.num_agpr)
	.set _ZL9mul_mat_fI7__half2Li32ELi3ELi8ELb1EEvPKT_PKfPKiPfiiiiiiiiiiiiiiii.numbered_sgpr, max(33, .L_ZL14no_device_codePKciS0_iS0_.numbered_sgpr)
	.set _ZL9mul_mat_fI7__half2Li32ELi3ELi8ELb1EEvPKT_PKfPKiPfiiiiiiiiiiiiiiii.num_named_barrier, max(0, .L_ZL14no_device_codePKciS0_iS0_.num_named_barrier)
	.set _ZL9mul_mat_fI7__half2Li32ELi3ELi8ELb1EEvPKT_PKfPKiPfiiiiiiiiiiiiiiii.private_seg_size, 0+max(.L_ZL14no_device_codePKciS0_iS0_.private_seg_size)
	.set _ZL9mul_mat_fI7__half2Li32ELi3ELi8ELb1EEvPKT_PKfPKiPfiiiiiiiiiiiiiiii.uses_vcc, or(1, .L_ZL14no_device_codePKciS0_iS0_.uses_vcc)
	.set _ZL9mul_mat_fI7__half2Li32ELi3ELi8ELb1EEvPKT_PKfPKiPfiiiiiiiiiiiiiiii.uses_flat_scratch, or(0, .L_ZL14no_device_codePKciS0_iS0_.uses_flat_scratch)
	.set _ZL9mul_mat_fI7__half2Li32ELi3ELi8ELb1EEvPKT_PKfPKiPfiiiiiiiiiiiiiiii.has_dyn_sized_stack, or(0, .L_ZL14no_device_codePKciS0_iS0_.has_dyn_sized_stack)
	.set _ZL9mul_mat_fI7__half2Li32ELi3ELi8ELb1EEvPKT_PKfPKiPfiiiiiiiiiiiiiiii.has_recursion, or(0, .L_ZL14no_device_codePKciS0_iS0_.has_recursion)
	.set _ZL9mul_mat_fI7__half2Li32ELi3ELi8ELb1EEvPKT_PKfPKiPfiiiiiiiiiiiiiiii.has_indirect_call, or(0, .L_ZL14no_device_codePKciS0_iS0_.has_indirect_call)
	.section	.AMDGPU.csdata,"",@progbits
; Kernel info:
; codeLenInByte = 72
; TotalNumSgprs: 40
; NumVgprs: 38
; NumAgprs: 0
; TotalNumVgprs: 38
; ScratchSize: 16
; MemoryBound: 0
; FloatMode: 240
; IeeeMode: 1
; LDSByteSize: 0 bytes/workgroup (compile time only)
; SGPRBlocks: 4
; VGPRBlocks: 4
; NumSGPRsForWavesPerEU: 40
; NumVGPRsForWavesPerEU: 38
; AccumOffset: 40
; Occupancy: 8
; WaveLimiterHint : 1
; COMPUTE_PGM_RSRC2:SCRATCH_EN: 1
; COMPUTE_PGM_RSRC2:USER_SGPR: 2
; COMPUTE_PGM_RSRC2:TRAP_HANDLER: 0
; COMPUTE_PGM_RSRC2:TGID_X_EN: 1
; COMPUTE_PGM_RSRC2:TGID_Y_EN: 0
; COMPUTE_PGM_RSRC2:TGID_Z_EN: 0
; COMPUTE_PGM_RSRC2:TIDIG_COMP_CNT: 0
; COMPUTE_PGM_RSRC3_GFX90A:ACCUM_OFFSET: 9
; COMPUTE_PGM_RSRC3_GFX90A:TG_SPLIT: 0
	.section	.text._ZL9mul_mat_fI7__half2Li32ELi3ELi8ELb0EEvPKT_PKfPKiPfiiiiiiiiiiiiiiii,"axG",@progbits,_ZL9mul_mat_fI7__half2Li32ELi3ELi8ELb0EEvPKT_PKfPKiPfiiiiiiiiiiiiiiii,comdat
	.globl	_ZL9mul_mat_fI7__half2Li32ELi3ELi8ELb0EEvPKT_PKfPKiPfiiiiiiiiiiiiiiii ; -- Begin function _ZL9mul_mat_fI7__half2Li32ELi3ELi8ELb0EEvPKT_PKfPKiPfiiiiiiiiiiiiiiii
	.p2align	8
	.type	_ZL9mul_mat_fI7__half2Li32ELi3ELi8ELb0EEvPKT_PKfPKiPfiiiiiiiiiiiiiiii,@function
_ZL9mul_mat_fI7__half2Li32ELi3ELi8ELb0EEvPKT_PKfPKiPfiiiiiiiiiiiiiiii: ; @_ZL9mul_mat_fI7__half2Li32ELi3ELi8ELb0EEvPKT_PKfPKiPfiiiiiiiiiiiiiiii
; %bb.0:
	s_add_u32 s8, s0, 0x60
	s_addc_u32 s9, s1, 0
	s_getpc_b64 s[0:1]
	s_add_u32 s0, s0, __FUNCTION__._ZL9mul_mat_fIfLi32ELi3ELi1ELb1EEvPKT_PKfPKiPfiiiiiiiiiiiiiiii@rel32@lo+4
	s_addc_u32 s1, s1, __FUNCTION__._ZL9mul_mat_fIfLi32ELi3ELi1ELb1EEvPKT_PKfPKiPfiiiiiiiiiiiiiiii@rel32@hi+12
	s_getpc_b64 s[2:3]
	s_add_u32 s2, s2, _ZL14no_device_codePKciS0_iS0_@rel32@lo+4
	s_addc_u32 s3, s3, _ZL14no_device_codePKciS0_iS0_@rel32@hi+12
	v_mov_b32_e32 v0, 64
	v_mov_b32_e32 v1, s0
	;; [unrolled: 1-line block ×3, first 2 shown]
	s_mov_b32 s32, 0
	s_swappc_b64 s[30:31], s[2:3]
	.section	.rodata,"a",@progbits
	.p2align	6, 0x0
	.amdhsa_kernel _ZL9mul_mat_fI7__half2Li32ELi3ELi8ELb0EEvPKT_PKfPKiPfiiiiiiiiiiiiiiii
		.amdhsa_group_segment_fixed_size 0
		.amdhsa_private_segment_fixed_size 16
		.amdhsa_kernarg_size 352
		.amdhsa_user_sgpr_count 2
		.amdhsa_user_sgpr_dispatch_ptr 0
		.amdhsa_user_sgpr_queue_ptr 0
		.amdhsa_user_sgpr_kernarg_segment_ptr 1
		.amdhsa_user_sgpr_dispatch_id 0
		.amdhsa_user_sgpr_kernarg_preload_length 0
		.amdhsa_user_sgpr_kernarg_preload_offset 0
		.amdhsa_user_sgpr_private_segment_size 0
		.amdhsa_uses_dynamic_stack 0
		.amdhsa_enable_private_segment 1
		.amdhsa_system_sgpr_workgroup_id_x 1
		.amdhsa_system_sgpr_workgroup_id_y 0
		.amdhsa_system_sgpr_workgroup_id_z 0
		.amdhsa_system_sgpr_workgroup_info 0
		.amdhsa_system_vgpr_workitem_id 0
		.amdhsa_next_free_vgpr 38
		.amdhsa_next_free_sgpr 34
		.amdhsa_accum_offset 40
		.amdhsa_reserve_vcc 1
		.amdhsa_float_round_mode_32 0
		.amdhsa_float_round_mode_16_64 0
		.amdhsa_float_denorm_mode_32 3
		.amdhsa_float_denorm_mode_16_64 3
		.amdhsa_dx10_clamp 1
		.amdhsa_ieee_mode 1
		.amdhsa_fp16_overflow 0
		.amdhsa_tg_split 0
		.amdhsa_exception_fp_ieee_invalid_op 0
		.amdhsa_exception_fp_denorm_src 0
		.amdhsa_exception_fp_ieee_div_zero 0
		.amdhsa_exception_fp_ieee_overflow 0
		.amdhsa_exception_fp_ieee_underflow 0
		.amdhsa_exception_fp_ieee_inexact 0
		.amdhsa_exception_int_div_zero 0
	.end_amdhsa_kernel
	.section	.text._ZL9mul_mat_fI7__half2Li32ELi3ELi8ELb0EEvPKT_PKfPKiPfiiiiiiiiiiiiiiii,"axG",@progbits,_ZL9mul_mat_fI7__half2Li32ELi3ELi8ELb0EEvPKT_PKfPKiPfiiiiiiiiiiiiiiii,comdat
.Lfunc_end50:
	.size	_ZL9mul_mat_fI7__half2Li32ELi3ELi8ELb0EEvPKT_PKfPKiPfiiiiiiiiiiiiiiii, .Lfunc_end50-_ZL9mul_mat_fI7__half2Li32ELi3ELi8ELb0EEvPKT_PKfPKiPfiiiiiiiiiiiiiiii
                                        ; -- End function
	.set _ZL9mul_mat_fI7__half2Li32ELi3ELi8ELb0EEvPKT_PKfPKiPfiiiiiiiiiiiiiiii.num_vgpr, max(3, .L_ZL14no_device_codePKciS0_iS0_.num_vgpr)
	.set _ZL9mul_mat_fI7__half2Li32ELi3ELi8ELb0EEvPKT_PKfPKiPfiiiiiiiiiiiiiiii.num_agpr, max(0, .L_ZL14no_device_codePKciS0_iS0_.num_agpr)
	.set _ZL9mul_mat_fI7__half2Li32ELi3ELi8ELb0EEvPKT_PKfPKiPfiiiiiiiiiiiiiiii.numbered_sgpr, max(33, .L_ZL14no_device_codePKciS0_iS0_.numbered_sgpr)
	.set _ZL9mul_mat_fI7__half2Li32ELi3ELi8ELb0EEvPKT_PKfPKiPfiiiiiiiiiiiiiiii.num_named_barrier, max(0, .L_ZL14no_device_codePKciS0_iS0_.num_named_barrier)
	.set _ZL9mul_mat_fI7__half2Li32ELi3ELi8ELb0EEvPKT_PKfPKiPfiiiiiiiiiiiiiiii.private_seg_size, 0+max(.L_ZL14no_device_codePKciS0_iS0_.private_seg_size)
	.set _ZL9mul_mat_fI7__half2Li32ELi3ELi8ELb0EEvPKT_PKfPKiPfiiiiiiiiiiiiiiii.uses_vcc, or(1, .L_ZL14no_device_codePKciS0_iS0_.uses_vcc)
	.set _ZL9mul_mat_fI7__half2Li32ELi3ELi8ELb0EEvPKT_PKfPKiPfiiiiiiiiiiiiiiii.uses_flat_scratch, or(0, .L_ZL14no_device_codePKciS0_iS0_.uses_flat_scratch)
	.set _ZL9mul_mat_fI7__half2Li32ELi3ELi8ELb0EEvPKT_PKfPKiPfiiiiiiiiiiiiiiii.has_dyn_sized_stack, or(0, .L_ZL14no_device_codePKciS0_iS0_.has_dyn_sized_stack)
	.set _ZL9mul_mat_fI7__half2Li32ELi3ELi8ELb0EEvPKT_PKfPKiPfiiiiiiiiiiiiiiii.has_recursion, or(0, .L_ZL14no_device_codePKciS0_iS0_.has_recursion)
	.set _ZL9mul_mat_fI7__half2Li32ELi3ELi8ELb0EEvPKT_PKfPKiPfiiiiiiiiiiiiiiii.has_indirect_call, or(0, .L_ZL14no_device_codePKciS0_iS0_.has_indirect_call)
	.section	.AMDGPU.csdata,"",@progbits
; Kernel info:
; codeLenInByte = 72
; TotalNumSgprs: 40
; NumVgprs: 38
; NumAgprs: 0
; TotalNumVgprs: 38
; ScratchSize: 16
; MemoryBound: 0
; FloatMode: 240
; IeeeMode: 1
; LDSByteSize: 0 bytes/workgroup (compile time only)
; SGPRBlocks: 4
; VGPRBlocks: 4
; NumSGPRsForWavesPerEU: 40
; NumVGPRsForWavesPerEU: 38
; AccumOffset: 40
; Occupancy: 8
; WaveLimiterHint : 1
; COMPUTE_PGM_RSRC2:SCRATCH_EN: 1
; COMPUTE_PGM_RSRC2:USER_SGPR: 2
; COMPUTE_PGM_RSRC2:TRAP_HANDLER: 0
; COMPUTE_PGM_RSRC2:TGID_X_EN: 1
; COMPUTE_PGM_RSRC2:TGID_Y_EN: 0
; COMPUTE_PGM_RSRC2:TGID_Z_EN: 0
; COMPUTE_PGM_RSRC2:TIDIG_COMP_CNT: 0
; COMPUTE_PGM_RSRC3_GFX90A:ACCUM_OFFSET: 9
; COMPUTE_PGM_RSRC3_GFX90A:TG_SPLIT: 0
	.section	.text._ZL13mul_mat_f_idsI15__hip_bfloat162Li32ELi3ELi1EEvPKT_PKfPKiS7_S7_Pfiiiiiiiiiiiiii15HIP_vector_typeIjLj3EESA_,"axG",@progbits,_ZL13mul_mat_f_idsI15__hip_bfloat162Li32ELi3ELi1EEvPKT_PKfPKiS7_S7_Pfiiiiiiiiiiiiii15HIP_vector_typeIjLj3EESA_,comdat
	.globl	_ZL13mul_mat_f_idsI15__hip_bfloat162Li32ELi3ELi1EEvPKT_PKfPKiS7_S7_Pfiiiiiiiiiiiiii15HIP_vector_typeIjLj3EESA_ ; -- Begin function _ZL13mul_mat_f_idsI15__hip_bfloat162Li32ELi3ELi1EEvPKT_PKfPKiS7_S7_Pfiiiiiiiiiiiiii15HIP_vector_typeIjLj3EESA_
	.p2align	8
	.type	_ZL13mul_mat_f_idsI15__hip_bfloat162Li32ELi3ELi1EEvPKT_PKfPKiS7_S7_Pfiiiiiiiiiiiiii15HIP_vector_typeIjLj3EESA_,@function
_ZL13mul_mat_f_idsI15__hip_bfloat162Li32ELi3ELi1EEvPKT_PKfPKiS7_S7_Pfiiiiiiiiiiiiii15HIP_vector_typeIjLj3EESA_: ; @_ZL13mul_mat_f_idsI15__hip_bfloat162Li32ELi3ELi1EEvPKT_PKfPKiS7_S7_Pfiiiiiiiiiiiiii15HIP_vector_typeIjLj3EESA_
; %bb.0:
	s_add_u32 s8, s0, 0x80
	s_addc_u32 s9, s1, 0
	s_getpc_b64 s[0:1]
	s_add_u32 s0, s0, __FUNCTION__._ZL13mul_mat_f_idsIfLi32ELi3ELi1EEvPKT_PKfPKiS6_S6_Pfiiiiiiiiiiiiii15HIP_vector_typeIjLj3EES9_@rel32@lo+4
	s_addc_u32 s1, s1, __FUNCTION__._ZL13mul_mat_f_idsIfLi32ELi3ELi1EEvPKT_PKfPKiS6_S6_Pfiiiiiiiiiiiiii15HIP_vector_typeIjLj3EES9_@rel32@hi+12
	s_getpc_b64 s[2:3]
	s_add_u32 s2, s2, _ZL14no_device_codePKciS0_iS0_@rel32@lo+4
	s_addc_u32 s3, s3, _ZL14no_device_codePKciS0_iS0_@rel32@hi+12
	v_mov_b32_e32 v0, 0x13b
	v_mov_b32_e32 v1, s0
	;; [unrolled: 1-line block ×3, first 2 shown]
	s_mov_b32 s32, 0
	s_swappc_b64 s[30:31], s[2:3]
	.section	.rodata,"a",@progbits
	.p2align	6, 0x0
	.amdhsa_kernel _ZL13mul_mat_f_idsI15__hip_bfloat162Li32ELi3ELi1EEvPKT_PKfPKiS7_S7_Pfiiiiiiiiiiiiii15HIP_vector_typeIjLj3EESA_
		.amdhsa_group_segment_fixed_size 0
		.amdhsa_private_segment_fixed_size 16
		.amdhsa_kernarg_size 384
		.amdhsa_user_sgpr_count 2
		.amdhsa_user_sgpr_dispatch_ptr 0
		.amdhsa_user_sgpr_queue_ptr 0
		.amdhsa_user_sgpr_kernarg_segment_ptr 1
		.amdhsa_user_sgpr_dispatch_id 0
		.amdhsa_user_sgpr_kernarg_preload_length 0
		.amdhsa_user_sgpr_kernarg_preload_offset 0
		.amdhsa_user_sgpr_private_segment_size 0
		.amdhsa_uses_dynamic_stack 0
		.amdhsa_enable_private_segment 1
		.amdhsa_system_sgpr_workgroup_id_x 1
		.amdhsa_system_sgpr_workgroup_id_y 0
		.amdhsa_system_sgpr_workgroup_id_z 0
		.amdhsa_system_sgpr_workgroup_info 0
		.amdhsa_system_vgpr_workitem_id 0
		.amdhsa_next_free_vgpr 38
		.amdhsa_next_free_sgpr 34
		.amdhsa_accum_offset 40
		.amdhsa_reserve_vcc 1
		.amdhsa_float_round_mode_32 0
		.amdhsa_float_round_mode_16_64 0
		.amdhsa_float_denorm_mode_32 3
		.amdhsa_float_denorm_mode_16_64 3
		.amdhsa_dx10_clamp 1
		.amdhsa_ieee_mode 1
		.amdhsa_fp16_overflow 0
		.amdhsa_tg_split 0
		.amdhsa_exception_fp_ieee_invalid_op 0
		.amdhsa_exception_fp_denorm_src 0
		.amdhsa_exception_fp_ieee_div_zero 0
		.amdhsa_exception_fp_ieee_overflow 0
		.amdhsa_exception_fp_ieee_underflow 0
		.amdhsa_exception_fp_ieee_inexact 0
		.amdhsa_exception_int_div_zero 0
	.end_amdhsa_kernel
	.section	.text._ZL13mul_mat_f_idsI15__hip_bfloat162Li32ELi3ELi1EEvPKT_PKfPKiS7_S7_Pfiiiiiiiiiiiiii15HIP_vector_typeIjLj3EESA_,"axG",@progbits,_ZL13mul_mat_f_idsI15__hip_bfloat162Li32ELi3ELi1EEvPKT_PKfPKiS7_S7_Pfiiiiiiiiiiiiii15HIP_vector_typeIjLj3EESA_,comdat
.Lfunc_end51:
	.size	_ZL13mul_mat_f_idsI15__hip_bfloat162Li32ELi3ELi1EEvPKT_PKfPKiS7_S7_Pfiiiiiiiiiiiiii15HIP_vector_typeIjLj3EESA_, .Lfunc_end51-_ZL13mul_mat_f_idsI15__hip_bfloat162Li32ELi3ELi1EEvPKT_PKfPKiS7_S7_Pfiiiiiiiiiiiiii15HIP_vector_typeIjLj3EESA_
                                        ; -- End function
	.set _ZL13mul_mat_f_idsI15__hip_bfloat162Li32ELi3ELi1EEvPKT_PKfPKiS7_S7_Pfiiiiiiiiiiiiii15HIP_vector_typeIjLj3EESA_.num_vgpr, max(3, .L_ZL14no_device_codePKciS0_iS0_.num_vgpr)
	.set _ZL13mul_mat_f_idsI15__hip_bfloat162Li32ELi3ELi1EEvPKT_PKfPKiS7_S7_Pfiiiiiiiiiiiiii15HIP_vector_typeIjLj3EESA_.num_agpr, max(0, .L_ZL14no_device_codePKciS0_iS0_.num_agpr)
	.set _ZL13mul_mat_f_idsI15__hip_bfloat162Li32ELi3ELi1EEvPKT_PKfPKiS7_S7_Pfiiiiiiiiiiiiii15HIP_vector_typeIjLj3EESA_.numbered_sgpr, max(33, .L_ZL14no_device_codePKciS0_iS0_.numbered_sgpr)
	.set _ZL13mul_mat_f_idsI15__hip_bfloat162Li32ELi3ELi1EEvPKT_PKfPKiS7_S7_Pfiiiiiiiiiiiiii15HIP_vector_typeIjLj3EESA_.num_named_barrier, max(0, .L_ZL14no_device_codePKciS0_iS0_.num_named_barrier)
	.set _ZL13mul_mat_f_idsI15__hip_bfloat162Li32ELi3ELi1EEvPKT_PKfPKiS7_S7_Pfiiiiiiiiiiiiii15HIP_vector_typeIjLj3EESA_.private_seg_size, 0+max(.L_ZL14no_device_codePKciS0_iS0_.private_seg_size)
	.set _ZL13mul_mat_f_idsI15__hip_bfloat162Li32ELi3ELi1EEvPKT_PKfPKiS7_S7_Pfiiiiiiiiiiiiii15HIP_vector_typeIjLj3EESA_.uses_vcc, or(1, .L_ZL14no_device_codePKciS0_iS0_.uses_vcc)
	.set _ZL13mul_mat_f_idsI15__hip_bfloat162Li32ELi3ELi1EEvPKT_PKfPKiS7_S7_Pfiiiiiiiiiiiiii15HIP_vector_typeIjLj3EESA_.uses_flat_scratch, or(0, .L_ZL14no_device_codePKciS0_iS0_.uses_flat_scratch)
	.set _ZL13mul_mat_f_idsI15__hip_bfloat162Li32ELi3ELi1EEvPKT_PKfPKiS7_S7_Pfiiiiiiiiiiiiii15HIP_vector_typeIjLj3EESA_.has_dyn_sized_stack, or(0, .L_ZL14no_device_codePKciS0_iS0_.has_dyn_sized_stack)
	.set _ZL13mul_mat_f_idsI15__hip_bfloat162Li32ELi3ELi1EEvPKT_PKfPKiS7_S7_Pfiiiiiiiiiiiiii15HIP_vector_typeIjLj3EESA_.has_recursion, or(0, .L_ZL14no_device_codePKciS0_iS0_.has_recursion)
	.set _ZL13mul_mat_f_idsI15__hip_bfloat162Li32ELi3ELi1EEvPKT_PKfPKiS7_S7_Pfiiiiiiiiiiiiii15HIP_vector_typeIjLj3EESA_.has_indirect_call, or(0, .L_ZL14no_device_codePKciS0_iS0_.has_indirect_call)
	.section	.AMDGPU.csdata,"",@progbits
; Kernel info:
; codeLenInByte = 76
; TotalNumSgprs: 40
; NumVgprs: 38
; NumAgprs: 0
; TotalNumVgprs: 38
; ScratchSize: 16
; MemoryBound: 0
; FloatMode: 240
; IeeeMode: 1
; LDSByteSize: 0 bytes/workgroup (compile time only)
; SGPRBlocks: 4
; VGPRBlocks: 4
; NumSGPRsForWavesPerEU: 40
; NumVGPRsForWavesPerEU: 38
; AccumOffset: 40
; Occupancy: 8
; WaveLimiterHint : 1
; COMPUTE_PGM_RSRC2:SCRATCH_EN: 1
; COMPUTE_PGM_RSRC2:USER_SGPR: 2
; COMPUTE_PGM_RSRC2:TRAP_HANDLER: 0
; COMPUTE_PGM_RSRC2:TGID_X_EN: 1
; COMPUTE_PGM_RSRC2:TGID_Y_EN: 0
; COMPUTE_PGM_RSRC2:TGID_Z_EN: 0
; COMPUTE_PGM_RSRC2:TIDIG_COMP_CNT: 0
; COMPUTE_PGM_RSRC3_GFX90A:ACCUM_OFFSET: 9
; COMPUTE_PGM_RSRC3_GFX90A:TG_SPLIT: 0
	.section	.text._ZL9mul_mat_fI15__hip_bfloat162Li32ELi3ELi1ELb1EEvPKT_PKfPKiPfiiiiiiiiiiiiiiii,"axG",@progbits,_ZL9mul_mat_fI15__hip_bfloat162Li32ELi3ELi1ELb1EEvPKT_PKfPKiPfiiiiiiiiiiiiiiii,comdat
	.globl	_ZL9mul_mat_fI15__hip_bfloat162Li32ELi3ELi1ELb1EEvPKT_PKfPKiPfiiiiiiiiiiiiiiii ; -- Begin function _ZL9mul_mat_fI15__hip_bfloat162Li32ELi3ELi1ELb1EEvPKT_PKfPKiPfiiiiiiiiiiiiiiii
	.p2align	8
	.type	_ZL9mul_mat_fI15__hip_bfloat162Li32ELi3ELi1ELb1EEvPKT_PKfPKiPfiiiiiiiiiiiiiiii,@function
_ZL9mul_mat_fI15__hip_bfloat162Li32ELi3ELi1ELb1EEvPKT_PKfPKiPfiiiiiiiiiiiiiiii: ; @_ZL9mul_mat_fI15__hip_bfloat162Li32ELi3ELi1ELb1EEvPKT_PKfPKiPfiiiiiiiiiiiiiiii
; %bb.0:
	s_add_u32 s8, s0, 0x60
	s_addc_u32 s9, s1, 0
	s_getpc_b64 s[0:1]
	s_add_u32 s0, s0, __FUNCTION__._ZL9mul_mat_fIfLi32ELi3ELi1ELb1EEvPKT_PKfPKiPfiiiiiiiiiiiiiiii@rel32@lo+4
	s_addc_u32 s1, s1, __FUNCTION__._ZL9mul_mat_fIfLi32ELi3ELi1ELb1EEvPKT_PKfPKiPfiiiiiiiiiiiiiiii@rel32@hi+12
	s_getpc_b64 s[2:3]
	s_add_u32 s2, s2, _ZL14no_device_codePKciS0_iS0_@rel32@lo+4
	s_addc_u32 s3, s3, _ZL14no_device_codePKciS0_iS0_@rel32@hi+12
	v_mov_b32_e32 v0, 64
	v_mov_b32_e32 v1, s0
	;; [unrolled: 1-line block ×3, first 2 shown]
	s_mov_b32 s32, 0
	s_swappc_b64 s[30:31], s[2:3]
	.section	.rodata,"a",@progbits
	.p2align	6, 0x0
	.amdhsa_kernel _ZL9mul_mat_fI15__hip_bfloat162Li32ELi3ELi1ELb1EEvPKT_PKfPKiPfiiiiiiiiiiiiiiii
		.amdhsa_group_segment_fixed_size 0
		.amdhsa_private_segment_fixed_size 16
		.amdhsa_kernarg_size 352
		.amdhsa_user_sgpr_count 2
		.amdhsa_user_sgpr_dispatch_ptr 0
		.amdhsa_user_sgpr_queue_ptr 0
		.amdhsa_user_sgpr_kernarg_segment_ptr 1
		.amdhsa_user_sgpr_dispatch_id 0
		.amdhsa_user_sgpr_kernarg_preload_length 0
		.amdhsa_user_sgpr_kernarg_preload_offset 0
		.amdhsa_user_sgpr_private_segment_size 0
		.amdhsa_uses_dynamic_stack 0
		.amdhsa_enable_private_segment 1
		.amdhsa_system_sgpr_workgroup_id_x 1
		.amdhsa_system_sgpr_workgroup_id_y 0
		.amdhsa_system_sgpr_workgroup_id_z 0
		.amdhsa_system_sgpr_workgroup_info 0
		.amdhsa_system_vgpr_workitem_id 0
		.amdhsa_next_free_vgpr 38
		.amdhsa_next_free_sgpr 34
		.amdhsa_accum_offset 40
		.amdhsa_reserve_vcc 1
		.amdhsa_float_round_mode_32 0
		.amdhsa_float_round_mode_16_64 0
		.amdhsa_float_denorm_mode_32 3
		.amdhsa_float_denorm_mode_16_64 3
		.amdhsa_dx10_clamp 1
		.amdhsa_ieee_mode 1
		.amdhsa_fp16_overflow 0
		.amdhsa_tg_split 0
		.amdhsa_exception_fp_ieee_invalid_op 0
		.amdhsa_exception_fp_denorm_src 0
		.amdhsa_exception_fp_ieee_div_zero 0
		.amdhsa_exception_fp_ieee_overflow 0
		.amdhsa_exception_fp_ieee_underflow 0
		.amdhsa_exception_fp_ieee_inexact 0
		.amdhsa_exception_int_div_zero 0
	.end_amdhsa_kernel
	.section	.text._ZL9mul_mat_fI15__hip_bfloat162Li32ELi3ELi1ELb1EEvPKT_PKfPKiPfiiiiiiiiiiiiiiii,"axG",@progbits,_ZL9mul_mat_fI15__hip_bfloat162Li32ELi3ELi1ELb1EEvPKT_PKfPKiPfiiiiiiiiiiiiiiii,comdat
.Lfunc_end52:
	.size	_ZL9mul_mat_fI15__hip_bfloat162Li32ELi3ELi1ELb1EEvPKT_PKfPKiPfiiiiiiiiiiiiiiii, .Lfunc_end52-_ZL9mul_mat_fI15__hip_bfloat162Li32ELi3ELi1ELb1EEvPKT_PKfPKiPfiiiiiiiiiiiiiiii
                                        ; -- End function
	.set _ZL9mul_mat_fI15__hip_bfloat162Li32ELi3ELi1ELb1EEvPKT_PKfPKiPfiiiiiiiiiiiiiiii.num_vgpr, max(3, .L_ZL14no_device_codePKciS0_iS0_.num_vgpr)
	.set _ZL9mul_mat_fI15__hip_bfloat162Li32ELi3ELi1ELb1EEvPKT_PKfPKiPfiiiiiiiiiiiiiiii.num_agpr, max(0, .L_ZL14no_device_codePKciS0_iS0_.num_agpr)
	.set _ZL9mul_mat_fI15__hip_bfloat162Li32ELi3ELi1ELb1EEvPKT_PKfPKiPfiiiiiiiiiiiiiiii.numbered_sgpr, max(33, .L_ZL14no_device_codePKciS0_iS0_.numbered_sgpr)
	.set _ZL9mul_mat_fI15__hip_bfloat162Li32ELi3ELi1ELb1EEvPKT_PKfPKiPfiiiiiiiiiiiiiiii.num_named_barrier, max(0, .L_ZL14no_device_codePKciS0_iS0_.num_named_barrier)
	.set _ZL9mul_mat_fI15__hip_bfloat162Li32ELi3ELi1ELb1EEvPKT_PKfPKiPfiiiiiiiiiiiiiiii.private_seg_size, 0+max(.L_ZL14no_device_codePKciS0_iS0_.private_seg_size)
	.set _ZL9mul_mat_fI15__hip_bfloat162Li32ELi3ELi1ELb1EEvPKT_PKfPKiPfiiiiiiiiiiiiiiii.uses_vcc, or(1, .L_ZL14no_device_codePKciS0_iS0_.uses_vcc)
	.set _ZL9mul_mat_fI15__hip_bfloat162Li32ELi3ELi1ELb1EEvPKT_PKfPKiPfiiiiiiiiiiiiiiii.uses_flat_scratch, or(0, .L_ZL14no_device_codePKciS0_iS0_.uses_flat_scratch)
	.set _ZL9mul_mat_fI15__hip_bfloat162Li32ELi3ELi1ELb1EEvPKT_PKfPKiPfiiiiiiiiiiiiiiii.has_dyn_sized_stack, or(0, .L_ZL14no_device_codePKciS0_iS0_.has_dyn_sized_stack)
	.set _ZL9mul_mat_fI15__hip_bfloat162Li32ELi3ELi1ELb1EEvPKT_PKfPKiPfiiiiiiiiiiiiiiii.has_recursion, or(0, .L_ZL14no_device_codePKciS0_iS0_.has_recursion)
	.set _ZL9mul_mat_fI15__hip_bfloat162Li32ELi3ELi1ELb1EEvPKT_PKfPKiPfiiiiiiiiiiiiiiii.has_indirect_call, or(0, .L_ZL14no_device_codePKciS0_iS0_.has_indirect_call)
	.section	.AMDGPU.csdata,"",@progbits
; Kernel info:
; codeLenInByte = 72
; TotalNumSgprs: 40
; NumVgprs: 38
; NumAgprs: 0
; TotalNumVgprs: 38
; ScratchSize: 16
; MemoryBound: 0
; FloatMode: 240
; IeeeMode: 1
; LDSByteSize: 0 bytes/workgroup (compile time only)
; SGPRBlocks: 4
; VGPRBlocks: 4
; NumSGPRsForWavesPerEU: 40
; NumVGPRsForWavesPerEU: 38
; AccumOffset: 40
; Occupancy: 8
; WaveLimiterHint : 1
; COMPUTE_PGM_RSRC2:SCRATCH_EN: 1
; COMPUTE_PGM_RSRC2:USER_SGPR: 2
; COMPUTE_PGM_RSRC2:TRAP_HANDLER: 0
; COMPUTE_PGM_RSRC2:TGID_X_EN: 1
; COMPUTE_PGM_RSRC2:TGID_Y_EN: 0
; COMPUTE_PGM_RSRC2:TGID_Z_EN: 0
; COMPUTE_PGM_RSRC2:TIDIG_COMP_CNT: 0
; COMPUTE_PGM_RSRC3_GFX90A:ACCUM_OFFSET: 9
; COMPUTE_PGM_RSRC3_GFX90A:TG_SPLIT: 0
	.section	.text._ZL9mul_mat_fI15__hip_bfloat162Li32ELi3ELi1ELb0EEvPKT_PKfPKiPfiiiiiiiiiiiiiiii,"axG",@progbits,_ZL9mul_mat_fI15__hip_bfloat162Li32ELi3ELi1ELb0EEvPKT_PKfPKiPfiiiiiiiiiiiiiiii,comdat
	.globl	_ZL9mul_mat_fI15__hip_bfloat162Li32ELi3ELi1ELb0EEvPKT_PKfPKiPfiiiiiiiiiiiiiiii ; -- Begin function _ZL9mul_mat_fI15__hip_bfloat162Li32ELi3ELi1ELb0EEvPKT_PKfPKiPfiiiiiiiiiiiiiiii
	.p2align	8
	.type	_ZL9mul_mat_fI15__hip_bfloat162Li32ELi3ELi1ELb0EEvPKT_PKfPKiPfiiiiiiiiiiiiiiii,@function
_ZL9mul_mat_fI15__hip_bfloat162Li32ELi3ELi1ELb0EEvPKT_PKfPKiPfiiiiiiiiiiiiiiii: ; @_ZL9mul_mat_fI15__hip_bfloat162Li32ELi3ELi1ELb0EEvPKT_PKfPKiPfiiiiiiiiiiiiiiii
; %bb.0:
	s_add_u32 s8, s0, 0x60
	s_addc_u32 s9, s1, 0
	s_getpc_b64 s[0:1]
	s_add_u32 s0, s0, __FUNCTION__._ZL9mul_mat_fIfLi32ELi3ELi1ELb1EEvPKT_PKfPKiPfiiiiiiiiiiiiiiii@rel32@lo+4
	s_addc_u32 s1, s1, __FUNCTION__._ZL9mul_mat_fIfLi32ELi3ELi1ELb1EEvPKT_PKfPKiPfiiiiiiiiiiiiiiii@rel32@hi+12
	s_getpc_b64 s[2:3]
	s_add_u32 s2, s2, _ZL14no_device_codePKciS0_iS0_@rel32@lo+4
	s_addc_u32 s3, s3, _ZL14no_device_codePKciS0_iS0_@rel32@hi+12
	v_mov_b32_e32 v0, 64
	v_mov_b32_e32 v1, s0
	;; [unrolled: 1-line block ×3, first 2 shown]
	s_mov_b32 s32, 0
	s_swappc_b64 s[30:31], s[2:3]
	.section	.rodata,"a",@progbits
	.p2align	6, 0x0
	.amdhsa_kernel _ZL9mul_mat_fI15__hip_bfloat162Li32ELi3ELi1ELb0EEvPKT_PKfPKiPfiiiiiiiiiiiiiiii
		.amdhsa_group_segment_fixed_size 0
		.amdhsa_private_segment_fixed_size 16
		.amdhsa_kernarg_size 352
		.amdhsa_user_sgpr_count 2
		.amdhsa_user_sgpr_dispatch_ptr 0
		.amdhsa_user_sgpr_queue_ptr 0
		.amdhsa_user_sgpr_kernarg_segment_ptr 1
		.amdhsa_user_sgpr_dispatch_id 0
		.amdhsa_user_sgpr_kernarg_preload_length 0
		.amdhsa_user_sgpr_kernarg_preload_offset 0
		.amdhsa_user_sgpr_private_segment_size 0
		.amdhsa_uses_dynamic_stack 0
		.amdhsa_enable_private_segment 1
		.amdhsa_system_sgpr_workgroup_id_x 1
		.amdhsa_system_sgpr_workgroup_id_y 0
		.amdhsa_system_sgpr_workgroup_id_z 0
		.amdhsa_system_sgpr_workgroup_info 0
		.amdhsa_system_vgpr_workitem_id 0
		.amdhsa_next_free_vgpr 38
		.amdhsa_next_free_sgpr 34
		.amdhsa_accum_offset 40
		.amdhsa_reserve_vcc 1
		.amdhsa_float_round_mode_32 0
		.amdhsa_float_round_mode_16_64 0
		.amdhsa_float_denorm_mode_32 3
		.amdhsa_float_denorm_mode_16_64 3
		.amdhsa_dx10_clamp 1
		.amdhsa_ieee_mode 1
		.amdhsa_fp16_overflow 0
		.amdhsa_tg_split 0
		.amdhsa_exception_fp_ieee_invalid_op 0
		.amdhsa_exception_fp_denorm_src 0
		.amdhsa_exception_fp_ieee_div_zero 0
		.amdhsa_exception_fp_ieee_overflow 0
		.amdhsa_exception_fp_ieee_underflow 0
		.amdhsa_exception_fp_ieee_inexact 0
		.amdhsa_exception_int_div_zero 0
	.end_amdhsa_kernel
	.section	.text._ZL9mul_mat_fI15__hip_bfloat162Li32ELi3ELi1ELb0EEvPKT_PKfPKiPfiiiiiiiiiiiiiiii,"axG",@progbits,_ZL9mul_mat_fI15__hip_bfloat162Li32ELi3ELi1ELb0EEvPKT_PKfPKiPfiiiiiiiiiiiiiiii,comdat
.Lfunc_end53:
	.size	_ZL9mul_mat_fI15__hip_bfloat162Li32ELi3ELi1ELb0EEvPKT_PKfPKiPfiiiiiiiiiiiiiiii, .Lfunc_end53-_ZL9mul_mat_fI15__hip_bfloat162Li32ELi3ELi1ELb0EEvPKT_PKfPKiPfiiiiiiiiiiiiiiii
                                        ; -- End function
	.set _ZL9mul_mat_fI15__hip_bfloat162Li32ELi3ELi1ELb0EEvPKT_PKfPKiPfiiiiiiiiiiiiiiii.num_vgpr, max(3, .L_ZL14no_device_codePKciS0_iS0_.num_vgpr)
	.set _ZL9mul_mat_fI15__hip_bfloat162Li32ELi3ELi1ELb0EEvPKT_PKfPKiPfiiiiiiiiiiiiiiii.num_agpr, max(0, .L_ZL14no_device_codePKciS0_iS0_.num_agpr)
	.set _ZL9mul_mat_fI15__hip_bfloat162Li32ELi3ELi1ELb0EEvPKT_PKfPKiPfiiiiiiiiiiiiiiii.numbered_sgpr, max(33, .L_ZL14no_device_codePKciS0_iS0_.numbered_sgpr)
	.set _ZL9mul_mat_fI15__hip_bfloat162Li32ELi3ELi1ELb0EEvPKT_PKfPKiPfiiiiiiiiiiiiiiii.num_named_barrier, max(0, .L_ZL14no_device_codePKciS0_iS0_.num_named_barrier)
	.set _ZL9mul_mat_fI15__hip_bfloat162Li32ELi3ELi1ELb0EEvPKT_PKfPKiPfiiiiiiiiiiiiiiii.private_seg_size, 0+max(.L_ZL14no_device_codePKciS0_iS0_.private_seg_size)
	.set _ZL9mul_mat_fI15__hip_bfloat162Li32ELi3ELi1ELb0EEvPKT_PKfPKiPfiiiiiiiiiiiiiiii.uses_vcc, or(1, .L_ZL14no_device_codePKciS0_iS0_.uses_vcc)
	.set _ZL9mul_mat_fI15__hip_bfloat162Li32ELi3ELi1ELb0EEvPKT_PKfPKiPfiiiiiiiiiiiiiiii.uses_flat_scratch, or(0, .L_ZL14no_device_codePKciS0_iS0_.uses_flat_scratch)
	.set _ZL9mul_mat_fI15__hip_bfloat162Li32ELi3ELi1ELb0EEvPKT_PKfPKiPfiiiiiiiiiiiiiiii.has_dyn_sized_stack, or(0, .L_ZL14no_device_codePKciS0_iS0_.has_dyn_sized_stack)
	.set _ZL9mul_mat_fI15__hip_bfloat162Li32ELi3ELi1ELb0EEvPKT_PKfPKiPfiiiiiiiiiiiiiiii.has_recursion, or(0, .L_ZL14no_device_codePKciS0_iS0_.has_recursion)
	.set _ZL9mul_mat_fI15__hip_bfloat162Li32ELi3ELi1ELb0EEvPKT_PKfPKiPfiiiiiiiiiiiiiiii.has_indirect_call, or(0, .L_ZL14no_device_codePKciS0_iS0_.has_indirect_call)
	.section	.AMDGPU.csdata,"",@progbits
; Kernel info:
; codeLenInByte = 72
; TotalNumSgprs: 40
; NumVgprs: 38
; NumAgprs: 0
; TotalNumVgprs: 38
; ScratchSize: 16
; MemoryBound: 0
; FloatMode: 240
; IeeeMode: 1
; LDSByteSize: 0 bytes/workgroup (compile time only)
; SGPRBlocks: 4
; VGPRBlocks: 4
; NumSGPRsForWavesPerEU: 40
; NumVGPRsForWavesPerEU: 38
; AccumOffset: 40
; Occupancy: 8
; WaveLimiterHint : 1
; COMPUTE_PGM_RSRC2:SCRATCH_EN: 1
; COMPUTE_PGM_RSRC2:USER_SGPR: 2
; COMPUTE_PGM_RSRC2:TRAP_HANDLER: 0
; COMPUTE_PGM_RSRC2:TGID_X_EN: 1
; COMPUTE_PGM_RSRC2:TGID_Y_EN: 0
; COMPUTE_PGM_RSRC2:TGID_Z_EN: 0
; COMPUTE_PGM_RSRC2:TIDIG_COMP_CNT: 0
; COMPUTE_PGM_RSRC3_GFX90A:ACCUM_OFFSET: 9
; COMPUTE_PGM_RSRC3_GFX90A:TG_SPLIT: 0
	.section	.text._ZL13mul_mat_f_idsI15__hip_bfloat162Li32ELi3ELi2EEvPKT_PKfPKiS7_S7_Pfiiiiiiiiiiiiii15HIP_vector_typeIjLj3EESA_,"axG",@progbits,_ZL13mul_mat_f_idsI15__hip_bfloat162Li32ELi3ELi2EEvPKT_PKfPKiS7_S7_Pfiiiiiiiiiiiiii15HIP_vector_typeIjLj3EESA_,comdat
	.globl	_ZL13mul_mat_f_idsI15__hip_bfloat162Li32ELi3ELi2EEvPKT_PKfPKiS7_S7_Pfiiiiiiiiiiiiii15HIP_vector_typeIjLj3EESA_ ; -- Begin function _ZL13mul_mat_f_idsI15__hip_bfloat162Li32ELi3ELi2EEvPKT_PKfPKiS7_S7_Pfiiiiiiiiiiiiii15HIP_vector_typeIjLj3EESA_
	.p2align	8
	.type	_ZL13mul_mat_f_idsI15__hip_bfloat162Li32ELi3ELi2EEvPKT_PKfPKiS7_S7_Pfiiiiiiiiiiiiii15HIP_vector_typeIjLj3EESA_,@function
_ZL13mul_mat_f_idsI15__hip_bfloat162Li32ELi3ELi2EEvPKT_PKfPKiS7_S7_Pfiiiiiiiiiiiiii15HIP_vector_typeIjLj3EESA_: ; @_ZL13mul_mat_f_idsI15__hip_bfloat162Li32ELi3ELi2EEvPKT_PKfPKiS7_S7_Pfiiiiiiiiiiiiii15HIP_vector_typeIjLj3EESA_
; %bb.0:
	s_add_u32 s8, s0, 0x80
	s_addc_u32 s9, s1, 0
	s_getpc_b64 s[0:1]
	s_add_u32 s0, s0, __FUNCTION__._ZL13mul_mat_f_idsIfLi32ELi3ELi1EEvPKT_PKfPKiS6_S6_Pfiiiiiiiiiiiiii15HIP_vector_typeIjLj3EES9_@rel32@lo+4
	s_addc_u32 s1, s1, __FUNCTION__._ZL13mul_mat_f_idsIfLi32ELi3ELi1EEvPKT_PKfPKiS6_S6_Pfiiiiiiiiiiiiii15HIP_vector_typeIjLj3EES9_@rel32@hi+12
	s_getpc_b64 s[2:3]
	s_add_u32 s2, s2, _ZL14no_device_codePKciS0_iS0_@rel32@lo+4
	s_addc_u32 s3, s3, _ZL14no_device_codePKciS0_iS0_@rel32@hi+12
	v_mov_b32_e32 v0, 0x13b
	v_mov_b32_e32 v1, s0
	;; [unrolled: 1-line block ×3, first 2 shown]
	s_mov_b32 s32, 0
	s_swappc_b64 s[30:31], s[2:3]
	.section	.rodata,"a",@progbits
	.p2align	6, 0x0
	.amdhsa_kernel _ZL13mul_mat_f_idsI15__hip_bfloat162Li32ELi3ELi2EEvPKT_PKfPKiS7_S7_Pfiiiiiiiiiiiiii15HIP_vector_typeIjLj3EESA_
		.amdhsa_group_segment_fixed_size 0
		.amdhsa_private_segment_fixed_size 16
		.amdhsa_kernarg_size 384
		.amdhsa_user_sgpr_count 2
		.amdhsa_user_sgpr_dispatch_ptr 0
		.amdhsa_user_sgpr_queue_ptr 0
		.amdhsa_user_sgpr_kernarg_segment_ptr 1
		.amdhsa_user_sgpr_dispatch_id 0
		.amdhsa_user_sgpr_kernarg_preload_length 0
		.amdhsa_user_sgpr_kernarg_preload_offset 0
		.amdhsa_user_sgpr_private_segment_size 0
		.amdhsa_uses_dynamic_stack 0
		.amdhsa_enable_private_segment 1
		.amdhsa_system_sgpr_workgroup_id_x 1
		.amdhsa_system_sgpr_workgroup_id_y 0
		.amdhsa_system_sgpr_workgroup_id_z 0
		.amdhsa_system_sgpr_workgroup_info 0
		.amdhsa_system_vgpr_workitem_id 0
		.amdhsa_next_free_vgpr 38
		.amdhsa_next_free_sgpr 34
		.amdhsa_accum_offset 40
		.amdhsa_reserve_vcc 1
		.amdhsa_float_round_mode_32 0
		.amdhsa_float_round_mode_16_64 0
		.amdhsa_float_denorm_mode_32 3
		.amdhsa_float_denorm_mode_16_64 3
		.amdhsa_dx10_clamp 1
		.amdhsa_ieee_mode 1
		.amdhsa_fp16_overflow 0
		.amdhsa_tg_split 0
		.amdhsa_exception_fp_ieee_invalid_op 0
		.amdhsa_exception_fp_denorm_src 0
		.amdhsa_exception_fp_ieee_div_zero 0
		.amdhsa_exception_fp_ieee_overflow 0
		.amdhsa_exception_fp_ieee_underflow 0
		.amdhsa_exception_fp_ieee_inexact 0
		.amdhsa_exception_int_div_zero 0
	.end_amdhsa_kernel
	.section	.text._ZL13mul_mat_f_idsI15__hip_bfloat162Li32ELi3ELi2EEvPKT_PKfPKiS7_S7_Pfiiiiiiiiiiiiii15HIP_vector_typeIjLj3EESA_,"axG",@progbits,_ZL13mul_mat_f_idsI15__hip_bfloat162Li32ELi3ELi2EEvPKT_PKfPKiS7_S7_Pfiiiiiiiiiiiiii15HIP_vector_typeIjLj3EESA_,comdat
.Lfunc_end54:
	.size	_ZL13mul_mat_f_idsI15__hip_bfloat162Li32ELi3ELi2EEvPKT_PKfPKiS7_S7_Pfiiiiiiiiiiiiii15HIP_vector_typeIjLj3EESA_, .Lfunc_end54-_ZL13mul_mat_f_idsI15__hip_bfloat162Li32ELi3ELi2EEvPKT_PKfPKiS7_S7_Pfiiiiiiiiiiiiii15HIP_vector_typeIjLj3EESA_
                                        ; -- End function
	.set _ZL13mul_mat_f_idsI15__hip_bfloat162Li32ELi3ELi2EEvPKT_PKfPKiS7_S7_Pfiiiiiiiiiiiiii15HIP_vector_typeIjLj3EESA_.num_vgpr, max(3, .L_ZL14no_device_codePKciS0_iS0_.num_vgpr)
	.set _ZL13mul_mat_f_idsI15__hip_bfloat162Li32ELi3ELi2EEvPKT_PKfPKiS7_S7_Pfiiiiiiiiiiiiii15HIP_vector_typeIjLj3EESA_.num_agpr, max(0, .L_ZL14no_device_codePKciS0_iS0_.num_agpr)
	.set _ZL13mul_mat_f_idsI15__hip_bfloat162Li32ELi3ELi2EEvPKT_PKfPKiS7_S7_Pfiiiiiiiiiiiiii15HIP_vector_typeIjLj3EESA_.numbered_sgpr, max(33, .L_ZL14no_device_codePKciS0_iS0_.numbered_sgpr)
	.set _ZL13mul_mat_f_idsI15__hip_bfloat162Li32ELi3ELi2EEvPKT_PKfPKiS7_S7_Pfiiiiiiiiiiiiii15HIP_vector_typeIjLj3EESA_.num_named_barrier, max(0, .L_ZL14no_device_codePKciS0_iS0_.num_named_barrier)
	.set _ZL13mul_mat_f_idsI15__hip_bfloat162Li32ELi3ELi2EEvPKT_PKfPKiS7_S7_Pfiiiiiiiiiiiiii15HIP_vector_typeIjLj3EESA_.private_seg_size, 0+max(.L_ZL14no_device_codePKciS0_iS0_.private_seg_size)
	.set _ZL13mul_mat_f_idsI15__hip_bfloat162Li32ELi3ELi2EEvPKT_PKfPKiS7_S7_Pfiiiiiiiiiiiiii15HIP_vector_typeIjLj3EESA_.uses_vcc, or(1, .L_ZL14no_device_codePKciS0_iS0_.uses_vcc)
	.set _ZL13mul_mat_f_idsI15__hip_bfloat162Li32ELi3ELi2EEvPKT_PKfPKiS7_S7_Pfiiiiiiiiiiiiii15HIP_vector_typeIjLj3EESA_.uses_flat_scratch, or(0, .L_ZL14no_device_codePKciS0_iS0_.uses_flat_scratch)
	.set _ZL13mul_mat_f_idsI15__hip_bfloat162Li32ELi3ELi2EEvPKT_PKfPKiS7_S7_Pfiiiiiiiiiiiiii15HIP_vector_typeIjLj3EESA_.has_dyn_sized_stack, or(0, .L_ZL14no_device_codePKciS0_iS0_.has_dyn_sized_stack)
	.set _ZL13mul_mat_f_idsI15__hip_bfloat162Li32ELi3ELi2EEvPKT_PKfPKiS7_S7_Pfiiiiiiiiiiiiii15HIP_vector_typeIjLj3EESA_.has_recursion, or(0, .L_ZL14no_device_codePKciS0_iS0_.has_recursion)
	.set _ZL13mul_mat_f_idsI15__hip_bfloat162Li32ELi3ELi2EEvPKT_PKfPKiS7_S7_Pfiiiiiiiiiiiiii15HIP_vector_typeIjLj3EESA_.has_indirect_call, or(0, .L_ZL14no_device_codePKciS0_iS0_.has_indirect_call)
	.section	.AMDGPU.csdata,"",@progbits
; Kernel info:
; codeLenInByte = 76
; TotalNumSgprs: 40
; NumVgprs: 38
; NumAgprs: 0
; TotalNumVgprs: 38
; ScratchSize: 16
; MemoryBound: 0
; FloatMode: 240
; IeeeMode: 1
; LDSByteSize: 0 bytes/workgroup (compile time only)
; SGPRBlocks: 4
; VGPRBlocks: 4
; NumSGPRsForWavesPerEU: 40
; NumVGPRsForWavesPerEU: 38
; AccumOffset: 40
; Occupancy: 8
; WaveLimiterHint : 1
; COMPUTE_PGM_RSRC2:SCRATCH_EN: 1
; COMPUTE_PGM_RSRC2:USER_SGPR: 2
; COMPUTE_PGM_RSRC2:TRAP_HANDLER: 0
; COMPUTE_PGM_RSRC2:TGID_X_EN: 1
; COMPUTE_PGM_RSRC2:TGID_Y_EN: 0
; COMPUTE_PGM_RSRC2:TGID_Z_EN: 0
; COMPUTE_PGM_RSRC2:TIDIG_COMP_CNT: 0
; COMPUTE_PGM_RSRC3_GFX90A:ACCUM_OFFSET: 9
; COMPUTE_PGM_RSRC3_GFX90A:TG_SPLIT: 0
	.section	.text._ZL9mul_mat_fI15__hip_bfloat162Li32ELi3ELi2ELb1EEvPKT_PKfPKiPfiiiiiiiiiiiiiiii,"axG",@progbits,_ZL9mul_mat_fI15__hip_bfloat162Li32ELi3ELi2ELb1EEvPKT_PKfPKiPfiiiiiiiiiiiiiiii,comdat
	.globl	_ZL9mul_mat_fI15__hip_bfloat162Li32ELi3ELi2ELb1EEvPKT_PKfPKiPfiiiiiiiiiiiiiiii ; -- Begin function _ZL9mul_mat_fI15__hip_bfloat162Li32ELi3ELi2ELb1EEvPKT_PKfPKiPfiiiiiiiiiiiiiiii
	.p2align	8
	.type	_ZL9mul_mat_fI15__hip_bfloat162Li32ELi3ELi2ELb1EEvPKT_PKfPKiPfiiiiiiiiiiiiiiii,@function
_ZL9mul_mat_fI15__hip_bfloat162Li32ELi3ELi2ELb1EEvPKT_PKfPKiPfiiiiiiiiiiiiiiii: ; @_ZL9mul_mat_fI15__hip_bfloat162Li32ELi3ELi2ELb1EEvPKT_PKfPKiPfiiiiiiiiiiiiiiii
; %bb.0:
	s_add_u32 s8, s0, 0x60
	s_addc_u32 s9, s1, 0
	s_getpc_b64 s[0:1]
	s_add_u32 s0, s0, __FUNCTION__._ZL9mul_mat_fIfLi32ELi3ELi1ELb1EEvPKT_PKfPKiPfiiiiiiiiiiiiiiii@rel32@lo+4
	s_addc_u32 s1, s1, __FUNCTION__._ZL9mul_mat_fIfLi32ELi3ELi1ELb1EEvPKT_PKfPKiPfiiiiiiiiiiiiiiii@rel32@hi+12
	s_getpc_b64 s[2:3]
	s_add_u32 s2, s2, _ZL14no_device_codePKciS0_iS0_@rel32@lo+4
	s_addc_u32 s3, s3, _ZL14no_device_codePKciS0_iS0_@rel32@hi+12
	v_mov_b32_e32 v0, 64
	v_mov_b32_e32 v1, s0
	;; [unrolled: 1-line block ×3, first 2 shown]
	s_mov_b32 s32, 0
	s_swappc_b64 s[30:31], s[2:3]
	.section	.rodata,"a",@progbits
	.p2align	6, 0x0
	.amdhsa_kernel _ZL9mul_mat_fI15__hip_bfloat162Li32ELi3ELi2ELb1EEvPKT_PKfPKiPfiiiiiiiiiiiiiiii
		.amdhsa_group_segment_fixed_size 0
		.amdhsa_private_segment_fixed_size 16
		.amdhsa_kernarg_size 352
		.amdhsa_user_sgpr_count 2
		.amdhsa_user_sgpr_dispatch_ptr 0
		.amdhsa_user_sgpr_queue_ptr 0
		.amdhsa_user_sgpr_kernarg_segment_ptr 1
		.amdhsa_user_sgpr_dispatch_id 0
		.amdhsa_user_sgpr_kernarg_preload_length 0
		.amdhsa_user_sgpr_kernarg_preload_offset 0
		.amdhsa_user_sgpr_private_segment_size 0
		.amdhsa_uses_dynamic_stack 0
		.amdhsa_enable_private_segment 1
		.amdhsa_system_sgpr_workgroup_id_x 1
		.amdhsa_system_sgpr_workgroup_id_y 0
		.amdhsa_system_sgpr_workgroup_id_z 0
		.amdhsa_system_sgpr_workgroup_info 0
		.amdhsa_system_vgpr_workitem_id 0
		.amdhsa_next_free_vgpr 38
		.amdhsa_next_free_sgpr 34
		.amdhsa_accum_offset 40
		.amdhsa_reserve_vcc 1
		.amdhsa_float_round_mode_32 0
		.amdhsa_float_round_mode_16_64 0
		.amdhsa_float_denorm_mode_32 3
		.amdhsa_float_denorm_mode_16_64 3
		.amdhsa_dx10_clamp 1
		.amdhsa_ieee_mode 1
		.amdhsa_fp16_overflow 0
		.amdhsa_tg_split 0
		.amdhsa_exception_fp_ieee_invalid_op 0
		.amdhsa_exception_fp_denorm_src 0
		.amdhsa_exception_fp_ieee_div_zero 0
		.amdhsa_exception_fp_ieee_overflow 0
		.amdhsa_exception_fp_ieee_underflow 0
		.amdhsa_exception_fp_ieee_inexact 0
		.amdhsa_exception_int_div_zero 0
	.end_amdhsa_kernel
	.section	.text._ZL9mul_mat_fI15__hip_bfloat162Li32ELi3ELi2ELb1EEvPKT_PKfPKiPfiiiiiiiiiiiiiiii,"axG",@progbits,_ZL9mul_mat_fI15__hip_bfloat162Li32ELi3ELi2ELb1EEvPKT_PKfPKiPfiiiiiiiiiiiiiiii,comdat
.Lfunc_end55:
	.size	_ZL9mul_mat_fI15__hip_bfloat162Li32ELi3ELi2ELb1EEvPKT_PKfPKiPfiiiiiiiiiiiiiiii, .Lfunc_end55-_ZL9mul_mat_fI15__hip_bfloat162Li32ELi3ELi2ELb1EEvPKT_PKfPKiPfiiiiiiiiiiiiiiii
                                        ; -- End function
	.set _ZL9mul_mat_fI15__hip_bfloat162Li32ELi3ELi2ELb1EEvPKT_PKfPKiPfiiiiiiiiiiiiiiii.num_vgpr, max(3, .L_ZL14no_device_codePKciS0_iS0_.num_vgpr)
	.set _ZL9mul_mat_fI15__hip_bfloat162Li32ELi3ELi2ELb1EEvPKT_PKfPKiPfiiiiiiiiiiiiiiii.num_agpr, max(0, .L_ZL14no_device_codePKciS0_iS0_.num_agpr)
	.set _ZL9mul_mat_fI15__hip_bfloat162Li32ELi3ELi2ELb1EEvPKT_PKfPKiPfiiiiiiiiiiiiiiii.numbered_sgpr, max(33, .L_ZL14no_device_codePKciS0_iS0_.numbered_sgpr)
	.set _ZL9mul_mat_fI15__hip_bfloat162Li32ELi3ELi2ELb1EEvPKT_PKfPKiPfiiiiiiiiiiiiiiii.num_named_barrier, max(0, .L_ZL14no_device_codePKciS0_iS0_.num_named_barrier)
	.set _ZL9mul_mat_fI15__hip_bfloat162Li32ELi3ELi2ELb1EEvPKT_PKfPKiPfiiiiiiiiiiiiiiii.private_seg_size, 0+max(.L_ZL14no_device_codePKciS0_iS0_.private_seg_size)
	.set _ZL9mul_mat_fI15__hip_bfloat162Li32ELi3ELi2ELb1EEvPKT_PKfPKiPfiiiiiiiiiiiiiiii.uses_vcc, or(1, .L_ZL14no_device_codePKciS0_iS0_.uses_vcc)
	.set _ZL9mul_mat_fI15__hip_bfloat162Li32ELi3ELi2ELb1EEvPKT_PKfPKiPfiiiiiiiiiiiiiiii.uses_flat_scratch, or(0, .L_ZL14no_device_codePKciS0_iS0_.uses_flat_scratch)
	.set _ZL9mul_mat_fI15__hip_bfloat162Li32ELi3ELi2ELb1EEvPKT_PKfPKiPfiiiiiiiiiiiiiiii.has_dyn_sized_stack, or(0, .L_ZL14no_device_codePKciS0_iS0_.has_dyn_sized_stack)
	.set _ZL9mul_mat_fI15__hip_bfloat162Li32ELi3ELi2ELb1EEvPKT_PKfPKiPfiiiiiiiiiiiiiiii.has_recursion, or(0, .L_ZL14no_device_codePKciS0_iS0_.has_recursion)
	.set _ZL9mul_mat_fI15__hip_bfloat162Li32ELi3ELi2ELb1EEvPKT_PKfPKiPfiiiiiiiiiiiiiiii.has_indirect_call, or(0, .L_ZL14no_device_codePKciS0_iS0_.has_indirect_call)
	.section	.AMDGPU.csdata,"",@progbits
; Kernel info:
; codeLenInByte = 72
; TotalNumSgprs: 40
; NumVgprs: 38
; NumAgprs: 0
; TotalNumVgprs: 38
; ScratchSize: 16
; MemoryBound: 0
; FloatMode: 240
; IeeeMode: 1
; LDSByteSize: 0 bytes/workgroup (compile time only)
; SGPRBlocks: 4
; VGPRBlocks: 4
; NumSGPRsForWavesPerEU: 40
; NumVGPRsForWavesPerEU: 38
; AccumOffset: 40
; Occupancy: 8
; WaveLimiterHint : 1
; COMPUTE_PGM_RSRC2:SCRATCH_EN: 1
; COMPUTE_PGM_RSRC2:USER_SGPR: 2
; COMPUTE_PGM_RSRC2:TRAP_HANDLER: 0
; COMPUTE_PGM_RSRC2:TGID_X_EN: 1
; COMPUTE_PGM_RSRC2:TGID_Y_EN: 0
; COMPUTE_PGM_RSRC2:TGID_Z_EN: 0
; COMPUTE_PGM_RSRC2:TIDIG_COMP_CNT: 0
; COMPUTE_PGM_RSRC3_GFX90A:ACCUM_OFFSET: 9
; COMPUTE_PGM_RSRC3_GFX90A:TG_SPLIT: 0
	.section	.text._ZL9mul_mat_fI15__hip_bfloat162Li32ELi3ELi2ELb0EEvPKT_PKfPKiPfiiiiiiiiiiiiiiii,"axG",@progbits,_ZL9mul_mat_fI15__hip_bfloat162Li32ELi3ELi2ELb0EEvPKT_PKfPKiPfiiiiiiiiiiiiiiii,comdat
	.globl	_ZL9mul_mat_fI15__hip_bfloat162Li32ELi3ELi2ELb0EEvPKT_PKfPKiPfiiiiiiiiiiiiiiii ; -- Begin function _ZL9mul_mat_fI15__hip_bfloat162Li32ELi3ELi2ELb0EEvPKT_PKfPKiPfiiiiiiiiiiiiiiii
	.p2align	8
	.type	_ZL9mul_mat_fI15__hip_bfloat162Li32ELi3ELi2ELb0EEvPKT_PKfPKiPfiiiiiiiiiiiiiiii,@function
_ZL9mul_mat_fI15__hip_bfloat162Li32ELi3ELi2ELb0EEvPKT_PKfPKiPfiiiiiiiiiiiiiiii: ; @_ZL9mul_mat_fI15__hip_bfloat162Li32ELi3ELi2ELb0EEvPKT_PKfPKiPfiiiiiiiiiiiiiiii
; %bb.0:
	s_add_u32 s8, s0, 0x60
	s_addc_u32 s9, s1, 0
	s_getpc_b64 s[0:1]
	s_add_u32 s0, s0, __FUNCTION__._ZL9mul_mat_fIfLi32ELi3ELi1ELb1EEvPKT_PKfPKiPfiiiiiiiiiiiiiiii@rel32@lo+4
	s_addc_u32 s1, s1, __FUNCTION__._ZL9mul_mat_fIfLi32ELi3ELi1ELb1EEvPKT_PKfPKiPfiiiiiiiiiiiiiiii@rel32@hi+12
	s_getpc_b64 s[2:3]
	s_add_u32 s2, s2, _ZL14no_device_codePKciS0_iS0_@rel32@lo+4
	s_addc_u32 s3, s3, _ZL14no_device_codePKciS0_iS0_@rel32@hi+12
	v_mov_b32_e32 v0, 64
	v_mov_b32_e32 v1, s0
	;; [unrolled: 1-line block ×3, first 2 shown]
	s_mov_b32 s32, 0
	s_swappc_b64 s[30:31], s[2:3]
	.section	.rodata,"a",@progbits
	.p2align	6, 0x0
	.amdhsa_kernel _ZL9mul_mat_fI15__hip_bfloat162Li32ELi3ELi2ELb0EEvPKT_PKfPKiPfiiiiiiiiiiiiiiii
		.amdhsa_group_segment_fixed_size 0
		.amdhsa_private_segment_fixed_size 16
		.amdhsa_kernarg_size 352
		.amdhsa_user_sgpr_count 2
		.amdhsa_user_sgpr_dispatch_ptr 0
		.amdhsa_user_sgpr_queue_ptr 0
		.amdhsa_user_sgpr_kernarg_segment_ptr 1
		.amdhsa_user_sgpr_dispatch_id 0
		.amdhsa_user_sgpr_kernarg_preload_length 0
		.amdhsa_user_sgpr_kernarg_preload_offset 0
		.amdhsa_user_sgpr_private_segment_size 0
		.amdhsa_uses_dynamic_stack 0
		.amdhsa_enable_private_segment 1
		.amdhsa_system_sgpr_workgroup_id_x 1
		.amdhsa_system_sgpr_workgroup_id_y 0
		.amdhsa_system_sgpr_workgroup_id_z 0
		.amdhsa_system_sgpr_workgroup_info 0
		.amdhsa_system_vgpr_workitem_id 0
		.amdhsa_next_free_vgpr 38
		.amdhsa_next_free_sgpr 34
		.amdhsa_accum_offset 40
		.amdhsa_reserve_vcc 1
		.amdhsa_float_round_mode_32 0
		.amdhsa_float_round_mode_16_64 0
		.amdhsa_float_denorm_mode_32 3
		.amdhsa_float_denorm_mode_16_64 3
		.amdhsa_dx10_clamp 1
		.amdhsa_ieee_mode 1
		.amdhsa_fp16_overflow 0
		.amdhsa_tg_split 0
		.amdhsa_exception_fp_ieee_invalid_op 0
		.amdhsa_exception_fp_denorm_src 0
		.amdhsa_exception_fp_ieee_div_zero 0
		.amdhsa_exception_fp_ieee_overflow 0
		.amdhsa_exception_fp_ieee_underflow 0
		.amdhsa_exception_fp_ieee_inexact 0
		.amdhsa_exception_int_div_zero 0
	.end_amdhsa_kernel
	.section	.text._ZL9mul_mat_fI15__hip_bfloat162Li32ELi3ELi2ELb0EEvPKT_PKfPKiPfiiiiiiiiiiiiiiii,"axG",@progbits,_ZL9mul_mat_fI15__hip_bfloat162Li32ELi3ELi2ELb0EEvPKT_PKfPKiPfiiiiiiiiiiiiiiii,comdat
.Lfunc_end56:
	.size	_ZL9mul_mat_fI15__hip_bfloat162Li32ELi3ELi2ELb0EEvPKT_PKfPKiPfiiiiiiiiiiiiiiii, .Lfunc_end56-_ZL9mul_mat_fI15__hip_bfloat162Li32ELi3ELi2ELb0EEvPKT_PKfPKiPfiiiiiiiiiiiiiiii
                                        ; -- End function
	.set _ZL9mul_mat_fI15__hip_bfloat162Li32ELi3ELi2ELb0EEvPKT_PKfPKiPfiiiiiiiiiiiiiiii.num_vgpr, max(3, .L_ZL14no_device_codePKciS0_iS0_.num_vgpr)
	.set _ZL9mul_mat_fI15__hip_bfloat162Li32ELi3ELi2ELb0EEvPKT_PKfPKiPfiiiiiiiiiiiiiiii.num_agpr, max(0, .L_ZL14no_device_codePKciS0_iS0_.num_agpr)
	.set _ZL9mul_mat_fI15__hip_bfloat162Li32ELi3ELi2ELb0EEvPKT_PKfPKiPfiiiiiiiiiiiiiiii.numbered_sgpr, max(33, .L_ZL14no_device_codePKciS0_iS0_.numbered_sgpr)
	.set _ZL9mul_mat_fI15__hip_bfloat162Li32ELi3ELi2ELb0EEvPKT_PKfPKiPfiiiiiiiiiiiiiiii.num_named_barrier, max(0, .L_ZL14no_device_codePKciS0_iS0_.num_named_barrier)
	.set _ZL9mul_mat_fI15__hip_bfloat162Li32ELi3ELi2ELb0EEvPKT_PKfPKiPfiiiiiiiiiiiiiiii.private_seg_size, 0+max(.L_ZL14no_device_codePKciS0_iS0_.private_seg_size)
	.set _ZL9mul_mat_fI15__hip_bfloat162Li32ELi3ELi2ELb0EEvPKT_PKfPKiPfiiiiiiiiiiiiiiii.uses_vcc, or(1, .L_ZL14no_device_codePKciS0_iS0_.uses_vcc)
	.set _ZL9mul_mat_fI15__hip_bfloat162Li32ELi3ELi2ELb0EEvPKT_PKfPKiPfiiiiiiiiiiiiiiii.uses_flat_scratch, or(0, .L_ZL14no_device_codePKciS0_iS0_.uses_flat_scratch)
	.set _ZL9mul_mat_fI15__hip_bfloat162Li32ELi3ELi2ELb0EEvPKT_PKfPKiPfiiiiiiiiiiiiiiii.has_dyn_sized_stack, or(0, .L_ZL14no_device_codePKciS0_iS0_.has_dyn_sized_stack)
	.set _ZL9mul_mat_fI15__hip_bfloat162Li32ELi3ELi2ELb0EEvPKT_PKfPKiPfiiiiiiiiiiiiiiii.has_recursion, or(0, .L_ZL14no_device_codePKciS0_iS0_.has_recursion)
	.set _ZL9mul_mat_fI15__hip_bfloat162Li32ELi3ELi2ELb0EEvPKT_PKfPKiPfiiiiiiiiiiiiiiii.has_indirect_call, or(0, .L_ZL14no_device_codePKciS0_iS0_.has_indirect_call)
	.section	.AMDGPU.csdata,"",@progbits
; Kernel info:
; codeLenInByte = 72
; TotalNumSgprs: 40
; NumVgprs: 38
; NumAgprs: 0
; TotalNumVgprs: 38
; ScratchSize: 16
; MemoryBound: 0
; FloatMode: 240
; IeeeMode: 1
; LDSByteSize: 0 bytes/workgroup (compile time only)
; SGPRBlocks: 4
; VGPRBlocks: 4
; NumSGPRsForWavesPerEU: 40
; NumVGPRsForWavesPerEU: 38
; AccumOffset: 40
; Occupancy: 8
; WaveLimiterHint : 1
; COMPUTE_PGM_RSRC2:SCRATCH_EN: 1
; COMPUTE_PGM_RSRC2:USER_SGPR: 2
; COMPUTE_PGM_RSRC2:TRAP_HANDLER: 0
; COMPUTE_PGM_RSRC2:TGID_X_EN: 1
; COMPUTE_PGM_RSRC2:TGID_Y_EN: 0
; COMPUTE_PGM_RSRC2:TGID_Z_EN: 0
; COMPUTE_PGM_RSRC2:TIDIG_COMP_CNT: 0
; COMPUTE_PGM_RSRC3_GFX90A:ACCUM_OFFSET: 9
; COMPUTE_PGM_RSRC3_GFX90A:TG_SPLIT: 0
	.section	.text._ZL13mul_mat_f_idsI15__hip_bfloat162Li32ELi3ELi3EEvPKT_PKfPKiS7_S7_Pfiiiiiiiiiiiiii15HIP_vector_typeIjLj3EESA_,"axG",@progbits,_ZL13mul_mat_f_idsI15__hip_bfloat162Li32ELi3ELi3EEvPKT_PKfPKiS7_S7_Pfiiiiiiiiiiiiii15HIP_vector_typeIjLj3EESA_,comdat
	.globl	_ZL13mul_mat_f_idsI15__hip_bfloat162Li32ELi3ELi3EEvPKT_PKfPKiS7_S7_Pfiiiiiiiiiiiiii15HIP_vector_typeIjLj3EESA_ ; -- Begin function _ZL13mul_mat_f_idsI15__hip_bfloat162Li32ELi3ELi3EEvPKT_PKfPKiS7_S7_Pfiiiiiiiiiiiiii15HIP_vector_typeIjLj3EESA_
	.p2align	8
	.type	_ZL13mul_mat_f_idsI15__hip_bfloat162Li32ELi3ELi3EEvPKT_PKfPKiS7_S7_Pfiiiiiiiiiiiiii15HIP_vector_typeIjLj3EESA_,@function
_ZL13mul_mat_f_idsI15__hip_bfloat162Li32ELi3ELi3EEvPKT_PKfPKiS7_S7_Pfiiiiiiiiiiiiii15HIP_vector_typeIjLj3EESA_: ; @_ZL13mul_mat_f_idsI15__hip_bfloat162Li32ELi3ELi3EEvPKT_PKfPKiS7_S7_Pfiiiiiiiiiiiiii15HIP_vector_typeIjLj3EESA_
; %bb.0:
	s_add_u32 s8, s0, 0x80
	s_addc_u32 s9, s1, 0
	s_getpc_b64 s[0:1]
	s_add_u32 s0, s0, __FUNCTION__._ZL13mul_mat_f_idsIfLi32ELi3ELi1EEvPKT_PKfPKiS6_S6_Pfiiiiiiiiiiiiii15HIP_vector_typeIjLj3EES9_@rel32@lo+4
	s_addc_u32 s1, s1, __FUNCTION__._ZL13mul_mat_f_idsIfLi32ELi3ELi1EEvPKT_PKfPKiS6_S6_Pfiiiiiiiiiiiiii15HIP_vector_typeIjLj3EES9_@rel32@hi+12
	s_getpc_b64 s[2:3]
	s_add_u32 s2, s2, _ZL14no_device_codePKciS0_iS0_@rel32@lo+4
	s_addc_u32 s3, s3, _ZL14no_device_codePKciS0_iS0_@rel32@hi+12
	v_mov_b32_e32 v0, 0x13b
	v_mov_b32_e32 v1, s0
	;; [unrolled: 1-line block ×3, first 2 shown]
	s_mov_b32 s32, 0
	s_swappc_b64 s[30:31], s[2:3]
	.section	.rodata,"a",@progbits
	.p2align	6, 0x0
	.amdhsa_kernel _ZL13mul_mat_f_idsI15__hip_bfloat162Li32ELi3ELi3EEvPKT_PKfPKiS7_S7_Pfiiiiiiiiiiiiii15HIP_vector_typeIjLj3EESA_
		.amdhsa_group_segment_fixed_size 0
		.amdhsa_private_segment_fixed_size 16
		.amdhsa_kernarg_size 384
		.amdhsa_user_sgpr_count 2
		.amdhsa_user_sgpr_dispatch_ptr 0
		.amdhsa_user_sgpr_queue_ptr 0
		.amdhsa_user_sgpr_kernarg_segment_ptr 1
		.amdhsa_user_sgpr_dispatch_id 0
		.amdhsa_user_sgpr_kernarg_preload_length 0
		.amdhsa_user_sgpr_kernarg_preload_offset 0
		.amdhsa_user_sgpr_private_segment_size 0
		.amdhsa_uses_dynamic_stack 0
		.amdhsa_enable_private_segment 1
		.amdhsa_system_sgpr_workgroup_id_x 1
		.amdhsa_system_sgpr_workgroup_id_y 0
		.amdhsa_system_sgpr_workgroup_id_z 0
		.amdhsa_system_sgpr_workgroup_info 0
		.amdhsa_system_vgpr_workitem_id 0
		.amdhsa_next_free_vgpr 38
		.amdhsa_next_free_sgpr 34
		.amdhsa_accum_offset 40
		.amdhsa_reserve_vcc 1
		.amdhsa_float_round_mode_32 0
		.amdhsa_float_round_mode_16_64 0
		.amdhsa_float_denorm_mode_32 3
		.amdhsa_float_denorm_mode_16_64 3
		.amdhsa_dx10_clamp 1
		.amdhsa_ieee_mode 1
		.amdhsa_fp16_overflow 0
		.amdhsa_tg_split 0
		.amdhsa_exception_fp_ieee_invalid_op 0
		.amdhsa_exception_fp_denorm_src 0
		.amdhsa_exception_fp_ieee_div_zero 0
		.amdhsa_exception_fp_ieee_overflow 0
		.amdhsa_exception_fp_ieee_underflow 0
		.amdhsa_exception_fp_ieee_inexact 0
		.amdhsa_exception_int_div_zero 0
	.end_amdhsa_kernel
	.section	.text._ZL13mul_mat_f_idsI15__hip_bfloat162Li32ELi3ELi3EEvPKT_PKfPKiS7_S7_Pfiiiiiiiiiiiiii15HIP_vector_typeIjLj3EESA_,"axG",@progbits,_ZL13mul_mat_f_idsI15__hip_bfloat162Li32ELi3ELi3EEvPKT_PKfPKiS7_S7_Pfiiiiiiiiiiiiii15HIP_vector_typeIjLj3EESA_,comdat
.Lfunc_end57:
	.size	_ZL13mul_mat_f_idsI15__hip_bfloat162Li32ELi3ELi3EEvPKT_PKfPKiS7_S7_Pfiiiiiiiiiiiiii15HIP_vector_typeIjLj3EESA_, .Lfunc_end57-_ZL13mul_mat_f_idsI15__hip_bfloat162Li32ELi3ELi3EEvPKT_PKfPKiS7_S7_Pfiiiiiiiiiiiiii15HIP_vector_typeIjLj3EESA_
                                        ; -- End function
	.set _ZL13mul_mat_f_idsI15__hip_bfloat162Li32ELi3ELi3EEvPKT_PKfPKiS7_S7_Pfiiiiiiiiiiiiii15HIP_vector_typeIjLj3EESA_.num_vgpr, max(3, .L_ZL14no_device_codePKciS0_iS0_.num_vgpr)
	.set _ZL13mul_mat_f_idsI15__hip_bfloat162Li32ELi3ELi3EEvPKT_PKfPKiS7_S7_Pfiiiiiiiiiiiiii15HIP_vector_typeIjLj3EESA_.num_agpr, max(0, .L_ZL14no_device_codePKciS0_iS0_.num_agpr)
	.set _ZL13mul_mat_f_idsI15__hip_bfloat162Li32ELi3ELi3EEvPKT_PKfPKiS7_S7_Pfiiiiiiiiiiiiii15HIP_vector_typeIjLj3EESA_.numbered_sgpr, max(33, .L_ZL14no_device_codePKciS0_iS0_.numbered_sgpr)
	.set _ZL13mul_mat_f_idsI15__hip_bfloat162Li32ELi3ELi3EEvPKT_PKfPKiS7_S7_Pfiiiiiiiiiiiiii15HIP_vector_typeIjLj3EESA_.num_named_barrier, max(0, .L_ZL14no_device_codePKciS0_iS0_.num_named_barrier)
	.set _ZL13mul_mat_f_idsI15__hip_bfloat162Li32ELi3ELi3EEvPKT_PKfPKiS7_S7_Pfiiiiiiiiiiiiii15HIP_vector_typeIjLj3EESA_.private_seg_size, 0+max(.L_ZL14no_device_codePKciS0_iS0_.private_seg_size)
	.set _ZL13mul_mat_f_idsI15__hip_bfloat162Li32ELi3ELi3EEvPKT_PKfPKiS7_S7_Pfiiiiiiiiiiiiii15HIP_vector_typeIjLj3EESA_.uses_vcc, or(1, .L_ZL14no_device_codePKciS0_iS0_.uses_vcc)
	.set _ZL13mul_mat_f_idsI15__hip_bfloat162Li32ELi3ELi3EEvPKT_PKfPKiS7_S7_Pfiiiiiiiiiiiiii15HIP_vector_typeIjLj3EESA_.uses_flat_scratch, or(0, .L_ZL14no_device_codePKciS0_iS0_.uses_flat_scratch)
	.set _ZL13mul_mat_f_idsI15__hip_bfloat162Li32ELi3ELi3EEvPKT_PKfPKiS7_S7_Pfiiiiiiiiiiiiii15HIP_vector_typeIjLj3EESA_.has_dyn_sized_stack, or(0, .L_ZL14no_device_codePKciS0_iS0_.has_dyn_sized_stack)
	.set _ZL13mul_mat_f_idsI15__hip_bfloat162Li32ELi3ELi3EEvPKT_PKfPKiS7_S7_Pfiiiiiiiiiiiiii15HIP_vector_typeIjLj3EESA_.has_recursion, or(0, .L_ZL14no_device_codePKciS0_iS0_.has_recursion)
	.set _ZL13mul_mat_f_idsI15__hip_bfloat162Li32ELi3ELi3EEvPKT_PKfPKiS7_S7_Pfiiiiiiiiiiiiii15HIP_vector_typeIjLj3EESA_.has_indirect_call, or(0, .L_ZL14no_device_codePKciS0_iS0_.has_indirect_call)
	.section	.AMDGPU.csdata,"",@progbits
; Kernel info:
; codeLenInByte = 76
; TotalNumSgprs: 40
; NumVgprs: 38
; NumAgprs: 0
; TotalNumVgprs: 38
; ScratchSize: 16
; MemoryBound: 0
; FloatMode: 240
; IeeeMode: 1
; LDSByteSize: 0 bytes/workgroup (compile time only)
; SGPRBlocks: 4
; VGPRBlocks: 4
; NumSGPRsForWavesPerEU: 40
; NumVGPRsForWavesPerEU: 38
; AccumOffset: 40
; Occupancy: 8
; WaveLimiterHint : 1
; COMPUTE_PGM_RSRC2:SCRATCH_EN: 1
; COMPUTE_PGM_RSRC2:USER_SGPR: 2
; COMPUTE_PGM_RSRC2:TRAP_HANDLER: 0
; COMPUTE_PGM_RSRC2:TGID_X_EN: 1
; COMPUTE_PGM_RSRC2:TGID_Y_EN: 0
; COMPUTE_PGM_RSRC2:TGID_Z_EN: 0
; COMPUTE_PGM_RSRC2:TIDIG_COMP_CNT: 0
; COMPUTE_PGM_RSRC3_GFX90A:ACCUM_OFFSET: 9
; COMPUTE_PGM_RSRC3_GFX90A:TG_SPLIT: 0
	.section	.text._ZL9mul_mat_fI15__hip_bfloat162Li32ELi3ELi3ELb1EEvPKT_PKfPKiPfiiiiiiiiiiiiiiii,"axG",@progbits,_ZL9mul_mat_fI15__hip_bfloat162Li32ELi3ELi3ELb1EEvPKT_PKfPKiPfiiiiiiiiiiiiiiii,comdat
	.globl	_ZL9mul_mat_fI15__hip_bfloat162Li32ELi3ELi3ELb1EEvPKT_PKfPKiPfiiiiiiiiiiiiiiii ; -- Begin function _ZL9mul_mat_fI15__hip_bfloat162Li32ELi3ELi3ELb1EEvPKT_PKfPKiPfiiiiiiiiiiiiiiii
	.p2align	8
	.type	_ZL9mul_mat_fI15__hip_bfloat162Li32ELi3ELi3ELb1EEvPKT_PKfPKiPfiiiiiiiiiiiiiiii,@function
_ZL9mul_mat_fI15__hip_bfloat162Li32ELi3ELi3ELb1EEvPKT_PKfPKiPfiiiiiiiiiiiiiiii: ; @_ZL9mul_mat_fI15__hip_bfloat162Li32ELi3ELi3ELb1EEvPKT_PKfPKiPfiiiiiiiiiiiiiiii
; %bb.0:
	s_add_u32 s8, s0, 0x60
	s_addc_u32 s9, s1, 0
	s_getpc_b64 s[0:1]
	s_add_u32 s0, s0, __FUNCTION__._ZL9mul_mat_fIfLi32ELi3ELi1ELb1EEvPKT_PKfPKiPfiiiiiiiiiiiiiiii@rel32@lo+4
	s_addc_u32 s1, s1, __FUNCTION__._ZL9mul_mat_fIfLi32ELi3ELi1ELb1EEvPKT_PKfPKiPfiiiiiiiiiiiiiiii@rel32@hi+12
	s_getpc_b64 s[2:3]
	s_add_u32 s2, s2, _ZL14no_device_codePKciS0_iS0_@rel32@lo+4
	s_addc_u32 s3, s3, _ZL14no_device_codePKciS0_iS0_@rel32@hi+12
	v_mov_b32_e32 v0, 64
	v_mov_b32_e32 v1, s0
	;; [unrolled: 1-line block ×3, first 2 shown]
	s_mov_b32 s32, 0
	s_swappc_b64 s[30:31], s[2:3]
	.section	.rodata,"a",@progbits
	.p2align	6, 0x0
	.amdhsa_kernel _ZL9mul_mat_fI15__hip_bfloat162Li32ELi3ELi3ELb1EEvPKT_PKfPKiPfiiiiiiiiiiiiiiii
		.amdhsa_group_segment_fixed_size 0
		.amdhsa_private_segment_fixed_size 16
		.amdhsa_kernarg_size 352
		.amdhsa_user_sgpr_count 2
		.amdhsa_user_sgpr_dispatch_ptr 0
		.amdhsa_user_sgpr_queue_ptr 0
		.amdhsa_user_sgpr_kernarg_segment_ptr 1
		.amdhsa_user_sgpr_dispatch_id 0
		.amdhsa_user_sgpr_kernarg_preload_length 0
		.amdhsa_user_sgpr_kernarg_preload_offset 0
		.amdhsa_user_sgpr_private_segment_size 0
		.amdhsa_uses_dynamic_stack 0
		.amdhsa_enable_private_segment 1
		.amdhsa_system_sgpr_workgroup_id_x 1
		.amdhsa_system_sgpr_workgroup_id_y 0
		.amdhsa_system_sgpr_workgroup_id_z 0
		.amdhsa_system_sgpr_workgroup_info 0
		.amdhsa_system_vgpr_workitem_id 0
		.amdhsa_next_free_vgpr 38
		.amdhsa_next_free_sgpr 34
		.amdhsa_accum_offset 40
		.amdhsa_reserve_vcc 1
		.amdhsa_float_round_mode_32 0
		.amdhsa_float_round_mode_16_64 0
		.amdhsa_float_denorm_mode_32 3
		.amdhsa_float_denorm_mode_16_64 3
		.amdhsa_dx10_clamp 1
		.amdhsa_ieee_mode 1
		.amdhsa_fp16_overflow 0
		.amdhsa_tg_split 0
		.amdhsa_exception_fp_ieee_invalid_op 0
		.amdhsa_exception_fp_denorm_src 0
		.amdhsa_exception_fp_ieee_div_zero 0
		.amdhsa_exception_fp_ieee_overflow 0
		.amdhsa_exception_fp_ieee_underflow 0
		.amdhsa_exception_fp_ieee_inexact 0
		.amdhsa_exception_int_div_zero 0
	.end_amdhsa_kernel
	.section	.text._ZL9mul_mat_fI15__hip_bfloat162Li32ELi3ELi3ELb1EEvPKT_PKfPKiPfiiiiiiiiiiiiiiii,"axG",@progbits,_ZL9mul_mat_fI15__hip_bfloat162Li32ELi3ELi3ELb1EEvPKT_PKfPKiPfiiiiiiiiiiiiiiii,comdat
.Lfunc_end58:
	.size	_ZL9mul_mat_fI15__hip_bfloat162Li32ELi3ELi3ELb1EEvPKT_PKfPKiPfiiiiiiiiiiiiiiii, .Lfunc_end58-_ZL9mul_mat_fI15__hip_bfloat162Li32ELi3ELi3ELb1EEvPKT_PKfPKiPfiiiiiiiiiiiiiiii
                                        ; -- End function
	.set _ZL9mul_mat_fI15__hip_bfloat162Li32ELi3ELi3ELb1EEvPKT_PKfPKiPfiiiiiiiiiiiiiiii.num_vgpr, max(3, .L_ZL14no_device_codePKciS0_iS0_.num_vgpr)
	.set _ZL9mul_mat_fI15__hip_bfloat162Li32ELi3ELi3ELb1EEvPKT_PKfPKiPfiiiiiiiiiiiiiiii.num_agpr, max(0, .L_ZL14no_device_codePKciS0_iS0_.num_agpr)
	.set _ZL9mul_mat_fI15__hip_bfloat162Li32ELi3ELi3ELb1EEvPKT_PKfPKiPfiiiiiiiiiiiiiiii.numbered_sgpr, max(33, .L_ZL14no_device_codePKciS0_iS0_.numbered_sgpr)
	.set _ZL9mul_mat_fI15__hip_bfloat162Li32ELi3ELi3ELb1EEvPKT_PKfPKiPfiiiiiiiiiiiiiiii.num_named_barrier, max(0, .L_ZL14no_device_codePKciS0_iS0_.num_named_barrier)
	.set _ZL9mul_mat_fI15__hip_bfloat162Li32ELi3ELi3ELb1EEvPKT_PKfPKiPfiiiiiiiiiiiiiiii.private_seg_size, 0+max(.L_ZL14no_device_codePKciS0_iS0_.private_seg_size)
	.set _ZL9mul_mat_fI15__hip_bfloat162Li32ELi3ELi3ELb1EEvPKT_PKfPKiPfiiiiiiiiiiiiiiii.uses_vcc, or(1, .L_ZL14no_device_codePKciS0_iS0_.uses_vcc)
	.set _ZL9mul_mat_fI15__hip_bfloat162Li32ELi3ELi3ELb1EEvPKT_PKfPKiPfiiiiiiiiiiiiiiii.uses_flat_scratch, or(0, .L_ZL14no_device_codePKciS0_iS0_.uses_flat_scratch)
	.set _ZL9mul_mat_fI15__hip_bfloat162Li32ELi3ELi3ELb1EEvPKT_PKfPKiPfiiiiiiiiiiiiiiii.has_dyn_sized_stack, or(0, .L_ZL14no_device_codePKciS0_iS0_.has_dyn_sized_stack)
	.set _ZL9mul_mat_fI15__hip_bfloat162Li32ELi3ELi3ELb1EEvPKT_PKfPKiPfiiiiiiiiiiiiiiii.has_recursion, or(0, .L_ZL14no_device_codePKciS0_iS0_.has_recursion)
	.set _ZL9mul_mat_fI15__hip_bfloat162Li32ELi3ELi3ELb1EEvPKT_PKfPKiPfiiiiiiiiiiiiiiii.has_indirect_call, or(0, .L_ZL14no_device_codePKciS0_iS0_.has_indirect_call)
	.section	.AMDGPU.csdata,"",@progbits
; Kernel info:
; codeLenInByte = 72
; TotalNumSgprs: 40
; NumVgprs: 38
; NumAgprs: 0
; TotalNumVgprs: 38
; ScratchSize: 16
; MemoryBound: 0
; FloatMode: 240
; IeeeMode: 1
; LDSByteSize: 0 bytes/workgroup (compile time only)
; SGPRBlocks: 4
; VGPRBlocks: 4
; NumSGPRsForWavesPerEU: 40
; NumVGPRsForWavesPerEU: 38
; AccumOffset: 40
; Occupancy: 8
; WaveLimiterHint : 1
; COMPUTE_PGM_RSRC2:SCRATCH_EN: 1
; COMPUTE_PGM_RSRC2:USER_SGPR: 2
; COMPUTE_PGM_RSRC2:TRAP_HANDLER: 0
; COMPUTE_PGM_RSRC2:TGID_X_EN: 1
; COMPUTE_PGM_RSRC2:TGID_Y_EN: 0
; COMPUTE_PGM_RSRC2:TGID_Z_EN: 0
; COMPUTE_PGM_RSRC2:TIDIG_COMP_CNT: 0
; COMPUTE_PGM_RSRC3_GFX90A:ACCUM_OFFSET: 9
; COMPUTE_PGM_RSRC3_GFX90A:TG_SPLIT: 0
	.section	.text._ZL9mul_mat_fI15__hip_bfloat162Li32ELi3ELi3ELb0EEvPKT_PKfPKiPfiiiiiiiiiiiiiiii,"axG",@progbits,_ZL9mul_mat_fI15__hip_bfloat162Li32ELi3ELi3ELb0EEvPKT_PKfPKiPfiiiiiiiiiiiiiiii,comdat
	.globl	_ZL9mul_mat_fI15__hip_bfloat162Li32ELi3ELi3ELb0EEvPKT_PKfPKiPfiiiiiiiiiiiiiiii ; -- Begin function _ZL9mul_mat_fI15__hip_bfloat162Li32ELi3ELi3ELb0EEvPKT_PKfPKiPfiiiiiiiiiiiiiiii
	.p2align	8
	.type	_ZL9mul_mat_fI15__hip_bfloat162Li32ELi3ELi3ELb0EEvPKT_PKfPKiPfiiiiiiiiiiiiiiii,@function
_ZL9mul_mat_fI15__hip_bfloat162Li32ELi3ELi3ELb0EEvPKT_PKfPKiPfiiiiiiiiiiiiiiii: ; @_ZL9mul_mat_fI15__hip_bfloat162Li32ELi3ELi3ELb0EEvPKT_PKfPKiPfiiiiiiiiiiiiiiii
; %bb.0:
	s_add_u32 s8, s0, 0x60
	s_addc_u32 s9, s1, 0
	s_getpc_b64 s[0:1]
	s_add_u32 s0, s0, __FUNCTION__._ZL9mul_mat_fIfLi32ELi3ELi1ELb1EEvPKT_PKfPKiPfiiiiiiiiiiiiiiii@rel32@lo+4
	s_addc_u32 s1, s1, __FUNCTION__._ZL9mul_mat_fIfLi32ELi3ELi1ELb1EEvPKT_PKfPKiPfiiiiiiiiiiiiiiii@rel32@hi+12
	s_getpc_b64 s[2:3]
	s_add_u32 s2, s2, _ZL14no_device_codePKciS0_iS0_@rel32@lo+4
	s_addc_u32 s3, s3, _ZL14no_device_codePKciS0_iS0_@rel32@hi+12
	v_mov_b32_e32 v0, 64
	v_mov_b32_e32 v1, s0
	;; [unrolled: 1-line block ×3, first 2 shown]
	s_mov_b32 s32, 0
	s_swappc_b64 s[30:31], s[2:3]
	.section	.rodata,"a",@progbits
	.p2align	6, 0x0
	.amdhsa_kernel _ZL9mul_mat_fI15__hip_bfloat162Li32ELi3ELi3ELb0EEvPKT_PKfPKiPfiiiiiiiiiiiiiiii
		.amdhsa_group_segment_fixed_size 0
		.amdhsa_private_segment_fixed_size 16
		.amdhsa_kernarg_size 352
		.amdhsa_user_sgpr_count 2
		.amdhsa_user_sgpr_dispatch_ptr 0
		.amdhsa_user_sgpr_queue_ptr 0
		.amdhsa_user_sgpr_kernarg_segment_ptr 1
		.amdhsa_user_sgpr_dispatch_id 0
		.amdhsa_user_sgpr_kernarg_preload_length 0
		.amdhsa_user_sgpr_kernarg_preload_offset 0
		.amdhsa_user_sgpr_private_segment_size 0
		.amdhsa_uses_dynamic_stack 0
		.amdhsa_enable_private_segment 1
		.amdhsa_system_sgpr_workgroup_id_x 1
		.amdhsa_system_sgpr_workgroup_id_y 0
		.amdhsa_system_sgpr_workgroup_id_z 0
		.amdhsa_system_sgpr_workgroup_info 0
		.amdhsa_system_vgpr_workitem_id 0
		.amdhsa_next_free_vgpr 38
		.amdhsa_next_free_sgpr 34
		.amdhsa_accum_offset 40
		.amdhsa_reserve_vcc 1
		.amdhsa_float_round_mode_32 0
		.amdhsa_float_round_mode_16_64 0
		.amdhsa_float_denorm_mode_32 3
		.amdhsa_float_denorm_mode_16_64 3
		.amdhsa_dx10_clamp 1
		.amdhsa_ieee_mode 1
		.amdhsa_fp16_overflow 0
		.amdhsa_tg_split 0
		.amdhsa_exception_fp_ieee_invalid_op 0
		.amdhsa_exception_fp_denorm_src 0
		.amdhsa_exception_fp_ieee_div_zero 0
		.amdhsa_exception_fp_ieee_overflow 0
		.amdhsa_exception_fp_ieee_underflow 0
		.amdhsa_exception_fp_ieee_inexact 0
		.amdhsa_exception_int_div_zero 0
	.end_amdhsa_kernel
	.section	.text._ZL9mul_mat_fI15__hip_bfloat162Li32ELi3ELi3ELb0EEvPKT_PKfPKiPfiiiiiiiiiiiiiiii,"axG",@progbits,_ZL9mul_mat_fI15__hip_bfloat162Li32ELi3ELi3ELb0EEvPKT_PKfPKiPfiiiiiiiiiiiiiiii,comdat
.Lfunc_end59:
	.size	_ZL9mul_mat_fI15__hip_bfloat162Li32ELi3ELi3ELb0EEvPKT_PKfPKiPfiiiiiiiiiiiiiiii, .Lfunc_end59-_ZL9mul_mat_fI15__hip_bfloat162Li32ELi3ELi3ELb0EEvPKT_PKfPKiPfiiiiiiiiiiiiiiii
                                        ; -- End function
	.set _ZL9mul_mat_fI15__hip_bfloat162Li32ELi3ELi3ELb0EEvPKT_PKfPKiPfiiiiiiiiiiiiiiii.num_vgpr, max(3, .L_ZL14no_device_codePKciS0_iS0_.num_vgpr)
	.set _ZL9mul_mat_fI15__hip_bfloat162Li32ELi3ELi3ELb0EEvPKT_PKfPKiPfiiiiiiiiiiiiiiii.num_agpr, max(0, .L_ZL14no_device_codePKciS0_iS0_.num_agpr)
	.set _ZL9mul_mat_fI15__hip_bfloat162Li32ELi3ELi3ELb0EEvPKT_PKfPKiPfiiiiiiiiiiiiiiii.numbered_sgpr, max(33, .L_ZL14no_device_codePKciS0_iS0_.numbered_sgpr)
	.set _ZL9mul_mat_fI15__hip_bfloat162Li32ELi3ELi3ELb0EEvPKT_PKfPKiPfiiiiiiiiiiiiiiii.num_named_barrier, max(0, .L_ZL14no_device_codePKciS0_iS0_.num_named_barrier)
	.set _ZL9mul_mat_fI15__hip_bfloat162Li32ELi3ELi3ELb0EEvPKT_PKfPKiPfiiiiiiiiiiiiiiii.private_seg_size, 0+max(.L_ZL14no_device_codePKciS0_iS0_.private_seg_size)
	.set _ZL9mul_mat_fI15__hip_bfloat162Li32ELi3ELi3ELb0EEvPKT_PKfPKiPfiiiiiiiiiiiiiiii.uses_vcc, or(1, .L_ZL14no_device_codePKciS0_iS0_.uses_vcc)
	.set _ZL9mul_mat_fI15__hip_bfloat162Li32ELi3ELi3ELb0EEvPKT_PKfPKiPfiiiiiiiiiiiiiiii.uses_flat_scratch, or(0, .L_ZL14no_device_codePKciS0_iS0_.uses_flat_scratch)
	.set _ZL9mul_mat_fI15__hip_bfloat162Li32ELi3ELi3ELb0EEvPKT_PKfPKiPfiiiiiiiiiiiiiiii.has_dyn_sized_stack, or(0, .L_ZL14no_device_codePKciS0_iS0_.has_dyn_sized_stack)
	.set _ZL9mul_mat_fI15__hip_bfloat162Li32ELi3ELi3ELb0EEvPKT_PKfPKiPfiiiiiiiiiiiiiiii.has_recursion, or(0, .L_ZL14no_device_codePKciS0_iS0_.has_recursion)
	.set _ZL9mul_mat_fI15__hip_bfloat162Li32ELi3ELi3ELb0EEvPKT_PKfPKiPfiiiiiiiiiiiiiiii.has_indirect_call, or(0, .L_ZL14no_device_codePKciS0_iS0_.has_indirect_call)
	.section	.AMDGPU.csdata,"",@progbits
; Kernel info:
; codeLenInByte = 72
; TotalNumSgprs: 40
; NumVgprs: 38
; NumAgprs: 0
; TotalNumVgprs: 38
; ScratchSize: 16
; MemoryBound: 0
; FloatMode: 240
; IeeeMode: 1
; LDSByteSize: 0 bytes/workgroup (compile time only)
; SGPRBlocks: 4
; VGPRBlocks: 4
; NumSGPRsForWavesPerEU: 40
; NumVGPRsForWavesPerEU: 38
; AccumOffset: 40
; Occupancy: 8
; WaveLimiterHint : 1
; COMPUTE_PGM_RSRC2:SCRATCH_EN: 1
; COMPUTE_PGM_RSRC2:USER_SGPR: 2
; COMPUTE_PGM_RSRC2:TRAP_HANDLER: 0
; COMPUTE_PGM_RSRC2:TGID_X_EN: 1
; COMPUTE_PGM_RSRC2:TGID_Y_EN: 0
; COMPUTE_PGM_RSRC2:TGID_Z_EN: 0
; COMPUTE_PGM_RSRC2:TIDIG_COMP_CNT: 0
; COMPUTE_PGM_RSRC3_GFX90A:ACCUM_OFFSET: 9
; COMPUTE_PGM_RSRC3_GFX90A:TG_SPLIT: 0
	.section	.text._ZL13mul_mat_f_idsI15__hip_bfloat162Li32ELi3ELi4EEvPKT_PKfPKiS7_S7_Pfiiiiiiiiiiiiii15HIP_vector_typeIjLj3EESA_,"axG",@progbits,_ZL13mul_mat_f_idsI15__hip_bfloat162Li32ELi3ELi4EEvPKT_PKfPKiS7_S7_Pfiiiiiiiiiiiiii15HIP_vector_typeIjLj3EESA_,comdat
	.globl	_ZL13mul_mat_f_idsI15__hip_bfloat162Li32ELi3ELi4EEvPKT_PKfPKiS7_S7_Pfiiiiiiiiiiiiii15HIP_vector_typeIjLj3EESA_ ; -- Begin function _ZL13mul_mat_f_idsI15__hip_bfloat162Li32ELi3ELi4EEvPKT_PKfPKiS7_S7_Pfiiiiiiiiiiiiii15HIP_vector_typeIjLj3EESA_
	.p2align	8
	.type	_ZL13mul_mat_f_idsI15__hip_bfloat162Li32ELi3ELi4EEvPKT_PKfPKiS7_S7_Pfiiiiiiiiiiiiii15HIP_vector_typeIjLj3EESA_,@function
_ZL13mul_mat_f_idsI15__hip_bfloat162Li32ELi3ELi4EEvPKT_PKfPKiS7_S7_Pfiiiiiiiiiiiiii15HIP_vector_typeIjLj3EESA_: ; @_ZL13mul_mat_f_idsI15__hip_bfloat162Li32ELi3ELi4EEvPKT_PKfPKiS7_S7_Pfiiiiiiiiiiiiii15HIP_vector_typeIjLj3EESA_
; %bb.0:
	s_add_u32 s8, s0, 0x80
	s_addc_u32 s9, s1, 0
	s_getpc_b64 s[0:1]
	s_add_u32 s0, s0, __FUNCTION__._ZL13mul_mat_f_idsIfLi32ELi3ELi1EEvPKT_PKfPKiS6_S6_Pfiiiiiiiiiiiiii15HIP_vector_typeIjLj3EES9_@rel32@lo+4
	s_addc_u32 s1, s1, __FUNCTION__._ZL13mul_mat_f_idsIfLi32ELi3ELi1EEvPKT_PKfPKiS6_S6_Pfiiiiiiiiiiiiii15HIP_vector_typeIjLj3EES9_@rel32@hi+12
	s_getpc_b64 s[2:3]
	s_add_u32 s2, s2, _ZL14no_device_codePKciS0_iS0_@rel32@lo+4
	s_addc_u32 s3, s3, _ZL14no_device_codePKciS0_iS0_@rel32@hi+12
	v_mov_b32_e32 v0, 0x13b
	v_mov_b32_e32 v1, s0
	;; [unrolled: 1-line block ×3, first 2 shown]
	s_mov_b32 s32, 0
	s_swappc_b64 s[30:31], s[2:3]
	.section	.rodata,"a",@progbits
	.p2align	6, 0x0
	.amdhsa_kernel _ZL13mul_mat_f_idsI15__hip_bfloat162Li32ELi3ELi4EEvPKT_PKfPKiS7_S7_Pfiiiiiiiiiiiiii15HIP_vector_typeIjLj3EESA_
		.amdhsa_group_segment_fixed_size 0
		.amdhsa_private_segment_fixed_size 16
		.amdhsa_kernarg_size 384
		.amdhsa_user_sgpr_count 2
		.amdhsa_user_sgpr_dispatch_ptr 0
		.amdhsa_user_sgpr_queue_ptr 0
		.amdhsa_user_sgpr_kernarg_segment_ptr 1
		.amdhsa_user_sgpr_dispatch_id 0
		.amdhsa_user_sgpr_kernarg_preload_length 0
		.amdhsa_user_sgpr_kernarg_preload_offset 0
		.amdhsa_user_sgpr_private_segment_size 0
		.amdhsa_uses_dynamic_stack 0
		.amdhsa_enable_private_segment 1
		.amdhsa_system_sgpr_workgroup_id_x 1
		.amdhsa_system_sgpr_workgroup_id_y 0
		.amdhsa_system_sgpr_workgroup_id_z 0
		.amdhsa_system_sgpr_workgroup_info 0
		.amdhsa_system_vgpr_workitem_id 0
		.amdhsa_next_free_vgpr 38
		.amdhsa_next_free_sgpr 34
		.amdhsa_accum_offset 40
		.amdhsa_reserve_vcc 1
		.amdhsa_float_round_mode_32 0
		.amdhsa_float_round_mode_16_64 0
		.amdhsa_float_denorm_mode_32 3
		.amdhsa_float_denorm_mode_16_64 3
		.amdhsa_dx10_clamp 1
		.amdhsa_ieee_mode 1
		.amdhsa_fp16_overflow 0
		.amdhsa_tg_split 0
		.amdhsa_exception_fp_ieee_invalid_op 0
		.amdhsa_exception_fp_denorm_src 0
		.amdhsa_exception_fp_ieee_div_zero 0
		.amdhsa_exception_fp_ieee_overflow 0
		.amdhsa_exception_fp_ieee_underflow 0
		.amdhsa_exception_fp_ieee_inexact 0
		.amdhsa_exception_int_div_zero 0
	.end_amdhsa_kernel
	.section	.text._ZL13mul_mat_f_idsI15__hip_bfloat162Li32ELi3ELi4EEvPKT_PKfPKiS7_S7_Pfiiiiiiiiiiiiii15HIP_vector_typeIjLj3EESA_,"axG",@progbits,_ZL13mul_mat_f_idsI15__hip_bfloat162Li32ELi3ELi4EEvPKT_PKfPKiS7_S7_Pfiiiiiiiiiiiiii15HIP_vector_typeIjLj3EESA_,comdat
.Lfunc_end60:
	.size	_ZL13mul_mat_f_idsI15__hip_bfloat162Li32ELi3ELi4EEvPKT_PKfPKiS7_S7_Pfiiiiiiiiiiiiii15HIP_vector_typeIjLj3EESA_, .Lfunc_end60-_ZL13mul_mat_f_idsI15__hip_bfloat162Li32ELi3ELi4EEvPKT_PKfPKiS7_S7_Pfiiiiiiiiiiiiii15HIP_vector_typeIjLj3EESA_
                                        ; -- End function
	.set _ZL13mul_mat_f_idsI15__hip_bfloat162Li32ELi3ELi4EEvPKT_PKfPKiS7_S7_Pfiiiiiiiiiiiiii15HIP_vector_typeIjLj3EESA_.num_vgpr, max(3, .L_ZL14no_device_codePKciS0_iS0_.num_vgpr)
	.set _ZL13mul_mat_f_idsI15__hip_bfloat162Li32ELi3ELi4EEvPKT_PKfPKiS7_S7_Pfiiiiiiiiiiiiii15HIP_vector_typeIjLj3EESA_.num_agpr, max(0, .L_ZL14no_device_codePKciS0_iS0_.num_agpr)
	.set _ZL13mul_mat_f_idsI15__hip_bfloat162Li32ELi3ELi4EEvPKT_PKfPKiS7_S7_Pfiiiiiiiiiiiiii15HIP_vector_typeIjLj3EESA_.numbered_sgpr, max(33, .L_ZL14no_device_codePKciS0_iS0_.numbered_sgpr)
	.set _ZL13mul_mat_f_idsI15__hip_bfloat162Li32ELi3ELi4EEvPKT_PKfPKiS7_S7_Pfiiiiiiiiiiiiii15HIP_vector_typeIjLj3EESA_.num_named_barrier, max(0, .L_ZL14no_device_codePKciS0_iS0_.num_named_barrier)
	.set _ZL13mul_mat_f_idsI15__hip_bfloat162Li32ELi3ELi4EEvPKT_PKfPKiS7_S7_Pfiiiiiiiiiiiiii15HIP_vector_typeIjLj3EESA_.private_seg_size, 0+max(.L_ZL14no_device_codePKciS0_iS0_.private_seg_size)
	.set _ZL13mul_mat_f_idsI15__hip_bfloat162Li32ELi3ELi4EEvPKT_PKfPKiS7_S7_Pfiiiiiiiiiiiiii15HIP_vector_typeIjLj3EESA_.uses_vcc, or(1, .L_ZL14no_device_codePKciS0_iS0_.uses_vcc)
	.set _ZL13mul_mat_f_idsI15__hip_bfloat162Li32ELi3ELi4EEvPKT_PKfPKiS7_S7_Pfiiiiiiiiiiiiii15HIP_vector_typeIjLj3EESA_.uses_flat_scratch, or(0, .L_ZL14no_device_codePKciS0_iS0_.uses_flat_scratch)
	.set _ZL13mul_mat_f_idsI15__hip_bfloat162Li32ELi3ELi4EEvPKT_PKfPKiS7_S7_Pfiiiiiiiiiiiiii15HIP_vector_typeIjLj3EESA_.has_dyn_sized_stack, or(0, .L_ZL14no_device_codePKciS0_iS0_.has_dyn_sized_stack)
	.set _ZL13mul_mat_f_idsI15__hip_bfloat162Li32ELi3ELi4EEvPKT_PKfPKiS7_S7_Pfiiiiiiiiiiiiii15HIP_vector_typeIjLj3EESA_.has_recursion, or(0, .L_ZL14no_device_codePKciS0_iS0_.has_recursion)
	.set _ZL13mul_mat_f_idsI15__hip_bfloat162Li32ELi3ELi4EEvPKT_PKfPKiS7_S7_Pfiiiiiiiiiiiiii15HIP_vector_typeIjLj3EESA_.has_indirect_call, or(0, .L_ZL14no_device_codePKciS0_iS0_.has_indirect_call)
	.section	.AMDGPU.csdata,"",@progbits
; Kernel info:
; codeLenInByte = 76
; TotalNumSgprs: 40
; NumVgprs: 38
; NumAgprs: 0
; TotalNumVgprs: 38
; ScratchSize: 16
; MemoryBound: 0
; FloatMode: 240
; IeeeMode: 1
; LDSByteSize: 0 bytes/workgroup (compile time only)
; SGPRBlocks: 4
; VGPRBlocks: 4
; NumSGPRsForWavesPerEU: 40
; NumVGPRsForWavesPerEU: 38
; AccumOffset: 40
; Occupancy: 8
; WaveLimiterHint : 1
; COMPUTE_PGM_RSRC2:SCRATCH_EN: 1
; COMPUTE_PGM_RSRC2:USER_SGPR: 2
; COMPUTE_PGM_RSRC2:TRAP_HANDLER: 0
; COMPUTE_PGM_RSRC2:TGID_X_EN: 1
; COMPUTE_PGM_RSRC2:TGID_Y_EN: 0
; COMPUTE_PGM_RSRC2:TGID_Z_EN: 0
; COMPUTE_PGM_RSRC2:TIDIG_COMP_CNT: 0
; COMPUTE_PGM_RSRC3_GFX90A:ACCUM_OFFSET: 9
; COMPUTE_PGM_RSRC3_GFX90A:TG_SPLIT: 0
	.section	.text._ZL9mul_mat_fI15__hip_bfloat162Li32ELi3ELi4ELb1EEvPKT_PKfPKiPfiiiiiiiiiiiiiiii,"axG",@progbits,_ZL9mul_mat_fI15__hip_bfloat162Li32ELi3ELi4ELb1EEvPKT_PKfPKiPfiiiiiiiiiiiiiiii,comdat
	.globl	_ZL9mul_mat_fI15__hip_bfloat162Li32ELi3ELi4ELb1EEvPKT_PKfPKiPfiiiiiiiiiiiiiiii ; -- Begin function _ZL9mul_mat_fI15__hip_bfloat162Li32ELi3ELi4ELb1EEvPKT_PKfPKiPfiiiiiiiiiiiiiiii
	.p2align	8
	.type	_ZL9mul_mat_fI15__hip_bfloat162Li32ELi3ELi4ELb1EEvPKT_PKfPKiPfiiiiiiiiiiiiiiii,@function
_ZL9mul_mat_fI15__hip_bfloat162Li32ELi3ELi4ELb1EEvPKT_PKfPKiPfiiiiiiiiiiiiiiii: ; @_ZL9mul_mat_fI15__hip_bfloat162Li32ELi3ELi4ELb1EEvPKT_PKfPKiPfiiiiiiiiiiiiiiii
; %bb.0:
	s_add_u32 s8, s0, 0x60
	s_addc_u32 s9, s1, 0
	s_getpc_b64 s[0:1]
	s_add_u32 s0, s0, __FUNCTION__._ZL9mul_mat_fIfLi32ELi3ELi1ELb1EEvPKT_PKfPKiPfiiiiiiiiiiiiiiii@rel32@lo+4
	s_addc_u32 s1, s1, __FUNCTION__._ZL9mul_mat_fIfLi32ELi3ELi1ELb1EEvPKT_PKfPKiPfiiiiiiiiiiiiiiii@rel32@hi+12
	s_getpc_b64 s[2:3]
	s_add_u32 s2, s2, _ZL14no_device_codePKciS0_iS0_@rel32@lo+4
	s_addc_u32 s3, s3, _ZL14no_device_codePKciS0_iS0_@rel32@hi+12
	v_mov_b32_e32 v0, 64
	v_mov_b32_e32 v1, s0
	;; [unrolled: 1-line block ×3, first 2 shown]
	s_mov_b32 s32, 0
	s_swappc_b64 s[30:31], s[2:3]
	.section	.rodata,"a",@progbits
	.p2align	6, 0x0
	.amdhsa_kernel _ZL9mul_mat_fI15__hip_bfloat162Li32ELi3ELi4ELb1EEvPKT_PKfPKiPfiiiiiiiiiiiiiiii
		.amdhsa_group_segment_fixed_size 0
		.amdhsa_private_segment_fixed_size 16
		.amdhsa_kernarg_size 352
		.amdhsa_user_sgpr_count 2
		.amdhsa_user_sgpr_dispatch_ptr 0
		.amdhsa_user_sgpr_queue_ptr 0
		.amdhsa_user_sgpr_kernarg_segment_ptr 1
		.amdhsa_user_sgpr_dispatch_id 0
		.amdhsa_user_sgpr_kernarg_preload_length 0
		.amdhsa_user_sgpr_kernarg_preload_offset 0
		.amdhsa_user_sgpr_private_segment_size 0
		.amdhsa_uses_dynamic_stack 0
		.amdhsa_enable_private_segment 1
		.amdhsa_system_sgpr_workgroup_id_x 1
		.amdhsa_system_sgpr_workgroup_id_y 0
		.amdhsa_system_sgpr_workgroup_id_z 0
		.amdhsa_system_sgpr_workgroup_info 0
		.amdhsa_system_vgpr_workitem_id 0
		.amdhsa_next_free_vgpr 38
		.amdhsa_next_free_sgpr 34
		.amdhsa_accum_offset 40
		.amdhsa_reserve_vcc 1
		.amdhsa_float_round_mode_32 0
		.amdhsa_float_round_mode_16_64 0
		.amdhsa_float_denorm_mode_32 3
		.amdhsa_float_denorm_mode_16_64 3
		.amdhsa_dx10_clamp 1
		.amdhsa_ieee_mode 1
		.amdhsa_fp16_overflow 0
		.amdhsa_tg_split 0
		.amdhsa_exception_fp_ieee_invalid_op 0
		.amdhsa_exception_fp_denorm_src 0
		.amdhsa_exception_fp_ieee_div_zero 0
		.amdhsa_exception_fp_ieee_overflow 0
		.amdhsa_exception_fp_ieee_underflow 0
		.amdhsa_exception_fp_ieee_inexact 0
		.amdhsa_exception_int_div_zero 0
	.end_amdhsa_kernel
	.section	.text._ZL9mul_mat_fI15__hip_bfloat162Li32ELi3ELi4ELb1EEvPKT_PKfPKiPfiiiiiiiiiiiiiiii,"axG",@progbits,_ZL9mul_mat_fI15__hip_bfloat162Li32ELi3ELi4ELb1EEvPKT_PKfPKiPfiiiiiiiiiiiiiiii,comdat
.Lfunc_end61:
	.size	_ZL9mul_mat_fI15__hip_bfloat162Li32ELi3ELi4ELb1EEvPKT_PKfPKiPfiiiiiiiiiiiiiiii, .Lfunc_end61-_ZL9mul_mat_fI15__hip_bfloat162Li32ELi3ELi4ELb1EEvPKT_PKfPKiPfiiiiiiiiiiiiiiii
                                        ; -- End function
	.set _ZL9mul_mat_fI15__hip_bfloat162Li32ELi3ELi4ELb1EEvPKT_PKfPKiPfiiiiiiiiiiiiiiii.num_vgpr, max(3, .L_ZL14no_device_codePKciS0_iS0_.num_vgpr)
	.set _ZL9mul_mat_fI15__hip_bfloat162Li32ELi3ELi4ELb1EEvPKT_PKfPKiPfiiiiiiiiiiiiiiii.num_agpr, max(0, .L_ZL14no_device_codePKciS0_iS0_.num_agpr)
	.set _ZL9mul_mat_fI15__hip_bfloat162Li32ELi3ELi4ELb1EEvPKT_PKfPKiPfiiiiiiiiiiiiiiii.numbered_sgpr, max(33, .L_ZL14no_device_codePKciS0_iS0_.numbered_sgpr)
	.set _ZL9mul_mat_fI15__hip_bfloat162Li32ELi3ELi4ELb1EEvPKT_PKfPKiPfiiiiiiiiiiiiiiii.num_named_barrier, max(0, .L_ZL14no_device_codePKciS0_iS0_.num_named_barrier)
	.set _ZL9mul_mat_fI15__hip_bfloat162Li32ELi3ELi4ELb1EEvPKT_PKfPKiPfiiiiiiiiiiiiiiii.private_seg_size, 0+max(.L_ZL14no_device_codePKciS0_iS0_.private_seg_size)
	.set _ZL9mul_mat_fI15__hip_bfloat162Li32ELi3ELi4ELb1EEvPKT_PKfPKiPfiiiiiiiiiiiiiiii.uses_vcc, or(1, .L_ZL14no_device_codePKciS0_iS0_.uses_vcc)
	.set _ZL9mul_mat_fI15__hip_bfloat162Li32ELi3ELi4ELb1EEvPKT_PKfPKiPfiiiiiiiiiiiiiiii.uses_flat_scratch, or(0, .L_ZL14no_device_codePKciS0_iS0_.uses_flat_scratch)
	.set _ZL9mul_mat_fI15__hip_bfloat162Li32ELi3ELi4ELb1EEvPKT_PKfPKiPfiiiiiiiiiiiiiiii.has_dyn_sized_stack, or(0, .L_ZL14no_device_codePKciS0_iS0_.has_dyn_sized_stack)
	.set _ZL9mul_mat_fI15__hip_bfloat162Li32ELi3ELi4ELb1EEvPKT_PKfPKiPfiiiiiiiiiiiiiiii.has_recursion, or(0, .L_ZL14no_device_codePKciS0_iS0_.has_recursion)
	.set _ZL9mul_mat_fI15__hip_bfloat162Li32ELi3ELi4ELb1EEvPKT_PKfPKiPfiiiiiiiiiiiiiiii.has_indirect_call, or(0, .L_ZL14no_device_codePKciS0_iS0_.has_indirect_call)
	.section	.AMDGPU.csdata,"",@progbits
; Kernel info:
; codeLenInByte = 72
; TotalNumSgprs: 40
; NumVgprs: 38
; NumAgprs: 0
; TotalNumVgprs: 38
; ScratchSize: 16
; MemoryBound: 0
; FloatMode: 240
; IeeeMode: 1
; LDSByteSize: 0 bytes/workgroup (compile time only)
; SGPRBlocks: 4
; VGPRBlocks: 4
; NumSGPRsForWavesPerEU: 40
; NumVGPRsForWavesPerEU: 38
; AccumOffset: 40
; Occupancy: 8
; WaveLimiterHint : 1
; COMPUTE_PGM_RSRC2:SCRATCH_EN: 1
; COMPUTE_PGM_RSRC2:USER_SGPR: 2
; COMPUTE_PGM_RSRC2:TRAP_HANDLER: 0
; COMPUTE_PGM_RSRC2:TGID_X_EN: 1
; COMPUTE_PGM_RSRC2:TGID_Y_EN: 0
; COMPUTE_PGM_RSRC2:TGID_Z_EN: 0
; COMPUTE_PGM_RSRC2:TIDIG_COMP_CNT: 0
; COMPUTE_PGM_RSRC3_GFX90A:ACCUM_OFFSET: 9
; COMPUTE_PGM_RSRC3_GFX90A:TG_SPLIT: 0
	.section	.text._ZL9mul_mat_fI15__hip_bfloat162Li32ELi3ELi4ELb0EEvPKT_PKfPKiPfiiiiiiiiiiiiiiii,"axG",@progbits,_ZL9mul_mat_fI15__hip_bfloat162Li32ELi3ELi4ELb0EEvPKT_PKfPKiPfiiiiiiiiiiiiiiii,comdat
	.globl	_ZL9mul_mat_fI15__hip_bfloat162Li32ELi3ELi4ELb0EEvPKT_PKfPKiPfiiiiiiiiiiiiiiii ; -- Begin function _ZL9mul_mat_fI15__hip_bfloat162Li32ELi3ELi4ELb0EEvPKT_PKfPKiPfiiiiiiiiiiiiiiii
	.p2align	8
	.type	_ZL9mul_mat_fI15__hip_bfloat162Li32ELi3ELi4ELb0EEvPKT_PKfPKiPfiiiiiiiiiiiiiiii,@function
_ZL9mul_mat_fI15__hip_bfloat162Li32ELi3ELi4ELb0EEvPKT_PKfPKiPfiiiiiiiiiiiiiiii: ; @_ZL9mul_mat_fI15__hip_bfloat162Li32ELi3ELi4ELb0EEvPKT_PKfPKiPfiiiiiiiiiiiiiiii
; %bb.0:
	s_add_u32 s8, s0, 0x60
	s_addc_u32 s9, s1, 0
	s_getpc_b64 s[0:1]
	s_add_u32 s0, s0, __FUNCTION__._ZL9mul_mat_fIfLi32ELi3ELi1ELb1EEvPKT_PKfPKiPfiiiiiiiiiiiiiiii@rel32@lo+4
	s_addc_u32 s1, s1, __FUNCTION__._ZL9mul_mat_fIfLi32ELi3ELi1ELb1EEvPKT_PKfPKiPfiiiiiiiiiiiiiiii@rel32@hi+12
	s_getpc_b64 s[2:3]
	s_add_u32 s2, s2, _ZL14no_device_codePKciS0_iS0_@rel32@lo+4
	s_addc_u32 s3, s3, _ZL14no_device_codePKciS0_iS0_@rel32@hi+12
	v_mov_b32_e32 v0, 64
	v_mov_b32_e32 v1, s0
	;; [unrolled: 1-line block ×3, first 2 shown]
	s_mov_b32 s32, 0
	s_swappc_b64 s[30:31], s[2:3]
	.section	.rodata,"a",@progbits
	.p2align	6, 0x0
	.amdhsa_kernel _ZL9mul_mat_fI15__hip_bfloat162Li32ELi3ELi4ELb0EEvPKT_PKfPKiPfiiiiiiiiiiiiiiii
		.amdhsa_group_segment_fixed_size 0
		.amdhsa_private_segment_fixed_size 16
		.amdhsa_kernarg_size 352
		.amdhsa_user_sgpr_count 2
		.amdhsa_user_sgpr_dispatch_ptr 0
		.amdhsa_user_sgpr_queue_ptr 0
		.amdhsa_user_sgpr_kernarg_segment_ptr 1
		.amdhsa_user_sgpr_dispatch_id 0
		.amdhsa_user_sgpr_kernarg_preload_length 0
		.amdhsa_user_sgpr_kernarg_preload_offset 0
		.amdhsa_user_sgpr_private_segment_size 0
		.amdhsa_uses_dynamic_stack 0
		.amdhsa_enable_private_segment 1
		.amdhsa_system_sgpr_workgroup_id_x 1
		.amdhsa_system_sgpr_workgroup_id_y 0
		.amdhsa_system_sgpr_workgroup_id_z 0
		.amdhsa_system_sgpr_workgroup_info 0
		.amdhsa_system_vgpr_workitem_id 0
		.amdhsa_next_free_vgpr 38
		.amdhsa_next_free_sgpr 34
		.amdhsa_accum_offset 40
		.amdhsa_reserve_vcc 1
		.amdhsa_float_round_mode_32 0
		.amdhsa_float_round_mode_16_64 0
		.amdhsa_float_denorm_mode_32 3
		.amdhsa_float_denorm_mode_16_64 3
		.amdhsa_dx10_clamp 1
		.amdhsa_ieee_mode 1
		.amdhsa_fp16_overflow 0
		.amdhsa_tg_split 0
		.amdhsa_exception_fp_ieee_invalid_op 0
		.amdhsa_exception_fp_denorm_src 0
		.amdhsa_exception_fp_ieee_div_zero 0
		.amdhsa_exception_fp_ieee_overflow 0
		.amdhsa_exception_fp_ieee_underflow 0
		.amdhsa_exception_fp_ieee_inexact 0
		.amdhsa_exception_int_div_zero 0
	.end_amdhsa_kernel
	.section	.text._ZL9mul_mat_fI15__hip_bfloat162Li32ELi3ELi4ELb0EEvPKT_PKfPKiPfiiiiiiiiiiiiiiii,"axG",@progbits,_ZL9mul_mat_fI15__hip_bfloat162Li32ELi3ELi4ELb0EEvPKT_PKfPKiPfiiiiiiiiiiiiiiii,comdat
.Lfunc_end62:
	.size	_ZL9mul_mat_fI15__hip_bfloat162Li32ELi3ELi4ELb0EEvPKT_PKfPKiPfiiiiiiiiiiiiiiii, .Lfunc_end62-_ZL9mul_mat_fI15__hip_bfloat162Li32ELi3ELi4ELb0EEvPKT_PKfPKiPfiiiiiiiiiiiiiiii
                                        ; -- End function
	.set _ZL9mul_mat_fI15__hip_bfloat162Li32ELi3ELi4ELb0EEvPKT_PKfPKiPfiiiiiiiiiiiiiiii.num_vgpr, max(3, .L_ZL14no_device_codePKciS0_iS0_.num_vgpr)
	.set _ZL9mul_mat_fI15__hip_bfloat162Li32ELi3ELi4ELb0EEvPKT_PKfPKiPfiiiiiiiiiiiiiiii.num_agpr, max(0, .L_ZL14no_device_codePKciS0_iS0_.num_agpr)
	.set _ZL9mul_mat_fI15__hip_bfloat162Li32ELi3ELi4ELb0EEvPKT_PKfPKiPfiiiiiiiiiiiiiiii.numbered_sgpr, max(33, .L_ZL14no_device_codePKciS0_iS0_.numbered_sgpr)
	.set _ZL9mul_mat_fI15__hip_bfloat162Li32ELi3ELi4ELb0EEvPKT_PKfPKiPfiiiiiiiiiiiiiiii.num_named_barrier, max(0, .L_ZL14no_device_codePKciS0_iS0_.num_named_barrier)
	.set _ZL9mul_mat_fI15__hip_bfloat162Li32ELi3ELi4ELb0EEvPKT_PKfPKiPfiiiiiiiiiiiiiiii.private_seg_size, 0+max(.L_ZL14no_device_codePKciS0_iS0_.private_seg_size)
	.set _ZL9mul_mat_fI15__hip_bfloat162Li32ELi3ELi4ELb0EEvPKT_PKfPKiPfiiiiiiiiiiiiiiii.uses_vcc, or(1, .L_ZL14no_device_codePKciS0_iS0_.uses_vcc)
	.set _ZL9mul_mat_fI15__hip_bfloat162Li32ELi3ELi4ELb0EEvPKT_PKfPKiPfiiiiiiiiiiiiiiii.uses_flat_scratch, or(0, .L_ZL14no_device_codePKciS0_iS0_.uses_flat_scratch)
	.set _ZL9mul_mat_fI15__hip_bfloat162Li32ELi3ELi4ELb0EEvPKT_PKfPKiPfiiiiiiiiiiiiiiii.has_dyn_sized_stack, or(0, .L_ZL14no_device_codePKciS0_iS0_.has_dyn_sized_stack)
	.set _ZL9mul_mat_fI15__hip_bfloat162Li32ELi3ELi4ELb0EEvPKT_PKfPKiPfiiiiiiiiiiiiiiii.has_recursion, or(0, .L_ZL14no_device_codePKciS0_iS0_.has_recursion)
	.set _ZL9mul_mat_fI15__hip_bfloat162Li32ELi3ELi4ELb0EEvPKT_PKfPKiPfiiiiiiiiiiiiiiii.has_indirect_call, or(0, .L_ZL14no_device_codePKciS0_iS0_.has_indirect_call)
	.section	.AMDGPU.csdata,"",@progbits
; Kernel info:
; codeLenInByte = 72
; TotalNumSgprs: 40
; NumVgprs: 38
; NumAgprs: 0
; TotalNumVgprs: 38
; ScratchSize: 16
; MemoryBound: 0
; FloatMode: 240
; IeeeMode: 1
; LDSByteSize: 0 bytes/workgroup (compile time only)
; SGPRBlocks: 4
; VGPRBlocks: 4
; NumSGPRsForWavesPerEU: 40
; NumVGPRsForWavesPerEU: 38
; AccumOffset: 40
; Occupancy: 8
; WaveLimiterHint : 1
; COMPUTE_PGM_RSRC2:SCRATCH_EN: 1
; COMPUTE_PGM_RSRC2:USER_SGPR: 2
; COMPUTE_PGM_RSRC2:TRAP_HANDLER: 0
; COMPUTE_PGM_RSRC2:TGID_X_EN: 1
; COMPUTE_PGM_RSRC2:TGID_Y_EN: 0
; COMPUTE_PGM_RSRC2:TGID_Z_EN: 0
; COMPUTE_PGM_RSRC2:TIDIG_COMP_CNT: 0
; COMPUTE_PGM_RSRC3_GFX90A:ACCUM_OFFSET: 9
; COMPUTE_PGM_RSRC3_GFX90A:TG_SPLIT: 0
	.section	.text._ZL13mul_mat_f_idsI15__hip_bfloat162Li32ELi3ELi5EEvPKT_PKfPKiS7_S7_Pfiiiiiiiiiiiiii15HIP_vector_typeIjLj3EESA_,"axG",@progbits,_ZL13mul_mat_f_idsI15__hip_bfloat162Li32ELi3ELi5EEvPKT_PKfPKiS7_S7_Pfiiiiiiiiiiiiii15HIP_vector_typeIjLj3EESA_,comdat
	.globl	_ZL13mul_mat_f_idsI15__hip_bfloat162Li32ELi3ELi5EEvPKT_PKfPKiS7_S7_Pfiiiiiiiiiiiiii15HIP_vector_typeIjLj3EESA_ ; -- Begin function _ZL13mul_mat_f_idsI15__hip_bfloat162Li32ELi3ELi5EEvPKT_PKfPKiS7_S7_Pfiiiiiiiiiiiiii15HIP_vector_typeIjLj3EESA_
	.p2align	8
	.type	_ZL13mul_mat_f_idsI15__hip_bfloat162Li32ELi3ELi5EEvPKT_PKfPKiS7_S7_Pfiiiiiiiiiiiiii15HIP_vector_typeIjLj3EESA_,@function
_ZL13mul_mat_f_idsI15__hip_bfloat162Li32ELi3ELi5EEvPKT_PKfPKiS7_S7_Pfiiiiiiiiiiiiii15HIP_vector_typeIjLj3EESA_: ; @_ZL13mul_mat_f_idsI15__hip_bfloat162Li32ELi3ELi5EEvPKT_PKfPKiS7_S7_Pfiiiiiiiiiiiiii15HIP_vector_typeIjLj3EESA_
; %bb.0:
	s_add_u32 s8, s0, 0x80
	s_addc_u32 s9, s1, 0
	s_getpc_b64 s[0:1]
	s_add_u32 s0, s0, __FUNCTION__._ZL13mul_mat_f_idsIfLi32ELi3ELi1EEvPKT_PKfPKiS6_S6_Pfiiiiiiiiiiiiii15HIP_vector_typeIjLj3EES9_@rel32@lo+4
	s_addc_u32 s1, s1, __FUNCTION__._ZL13mul_mat_f_idsIfLi32ELi3ELi1EEvPKT_PKfPKiS6_S6_Pfiiiiiiiiiiiiii15HIP_vector_typeIjLj3EES9_@rel32@hi+12
	s_getpc_b64 s[2:3]
	s_add_u32 s2, s2, _ZL14no_device_codePKciS0_iS0_@rel32@lo+4
	s_addc_u32 s3, s3, _ZL14no_device_codePKciS0_iS0_@rel32@hi+12
	v_mov_b32_e32 v0, 0x13b
	v_mov_b32_e32 v1, s0
	;; [unrolled: 1-line block ×3, first 2 shown]
	s_mov_b32 s32, 0
	s_swappc_b64 s[30:31], s[2:3]
	.section	.rodata,"a",@progbits
	.p2align	6, 0x0
	.amdhsa_kernel _ZL13mul_mat_f_idsI15__hip_bfloat162Li32ELi3ELi5EEvPKT_PKfPKiS7_S7_Pfiiiiiiiiiiiiii15HIP_vector_typeIjLj3EESA_
		.amdhsa_group_segment_fixed_size 0
		.amdhsa_private_segment_fixed_size 16
		.amdhsa_kernarg_size 384
		.amdhsa_user_sgpr_count 2
		.amdhsa_user_sgpr_dispatch_ptr 0
		.amdhsa_user_sgpr_queue_ptr 0
		.amdhsa_user_sgpr_kernarg_segment_ptr 1
		.amdhsa_user_sgpr_dispatch_id 0
		.amdhsa_user_sgpr_kernarg_preload_length 0
		.amdhsa_user_sgpr_kernarg_preload_offset 0
		.amdhsa_user_sgpr_private_segment_size 0
		.amdhsa_uses_dynamic_stack 0
		.amdhsa_enable_private_segment 1
		.amdhsa_system_sgpr_workgroup_id_x 1
		.amdhsa_system_sgpr_workgroup_id_y 0
		.amdhsa_system_sgpr_workgroup_id_z 0
		.amdhsa_system_sgpr_workgroup_info 0
		.amdhsa_system_vgpr_workitem_id 0
		.amdhsa_next_free_vgpr 38
		.amdhsa_next_free_sgpr 34
		.amdhsa_accum_offset 40
		.amdhsa_reserve_vcc 1
		.amdhsa_float_round_mode_32 0
		.amdhsa_float_round_mode_16_64 0
		.amdhsa_float_denorm_mode_32 3
		.amdhsa_float_denorm_mode_16_64 3
		.amdhsa_dx10_clamp 1
		.amdhsa_ieee_mode 1
		.amdhsa_fp16_overflow 0
		.amdhsa_tg_split 0
		.amdhsa_exception_fp_ieee_invalid_op 0
		.amdhsa_exception_fp_denorm_src 0
		.amdhsa_exception_fp_ieee_div_zero 0
		.amdhsa_exception_fp_ieee_overflow 0
		.amdhsa_exception_fp_ieee_underflow 0
		.amdhsa_exception_fp_ieee_inexact 0
		.amdhsa_exception_int_div_zero 0
	.end_amdhsa_kernel
	.section	.text._ZL13mul_mat_f_idsI15__hip_bfloat162Li32ELi3ELi5EEvPKT_PKfPKiS7_S7_Pfiiiiiiiiiiiiii15HIP_vector_typeIjLj3EESA_,"axG",@progbits,_ZL13mul_mat_f_idsI15__hip_bfloat162Li32ELi3ELi5EEvPKT_PKfPKiS7_S7_Pfiiiiiiiiiiiiii15HIP_vector_typeIjLj3EESA_,comdat
.Lfunc_end63:
	.size	_ZL13mul_mat_f_idsI15__hip_bfloat162Li32ELi3ELi5EEvPKT_PKfPKiS7_S7_Pfiiiiiiiiiiiiii15HIP_vector_typeIjLj3EESA_, .Lfunc_end63-_ZL13mul_mat_f_idsI15__hip_bfloat162Li32ELi3ELi5EEvPKT_PKfPKiS7_S7_Pfiiiiiiiiiiiiii15HIP_vector_typeIjLj3EESA_
                                        ; -- End function
	.set _ZL13mul_mat_f_idsI15__hip_bfloat162Li32ELi3ELi5EEvPKT_PKfPKiS7_S7_Pfiiiiiiiiiiiiii15HIP_vector_typeIjLj3EESA_.num_vgpr, max(3, .L_ZL14no_device_codePKciS0_iS0_.num_vgpr)
	.set _ZL13mul_mat_f_idsI15__hip_bfloat162Li32ELi3ELi5EEvPKT_PKfPKiS7_S7_Pfiiiiiiiiiiiiii15HIP_vector_typeIjLj3EESA_.num_agpr, max(0, .L_ZL14no_device_codePKciS0_iS0_.num_agpr)
	.set _ZL13mul_mat_f_idsI15__hip_bfloat162Li32ELi3ELi5EEvPKT_PKfPKiS7_S7_Pfiiiiiiiiiiiiii15HIP_vector_typeIjLj3EESA_.numbered_sgpr, max(33, .L_ZL14no_device_codePKciS0_iS0_.numbered_sgpr)
	.set _ZL13mul_mat_f_idsI15__hip_bfloat162Li32ELi3ELi5EEvPKT_PKfPKiS7_S7_Pfiiiiiiiiiiiiii15HIP_vector_typeIjLj3EESA_.num_named_barrier, max(0, .L_ZL14no_device_codePKciS0_iS0_.num_named_barrier)
	.set _ZL13mul_mat_f_idsI15__hip_bfloat162Li32ELi3ELi5EEvPKT_PKfPKiS7_S7_Pfiiiiiiiiiiiiii15HIP_vector_typeIjLj3EESA_.private_seg_size, 0+max(.L_ZL14no_device_codePKciS0_iS0_.private_seg_size)
	.set _ZL13mul_mat_f_idsI15__hip_bfloat162Li32ELi3ELi5EEvPKT_PKfPKiS7_S7_Pfiiiiiiiiiiiiii15HIP_vector_typeIjLj3EESA_.uses_vcc, or(1, .L_ZL14no_device_codePKciS0_iS0_.uses_vcc)
	.set _ZL13mul_mat_f_idsI15__hip_bfloat162Li32ELi3ELi5EEvPKT_PKfPKiS7_S7_Pfiiiiiiiiiiiiii15HIP_vector_typeIjLj3EESA_.uses_flat_scratch, or(0, .L_ZL14no_device_codePKciS0_iS0_.uses_flat_scratch)
	.set _ZL13mul_mat_f_idsI15__hip_bfloat162Li32ELi3ELi5EEvPKT_PKfPKiS7_S7_Pfiiiiiiiiiiiiii15HIP_vector_typeIjLj3EESA_.has_dyn_sized_stack, or(0, .L_ZL14no_device_codePKciS0_iS0_.has_dyn_sized_stack)
	.set _ZL13mul_mat_f_idsI15__hip_bfloat162Li32ELi3ELi5EEvPKT_PKfPKiS7_S7_Pfiiiiiiiiiiiiii15HIP_vector_typeIjLj3EESA_.has_recursion, or(0, .L_ZL14no_device_codePKciS0_iS0_.has_recursion)
	.set _ZL13mul_mat_f_idsI15__hip_bfloat162Li32ELi3ELi5EEvPKT_PKfPKiS7_S7_Pfiiiiiiiiiiiiii15HIP_vector_typeIjLj3EESA_.has_indirect_call, or(0, .L_ZL14no_device_codePKciS0_iS0_.has_indirect_call)
	.section	.AMDGPU.csdata,"",@progbits
; Kernel info:
; codeLenInByte = 76
; TotalNumSgprs: 40
; NumVgprs: 38
; NumAgprs: 0
; TotalNumVgprs: 38
; ScratchSize: 16
; MemoryBound: 0
; FloatMode: 240
; IeeeMode: 1
; LDSByteSize: 0 bytes/workgroup (compile time only)
; SGPRBlocks: 4
; VGPRBlocks: 4
; NumSGPRsForWavesPerEU: 40
; NumVGPRsForWavesPerEU: 38
; AccumOffset: 40
; Occupancy: 8
; WaveLimiterHint : 1
; COMPUTE_PGM_RSRC2:SCRATCH_EN: 1
; COMPUTE_PGM_RSRC2:USER_SGPR: 2
; COMPUTE_PGM_RSRC2:TRAP_HANDLER: 0
; COMPUTE_PGM_RSRC2:TGID_X_EN: 1
; COMPUTE_PGM_RSRC2:TGID_Y_EN: 0
; COMPUTE_PGM_RSRC2:TGID_Z_EN: 0
; COMPUTE_PGM_RSRC2:TIDIG_COMP_CNT: 0
; COMPUTE_PGM_RSRC3_GFX90A:ACCUM_OFFSET: 9
; COMPUTE_PGM_RSRC3_GFX90A:TG_SPLIT: 0
	.section	.text._ZL9mul_mat_fI15__hip_bfloat162Li32ELi3ELi5ELb1EEvPKT_PKfPKiPfiiiiiiiiiiiiiiii,"axG",@progbits,_ZL9mul_mat_fI15__hip_bfloat162Li32ELi3ELi5ELb1EEvPKT_PKfPKiPfiiiiiiiiiiiiiiii,comdat
	.globl	_ZL9mul_mat_fI15__hip_bfloat162Li32ELi3ELi5ELb1EEvPKT_PKfPKiPfiiiiiiiiiiiiiiii ; -- Begin function _ZL9mul_mat_fI15__hip_bfloat162Li32ELi3ELi5ELb1EEvPKT_PKfPKiPfiiiiiiiiiiiiiiii
	.p2align	8
	.type	_ZL9mul_mat_fI15__hip_bfloat162Li32ELi3ELi5ELb1EEvPKT_PKfPKiPfiiiiiiiiiiiiiiii,@function
_ZL9mul_mat_fI15__hip_bfloat162Li32ELi3ELi5ELb1EEvPKT_PKfPKiPfiiiiiiiiiiiiiiii: ; @_ZL9mul_mat_fI15__hip_bfloat162Li32ELi3ELi5ELb1EEvPKT_PKfPKiPfiiiiiiiiiiiiiiii
; %bb.0:
	s_add_u32 s8, s0, 0x60
	s_addc_u32 s9, s1, 0
	s_getpc_b64 s[0:1]
	s_add_u32 s0, s0, __FUNCTION__._ZL9mul_mat_fIfLi32ELi3ELi1ELb1EEvPKT_PKfPKiPfiiiiiiiiiiiiiiii@rel32@lo+4
	s_addc_u32 s1, s1, __FUNCTION__._ZL9mul_mat_fIfLi32ELi3ELi1ELb1EEvPKT_PKfPKiPfiiiiiiiiiiiiiiii@rel32@hi+12
	s_getpc_b64 s[2:3]
	s_add_u32 s2, s2, _ZL14no_device_codePKciS0_iS0_@rel32@lo+4
	s_addc_u32 s3, s3, _ZL14no_device_codePKciS0_iS0_@rel32@hi+12
	v_mov_b32_e32 v0, 64
	v_mov_b32_e32 v1, s0
	v_mov_b32_e32 v2, s1
	s_mov_b32 s32, 0
	s_swappc_b64 s[30:31], s[2:3]
	.section	.rodata,"a",@progbits
	.p2align	6, 0x0
	.amdhsa_kernel _ZL9mul_mat_fI15__hip_bfloat162Li32ELi3ELi5ELb1EEvPKT_PKfPKiPfiiiiiiiiiiiiiiii
		.amdhsa_group_segment_fixed_size 0
		.amdhsa_private_segment_fixed_size 16
		.amdhsa_kernarg_size 352
		.amdhsa_user_sgpr_count 2
		.amdhsa_user_sgpr_dispatch_ptr 0
		.amdhsa_user_sgpr_queue_ptr 0
		.amdhsa_user_sgpr_kernarg_segment_ptr 1
		.amdhsa_user_sgpr_dispatch_id 0
		.amdhsa_user_sgpr_kernarg_preload_length 0
		.amdhsa_user_sgpr_kernarg_preload_offset 0
		.amdhsa_user_sgpr_private_segment_size 0
		.amdhsa_uses_dynamic_stack 0
		.amdhsa_enable_private_segment 1
		.amdhsa_system_sgpr_workgroup_id_x 1
		.amdhsa_system_sgpr_workgroup_id_y 0
		.amdhsa_system_sgpr_workgroup_id_z 0
		.amdhsa_system_sgpr_workgroup_info 0
		.amdhsa_system_vgpr_workitem_id 0
		.amdhsa_next_free_vgpr 38
		.amdhsa_next_free_sgpr 34
		.amdhsa_accum_offset 40
		.amdhsa_reserve_vcc 1
		.amdhsa_float_round_mode_32 0
		.amdhsa_float_round_mode_16_64 0
		.amdhsa_float_denorm_mode_32 3
		.amdhsa_float_denorm_mode_16_64 3
		.amdhsa_dx10_clamp 1
		.amdhsa_ieee_mode 1
		.amdhsa_fp16_overflow 0
		.amdhsa_tg_split 0
		.amdhsa_exception_fp_ieee_invalid_op 0
		.amdhsa_exception_fp_denorm_src 0
		.amdhsa_exception_fp_ieee_div_zero 0
		.amdhsa_exception_fp_ieee_overflow 0
		.amdhsa_exception_fp_ieee_underflow 0
		.amdhsa_exception_fp_ieee_inexact 0
		.amdhsa_exception_int_div_zero 0
	.end_amdhsa_kernel
	.section	.text._ZL9mul_mat_fI15__hip_bfloat162Li32ELi3ELi5ELb1EEvPKT_PKfPKiPfiiiiiiiiiiiiiiii,"axG",@progbits,_ZL9mul_mat_fI15__hip_bfloat162Li32ELi3ELi5ELb1EEvPKT_PKfPKiPfiiiiiiiiiiiiiiii,comdat
.Lfunc_end64:
	.size	_ZL9mul_mat_fI15__hip_bfloat162Li32ELi3ELi5ELb1EEvPKT_PKfPKiPfiiiiiiiiiiiiiiii, .Lfunc_end64-_ZL9mul_mat_fI15__hip_bfloat162Li32ELi3ELi5ELb1EEvPKT_PKfPKiPfiiiiiiiiiiiiiiii
                                        ; -- End function
	.set _ZL9mul_mat_fI15__hip_bfloat162Li32ELi3ELi5ELb1EEvPKT_PKfPKiPfiiiiiiiiiiiiiiii.num_vgpr, max(3, .L_ZL14no_device_codePKciS0_iS0_.num_vgpr)
	.set _ZL9mul_mat_fI15__hip_bfloat162Li32ELi3ELi5ELb1EEvPKT_PKfPKiPfiiiiiiiiiiiiiiii.num_agpr, max(0, .L_ZL14no_device_codePKciS0_iS0_.num_agpr)
	.set _ZL9mul_mat_fI15__hip_bfloat162Li32ELi3ELi5ELb1EEvPKT_PKfPKiPfiiiiiiiiiiiiiiii.numbered_sgpr, max(33, .L_ZL14no_device_codePKciS0_iS0_.numbered_sgpr)
	.set _ZL9mul_mat_fI15__hip_bfloat162Li32ELi3ELi5ELb1EEvPKT_PKfPKiPfiiiiiiiiiiiiiiii.num_named_barrier, max(0, .L_ZL14no_device_codePKciS0_iS0_.num_named_barrier)
	.set _ZL9mul_mat_fI15__hip_bfloat162Li32ELi3ELi5ELb1EEvPKT_PKfPKiPfiiiiiiiiiiiiiiii.private_seg_size, 0+max(.L_ZL14no_device_codePKciS0_iS0_.private_seg_size)
	.set _ZL9mul_mat_fI15__hip_bfloat162Li32ELi3ELi5ELb1EEvPKT_PKfPKiPfiiiiiiiiiiiiiiii.uses_vcc, or(1, .L_ZL14no_device_codePKciS0_iS0_.uses_vcc)
	.set _ZL9mul_mat_fI15__hip_bfloat162Li32ELi3ELi5ELb1EEvPKT_PKfPKiPfiiiiiiiiiiiiiiii.uses_flat_scratch, or(0, .L_ZL14no_device_codePKciS0_iS0_.uses_flat_scratch)
	.set _ZL9mul_mat_fI15__hip_bfloat162Li32ELi3ELi5ELb1EEvPKT_PKfPKiPfiiiiiiiiiiiiiiii.has_dyn_sized_stack, or(0, .L_ZL14no_device_codePKciS0_iS0_.has_dyn_sized_stack)
	.set _ZL9mul_mat_fI15__hip_bfloat162Li32ELi3ELi5ELb1EEvPKT_PKfPKiPfiiiiiiiiiiiiiiii.has_recursion, or(0, .L_ZL14no_device_codePKciS0_iS0_.has_recursion)
	.set _ZL9mul_mat_fI15__hip_bfloat162Li32ELi3ELi5ELb1EEvPKT_PKfPKiPfiiiiiiiiiiiiiiii.has_indirect_call, or(0, .L_ZL14no_device_codePKciS0_iS0_.has_indirect_call)
	.section	.AMDGPU.csdata,"",@progbits
; Kernel info:
; codeLenInByte = 72
; TotalNumSgprs: 40
; NumVgprs: 38
; NumAgprs: 0
; TotalNumVgprs: 38
; ScratchSize: 16
; MemoryBound: 0
; FloatMode: 240
; IeeeMode: 1
; LDSByteSize: 0 bytes/workgroup (compile time only)
; SGPRBlocks: 4
; VGPRBlocks: 4
; NumSGPRsForWavesPerEU: 40
; NumVGPRsForWavesPerEU: 38
; AccumOffset: 40
; Occupancy: 8
; WaveLimiterHint : 1
; COMPUTE_PGM_RSRC2:SCRATCH_EN: 1
; COMPUTE_PGM_RSRC2:USER_SGPR: 2
; COMPUTE_PGM_RSRC2:TRAP_HANDLER: 0
; COMPUTE_PGM_RSRC2:TGID_X_EN: 1
; COMPUTE_PGM_RSRC2:TGID_Y_EN: 0
; COMPUTE_PGM_RSRC2:TGID_Z_EN: 0
; COMPUTE_PGM_RSRC2:TIDIG_COMP_CNT: 0
; COMPUTE_PGM_RSRC3_GFX90A:ACCUM_OFFSET: 9
; COMPUTE_PGM_RSRC3_GFX90A:TG_SPLIT: 0
	.section	.text._ZL9mul_mat_fI15__hip_bfloat162Li32ELi3ELi5ELb0EEvPKT_PKfPKiPfiiiiiiiiiiiiiiii,"axG",@progbits,_ZL9mul_mat_fI15__hip_bfloat162Li32ELi3ELi5ELb0EEvPKT_PKfPKiPfiiiiiiiiiiiiiiii,comdat
	.globl	_ZL9mul_mat_fI15__hip_bfloat162Li32ELi3ELi5ELb0EEvPKT_PKfPKiPfiiiiiiiiiiiiiiii ; -- Begin function _ZL9mul_mat_fI15__hip_bfloat162Li32ELi3ELi5ELb0EEvPKT_PKfPKiPfiiiiiiiiiiiiiiii
	.p2align	8
	.type	_ZL9mul_mat_fI15__hip_bfloat162Li32ELi3ELi5ELb0EEvPKT_PKfPKiPfiiiiiiiiiiiiiiii,@function
_ZL9mul_mat_fI15__hip_bfloat162Li32ELi3ELi5ELb0EEvPKT_PKfPKiPfiiiiiiiiiiiiiiii: ; @_ZL9mul_mat_fI15__hip_bfloat162Li32ELi3ELi5ELb0EEvPKT_PKfPKiPfiiiiiiiiiiiiiiii
; %bb.0:
	s_add_u32 s8, s0, 0x60
	s_addc_u32 s9, s1, 0
	s_getpc_b64 s[0:1]
	s_add_u32 s0, s0, __FUNCTION__._ZL9mul_mat_fIfLi32ELi3ELi1ELb1EEvPKT_PKfPKiPfiiiiiiiiiiiiiiii@rel32@lo+4
	s_addc_u32 s1, s1, __FUNCTION__._ZL9mul_mat_fIfLi32ELi3ELi1ELb1EEvPKT_PKfPKiPfiiiiiiiiiiiiiiii@rel32@hi+12
	s_getpc_b64 s[2:3]
	s_add_u32 s2, s2, _ZL14no_device_codePKciS0_iS0_@rel32@lo+4
	s_addc_u32 s3, s3, _ZL14no_device_codePKciS0_iS0_@rel32@hi+12
	v_mov_b32_e32 v0, 64
	v_mov_b32_e32 v1, s0
	v_mov_b32_e32 v2, s1
	s_mov_b32 s32, 0
	s_swappc_b64 s[30:31], s[2:3]
	.section	.rodata,"a",@progbits
	.p2align	6, 0x0
	.amdhsa_kernel _ZL9mul_mat_fI15__hip_bfloat162Li32ELi3ELi5ELb0EEvPKT_PKfPKiPfiiiiiiiiiiiiiiii
		.amdhsa_group_segment_fixed_size 0
		.amdhsa_private_segment_fixed_size 16
		.amdhsa_kernarg_size 352
		.amdhsa_user_sgpr_count 2
		.amdhsa_user_sgpr_dispatch_ptr 0
		.amdhsa_user_sgpr_queue_ptr 0
		.amdhsa_user_sgpr_kernarg_segment_ptr 1
		.amdhsa_user_sgpr_dispatch_id 0
		.amdhsa_user_sgpr_kernarg_preload_length 0
		.amdhsa_user_sgpr_kernarg_preload_offset 0
		.amdhsa_user_sgpr_private_segment_size 0
		.amdhsa_uses_dynamic_stack 0
		.amdhsa_enable_private_segment 1
		.amdhsa_system_sgpr_workgroup_id_x 1
		.amdhsa_system_sgpr_workgroup_id_y 0
		.amdhsa_system_sgpr_workgroup_id_z 0
		.amdhsa_system_sgpr_workgroup_info 0
		.amdhsa_system_vgpr_workitem_id 0
		.amdhsa_next_free_vgpr 38
		.amdhsa_next_free_sgpr 34
		.amdhsa_accum_offset 40
		.amdhsa_reserve_vcc 1
		.amdhsa_float_round_mode_32 0
		.amdhsa_float_round_mode_16_64 0
		.amdhsa_float_denorm_mode_32 3
		.amdhsa_float_denorm_mode_16_64 3
		.amdhsa_dx10_clamp 1
		.amdhsa_ieee_mode 1
		.amdhsa_fp16_overflow 0
		.amdhsa_tg_split 0
		.amdhsa_exception_fp_ieee_invalid_op 0
		.amdhsa_exception_fp_denorm_src 0
		.amdhsa_exception_fp_ieee_div_zero 0
		.amdhsa_exception_fp_ieee_overflow 0
		.amdhsa_exception_fp_ieee_underflow 0
		.amdhsa_exception_fp_ieee_inexact 0
		.amdhsa_exception_int_div_zero 0
	.end_amdhsa_kernel
	.section	.text._ZL9mul_mat_fI15__hip_bfloat162Li32ELi3ELi5ELb0EEvPKT_PKfPKiPfiiiiiiiiiiiiiiii,"axG",@progbits,_ZL9mul_mat_fI15__hip_bfloat162Li32ELi3ELi5ELb0EEvPKT_PKfPKiPfiiiiiiiiiiiiiiii,comdat
.Lfunc_end65:
	.size	_ZL9mul_mat_fI15__hip_bfloat162Li32ELi3ELi5ELb0EEvPKT_PKfPKiPfiiiiiiiiiiiiiiii, .Lfunc_end65-_ZL9mul_mat_fI15__hip_bfloat162Li32ELi3ELi5ELb0EEvPKT_PKfPKiPfiiiiiiiiiiiiiiii
                                        ; -- End function
	.set _ZL9mul_mat_fI15__hip_bfloat162Li32ELi3ELi5ELb0EEvPKT_PKfPKiPfiiiiiiiiiiiiiiii.num_vgpr, max(3, .L_ZL14no_device_codePKciS0_iS0_.num_vgpr)
	.set _ZL9mul_mat_fI15__hip_bfloat162Li32ELi3ELi5ELb0EEvPKT_PKfPKiPfiiiiiiiiiiiiiiii.num_agpr, max(0, .L_ZL14no_device_codePKciS0_iS0_.num_agpr)
	.set _ZL9mul_mat_fI15__hip_bfloat162Li32ELi3ELi5ELb0EEvPKT_PKfPKiPfiiiiiiiiiiiiiiii.numbered_sgpr, max(33, .L_ZL14no_device_codePKciS0_iS0_.numbered_sgpr)
	.set _ZL9mul_mat_fI15__hip_bfloat162Li32ELi3ELi5ELb0EEvPKT_PKfPKiPfiiiiiiiiiiiiiiii.num_named_barrier, max(0, .L_ZL14no_device_codePKciS0_iS0_.num_named_barrier)
	.set _ZL9mul_mat_fI15__hip_bfloat162Li32ELi3ELi5ELb0EEvPKT_PKfPKiPfiiiiiiiiiiiiiiii.private_seg_size, 0+max(.L_ZL14no_device_codePKciS0_iS0_.private_seg_size)
	.set _ZL9mul_mat_fI15__hip_bfloat162Li32ELi3ELi5ELb0EEvPKT_PKfPKiPfiiiiiiiiiiiiiiii.uses_vcc, or(1, .L_ZL14no_device_codePKciS0_iS0_.uses_vcc)
	.set _ZL9mul_mat_fI15__hip_bfloat162Li32ELi3ELi5ELb0EEvPKT_PKfPKiPfiiiiiiiiiiiiiiii.uses_flat_scratch, or(0, .L_ZL14no_device_codePKciS0_iS0_.uses_flat_scratch)
	.set _ZL9mul_mat_fI15__hip_bfloat162Li32ELi3ELi5ELb0EEvPKT_PKfPKiPfiiiiiiiiiiiiiiii.has_dyn_sized_stack, or(0, .L_ZL14no_device_codePKciS0_iS0_.has_dyn_sized_stack)
	.set _ZL9mul_mat_fI15__hip_bfloat162Li32ELi3ELi5ELb0EEvPKT_PKfPKiPfiiiiiiiiiiiiiiii.has_recursion, or(0, .L_ZL14no_device_codePKciS0_iS0_.has_recursion)
	.set _ZL9mul_mat_fI15__hip_bfloat162Li32ELi3ELi5ELb0EEvPKT_PKfPKiPfiiiiiiiiiiiiiiii.has_indirect_call, or(0, .L_ZL14no_device_codePKciS0_iS0_.has_indirect_call)
	.section	.AMDGPU.csdata,"",@progbits
; Kernel info:
; codeLenInByte = 72
; TotalNumSgprs: 40
; NumVgprs: 38
; NumAgprs: 0
; TotalNumVgprs: 38
; ScratchSize: 16
; MemoryBound: 0
; FloatMode: 240
; IeeeMode: 1
; LDSByteSize: 0 bytes/workgroup (compile time only)
; SGPRBlocks: 4
; VGPRBlocks: 4
; NumSGPRsForWavesPerEU: 40
; NumVGPRsForWavesPerEU: 38
; AccumOffset: 40
; Occupancy: 8
; WaveLimiterHint : 1
; COMPUTE_PGM_RSRC2:SCRATCH_EN: 1
; COMPUTE_PGM_RSRC2:USER_SGPR: 2
; COMPUTE_PGM_RSRC2:TRAP_HANDLER: 0
; COMPUTE_PGM_RSRC2:TGID_X_EN: 1
; COMPUTE_PGM_RSRC2:TGID_Y_EN: 0
; COMPUTE_PGM_RSRC2:TGID_Z_EN: 0
; COMPUTE_PGM_RSRC2:TIDIG_COMP_CNT: 0
; COMPUTE_PGM_RSRC3_GFX90A:ACCUM_OFFSET: 9
; COMPUTE_PGM_RSRC3_GFX90A:TG_SPLIT: 0
	.section	.text._ZL13mul_mat_f_idsI15__hip_bfloat162Li32ELi3ELi6EEvPKT_PKfPKiS7_S7_Pfiiiiiiiiiiiiii15HIP_vector_typeIjLj3EESA_,"axG",@progbits,_ZL13mul_mat_f_idsI15__hip_bfloat162Li32ELi3ELi6EEvPKT_PKfPKiS7_S7_Pfiiiiiiiiiiiiii15HIP_vector_typeIjLj3EESA_,comdat
	.globl	_ZL13mul_mat_f_idsI15__hip_bfloat162Li32ELi3ELi6EEvPKT_PKfPKiS7_S7_Pfiiiiiiiiiiiiii15HIP_vector_typeIjLj3EESA_ ; -- Begin function _ZL13mul_mat_f_idsI15__hip_bfloat162Li32ELi3ELi6EEvPKT_PKfPKiS7_S7_Pfiiiiiiiiiiiiii15HIP_vector_typeIjLj3EESA_
	.p2align	8
	.type	_ZL13mul_mat_f_idsI15__hip_bfloat162Li32ELi3ELi6EEvPKT_PKfPKiS7_S7_Pfiiiiiiiiiiiiii15HIP_vector_typeIjLj3EESA_,@function
_ZL13mul_mat_f_idsI15__hip_bfloat162Li32ELi3ELi6EEvPKT_PKfPKiS7_S7_Pfiiiiiiiiiiiiii15HIP_vector_typeIjLj3EESA_: ; @_ZL13mul_mat_f_idsI15__hip_bfloat162Li32ELi3ELi6EEvPKT_PKfPKiS7_S7_Pfiiiiiiiiiiiiii15HIP_vector_typeIjLj3EESA_
; %bb.0:
	s_add_u32 s8, s0, 0x80
	s_addc_u32 s9, s1, 0
	s_getpc_b64 s[0:1]
	s_add_u32 s0, s0, __FUNCTION__._ZL13mul_mat_f_idsIfLi32ELi3ELi1EEvPKT_PKfPKiS6_S6_Pfiiiiiiiiiiiiii15HIP_vector_typeIjLj3EES9_@rel32@lo+4
	s_addc_u32 s1, s1, __FUNCTION__._ZL13mul_mat_f_idsIfLi32ELi3ELi1EEvPKT_PKfPKiS6_S6_Pfiiiiiiiiiiiiii15HIP_vector_typeIjLj3EES9_@rel32@hi+12
	s_getpc_b64 s[2:3]
	s_add_u32 s2, s2, _ZL14no_device_codePKciS0_iS0_@rel32@lo+4
	s_addc_u32 s3, s3, _ZL14no_device_codePKciS0_iS0_@rel32@hi+12
	v_mov_b32_e32 v0, 0x13b
	v_mov_b32_e32 v1, s0
	v_mov_b32_e32 v2, s1
	s_mov_b32 s32, 0
	s_swappc_b64 s[30:31], s[2:3]
	.section	.rodata,"a",@progbits
	.p2align	6, 0x0
	.amdhsa_kernel _ZL13mul_mat_f_idsI15__hip_bfloat162Li32ELi3ELi6EEvPKT_PKfPKiS7_S7_Pfiiiiiiiiiiiiii15HIP_vector_typeIjLj3EESA_
		.amdhsa_group_segment_fixed_size 0
		.amdhsa_private_segment_fixed_size 16
		.amdhsa_kernarg_size 384
		.amdhsa_user_sgpr_count 2
		.amdhsa_user_sgpr_dispatch_ptr 0
		.amdhsa_user_sgpr_queue_ptr 0
		.amdhsa_user_sgpr_kernarg_segment_ptr 1
		.amdhsa_user_sgpr_dispatch_id 0
		.amdhsa_user_sgpr_kernarg_preload_length 0
		.amdhsa_user_sgpr_kernarg_preload_offset 0
		.amdhsa_user_sgpr_private_segment_size 0
		.amdhsa_uses_dynamic_stack 0
		.amdhsa_enable_private_segment 1
		.amdhsa_system_sgpr_workgroup_id_x 1
		.amdhsa_system_sgpr_workgroup_id_y 0
		.amdhsa_system_sgpr_workgroup_id_z 0
		.amdhsa_system_sgpr_workgroup_info 0
		.amdhsa_system_vgpr_workitem_id 0
		.amdhsa_next_free_vgpr 38
		.amdhsa_next_free_sgpr 34
		.amdhsa_accum_offset 40
		.amdhsa_reserve_vcc 1
		.amdhsa_float_round_mode_32 0
		.amdhsa_float_round_mode_16_64 0
		.amdhsa_float_denorm_mode_32 3
		.amdhsa_float_denorm_mode_16_64 3
		.amdhsa_dx10_clamp 1
		.amdhsa_ieee_mode 1
		.amdhsa_fp16_overflow 0
		.amdhsa_tg_split 0
		.amdhsa_exception_fp_ieee_invalid_op 0
		.amdhsa_exception_fp_denorm_src 0
		.amdhsa_exception_fp_ieee_div_zero 0
		.amdhsa_exception_fp_ieee_overflow 0
		.amdhsa_exception_fp_ieee_underflow 0
		.amdhsa_exception_fp_ieee_inexact 0
		.amdhsa_exception_int_div_zero 0
	.end_amdhsa_kernel
	.section	.text._ZL13mul_mat_f_idsI15__hip_bfloat162Li32ELi3ELi6EEvPKT_PKfPKiS7_S7_Pfiiiiiiiiiiiiii15HIP_vector_typeIjLj3EESA_,"axG",@progbits,_ZL13mul_mat_f_idsI15__hip_bfloat162Li32ELi3ELi6EEvPKT_PKfPKiS7_S7_Pfiiiiiiiiiiiiii15HIP_vector_typeIjLj3EESA_,comdat
.Lfunc_end66:
	.size	_ZL13mul_mat_f_idsI15__hip_bfloat162Li32ELi3ELi6EEvPKT_PKfPKiS7_S7_Pfiiiiiiiiiiiiii15HIP_vector_typeIjLj3EESA_, .Lfunc_end66-_ZL13mul_mat_f_idsI15__hip_bfloat162Li32ELi3ELi6EEvPKT_PKfPKiS7_S7_Pfiiiiiiiiiiiiii15HIP_vector_typeIjLj3EESA_
                                        ; -- End function
	.set _ZL13mul_mat_f_idsI15__hip_bfloat162Li32ELi3ELi6EEvPKT_PKfPKiS7_S7_Pfiiiiiiiiiiiiii15HIP_vector_typeIjLj3EESA_.num_vgpr, max(3, .L_ZL14no_device_codePKciS0_iS0_.num_vgpr)
	.set _ZL13mul_mat_f_idsI15__hip_bfloat162Li32ELi3ELi6EEvPKT_PKfPKiS7_S7_Pfiiiiiiiiiiiiii15HIP_vector_typeIjLj3EESA_.num_agpr, max(0, .L_ZL14no_device_codePKciS0_iS0_.num_agpr)
	.set _ZL13mul_mat_f_idsI15__hip_bfloat162Li32ELi3ELi6EEvPKT_PKfPKiS7_S7_Pfiiiiiiiiiiiiii15HIP_vector_typeIjLj3EESA_.numbered_sgpr, max(33, .L_ZL14no_device_codePKciS0_iS0_.numbered_sgpr)
	.set _ZL13mul_mat_f_idsI15__hip_bfloat162Li32ELi3ELi6EEvPKT_PKfPKiS7_S7_Pfiiiiiiiiiiiiii15HIP_vector_typeIjLj3EESA_.num_named_barrier, max(0, .L_ZL14no_device_codePKciS0_iS0_.num_named_barrier)
	.set _ZL13mul_mat_f_idsI15__hip_bfloat162Li32ELi3ELi6EEvPKT_PKfPKiS7_S7_Pfiiiiiiiiiiiiii15HIP_vector_typeIjLj3EESA_.private_seg_size, 0+max(.L_ZL14no_device_codePKciS0_iS0_.private_seg_size)
	.set _ZL13mul_mat_f_idsI15__hip_bfloat162Li32ELi3ELi6EEvPKT_PKfPKiS7_S7_Pfiiiiiiiiiiiiii15HIP_vector_typeIjLj3EESA_.uses_vcc, or(1, .L_ZL14no_device_codePKciS0_iS0_.uses_vcc)
	.set _ZL13mul_mat_f_idsI15__hip_bfloat162Li32ELi3ELi6EEvPKT_PKfPKiS7_S7_Pfiiiiiiiiiiiiii15HIP_vector_typeIjLj3EESA_.uses_flat_scratch, or(0, .L_ZL14no_device_codePKciS0_iS0_.uses_flat_scratch)
	.set _ZL13mul_mat_f_idsI15__hip_bfloat162Li32ELi3ELi6EEvPKT_PKfPKiS7_S7_Pfiiiiiiiiiiiiii15HIP_vector_typeIjLj3EESA_.has_dyn_sized_stack, or(0, .L_ZL14no_device_codePKciS0_iS0_.has_dyn_sized_stack)
	.set _ZL13mul_mat_f_idsI15__hip_bfloat162Li32ELi3ELi6EEvPKT_PKfPKiS7_S7_Pfiiiiiiiiiiiiii15HIP_vector_typeIjLj3EESA_.has_recursion, or(0, .L_ZL14no_device_codePKciS0_iS0_.has_recursion)
	.set _ZL13mul_mat_f_idsI15__hip_bfloat162Li32ELi3ELi6EEvPKT_PKfPKiS7_S7_Pfiiiiiiiiiiiiii15HIP_vector_typeIjLj3EESA_.has_indirect_call, or(0, .L_ZL14no_device_codePKciS0_iS0_.has_indirect_call)
	.section	.AMDGPU.csdata,"",@progbits
; Kernel info:
; codeLenInByte = 76
; TotalNumSgprs: 40
; NumVgprs: 38
; NumAgprs: 0
; TotalNumVgprs: 38
; ScratchSize: 16
; MemoryBound: 0
; FloatMode: 240
; IeeeMode: 1
; LDSByteSize: 0 bytes/workgroup (compile time only)
; SGPRBlocks: 4
; VGPRBlocks: 4
; NumSGPRsForWavesPerEU: 40
; NumVGPRsForWavesPerEU: 38
; AccumOffset: 40
; Occupancy: 8
; WaveLimiterHint : 1
; COMPUTE_PGM_RSRC2:SCRATCH_EN: 1
; COMPUTE_PGM_RSRC2:USER_SGPR: 2
; COMPUTE_PGM_RSRC2:TRAP_HANDLER: 0
; COMPUTE_PGM_RSRC2:TGID_X_EN: 1
; COMPUTE_PGM_RSRC2:TGID_Y_EN: 0
; COMPUTE_PGM_RSRC2:TGID_Z_EN: 0
; COMPUTE_PGM_RSRC2:TIDIG_COMP_CNT: 0
; COMPUTE_PGM_RSRC3_GFX90A:ACCUM_OFFSET: 9
; COMPUTE_PGM_RSRC3_GFX90A:TG_SPLIT: 0
	.section	.text._ZL9mul_mat_fI15__hip_bfloat162Li32ELi3ELi6ELb1EEvPKT_PKfPKiPfiiiiiiiiiiiiiiii,"axG",@progbits,_ZL9mul_mat_fI15__hip_bfloat162Li32ELi3ELi6ELb1EEvPKT_PKfPKiPfiiiiiiiiiiiiiiii,comdat
	.globl	_ZL9mul_mat_fI15__hip_bfloat162Li32ELi3ELi6ELb1EEvPKT_PKfPKiPfiiiiiiiiiiiiiiii ; -- Begin function _ZL9mul_mat_fI15__hip_bfloat162Li32ELi3ELi6ELb1EEvPKT_PKfPKiPfiiiiiiiiiiiiiiii
	.p2align	8
	.type	_ZL9mul_mat_fI15__hip_bfloat162Li32ELi3ELi6ELb1EEvPKT_PKfPKiPfiiiiiiiiiiiiiiii,@function
_ZL9mul_mat_fI15__hip_bfloat162Li32ELi3ELi6ELb1EEvPKT_PKfPKiPfiiiiiiiiiiiiiiii: ; @_ZL9mul_mat_fI15__hip_bfloat162Li32ELi3ELi6ELb1EEvPKT_PKfPKiPfiiiiiiiiiiiiiiii
; %bb.0:
	s_add_u32 s8, s0, 0x60
	s_addc_u32 s9, s1, 0
	s_getpc_b64 s[0:1]
	s_add_u32 s0, s0, __FUNCTION__._ZL9mul_mat_fIfLi32ELi3ELi1ELb1EEvPKT_PKfPKiPfiiiiiiiiiiiiiiii@rel32@lo+4
	s_addc_u32 s1, s1, __FUNCTION__._ZL9mul_mat_fIfLi32ELi3ELi1ELb1EEvPKT_PKfPKiPfiiiiiiiiiiiiiiii@rel32@hi+12
	s_getpc_b64 s[2:3]
	s_add_u32 s2, s2, _ZL14no_device_codePKciS0_iS0_@rel32@lo+4
	s_addc_u32 s3, s3, _ZL14no_device_codePKciS0_iS0_@rel32@hi+12
	v_mov_b32_e32 v0, 64
	v_mov_b32_e32 v1, s0
	;; [unrolled: 1-line block ×3, first 2 shown]
	s_mov_b32 s32, 0
	s_swappc_b64 s[30:31], s[2:3]
	.section	.rodata,"a",@progbits
	.p2align	6, 0x0
	.amdhsa_kernel _ZL9mul_mat_fI15__hip_bfloat162Li32ELi3ELi6ELb1EEvPKT_PKfPKiPfiiiiiiiiiiiiiiii
		.amdhsa_group_segment_fixed_size 0
		.amdhsa_private_segment_fixed_size 16
		.amdhsa_kernarg_size 352
		.amdhsa_user_sgpr_count 2
		.amdhsa_user_sgpr_dispatch_ptr 0
		.amdhsa_user_sgpr_queue_ptr 0
		.amdhsa_user_sgpr_kernarg_segment_ptr 1
		.amdhsa_user_sgpr_dispatch_id 0
		.amdhsa_user_sgpr_kernarg_preload_length 0
		.amdhsa_user_sgpr_kernarg_preload_offset 0
		.amdhsa_user_sgpr_private_segment_size 0
		.amdhsa_uses_dynamic_stack 0
		.amdhsa_enable_private_segment 1
		.amdhsa_system_sgpr_workgroup_id_x 1
		.amdhsa_system_sgpr_workgroup_id_y 0
		.amdhsa_system_sgpr_workgroup_id_z 0
		.amdhsa_system_sgpr_workgroup_info 0
		.amdhsa_system_vgpr_workitem_id 0
		.amdhsa_next_free_vgpr 38
		.amdhsa_next_free_sgpr 34
		.amdhsa_accum_offset 40
		.amdhsa_reserve_vcc 1
		.amdhsa_float_round_mode_32 0
		.amdhsa_float_round_mode_16_64 0
		.amdhsa_float_denorm_mode_32 3
		.amdhsa_float_denorm_mode_16_64 3
		.amdhsa_dx10_clamp 1
		.amdhsa_ieee_mode 1
		.amdhsa_fp16_overflow 0
		.amdhsa_tg_split 0
		.amdhsa_exception_fp_ieee_invalid_op 0
		.amdhsa_exception_fp_denorm_src 0
		.amdhsa_exception_fp_ieee_div_zero 0
		.amdhsa_exception_fp_ieee_overflow 0
		.amdhsa_exception_fp_ieee_underflow 0
		.amdhsa_exception_fp_ieee_inexact 0
		.amdhsa_exception_int_div_zero 0
	.end_amdhsa_kernel
	.section	.text._ZL9mul_mat_fI15__hip_bfloat162Li32ELi3ELi6ELb1EEvPKT_PKfPKiPfiiiiiiiiiiiiiiii,"axG",@progbits,_ZL9mul_mat_fI15__hip_bfloat162Li32ELi3ELi6ELb1EEvPKT_PKfPKiPfiiiiiiiiiiiiiiii,comdat
.Lfunc_end67:
	.size	_ZL9mul_mat_fI15__hip_bfloat162Li32ELi3ELi6ELb1EEvPKT_PKfPKiPfiiiiiiiiiiiiiiii, .Lfunc_end67-_ZL9mul_mat_fI15__hip_bfloat162Li32ELi3ELi6ELb1EEvPKT_PKfPKiPfiiiiiiiiiiiiiiii
                                        ; -- End function
	.set _ZL9mul_mat_fI15__hip_bfloat162Li32ELi3ELi6ELb1EEvPKT_PKfPKiPfiiiiiiiiiiiiiiii.num_vgpr, max(3, .L_ZL14no_device_codePKciS0_iS0_.num_vgpr)
	.set _ZL9mul_mat_fI15__hip_bfloat162Li32ELi3ELi6ELb1EEvPKT_PKfPKiPfiiiiiiiiiiiiiiii.num_agpr, max(0, .L_ZL14no_device_codePKciS0_iS0_.num_agpr)
	.set _ZL9mul_mat_fI15__hip_bfloat162Li32ELi3ELi6ELb1EEvPKT_PKfPKiPfiiiiiiiiiiiiiiii.numbered_sgpr, max(33, .L_ZL14no_device_codePKciS0_iS0_.numbered_sgpr)
	.set _ZL9mul_mat_fI15__hip_bfloat162Li32ELi3ELi6ELb1EEvPKT_PKfPKiPfiiiiiiiiiiiiiiii.num_named_barrier, max(0, .L_ZL14no_device_codePKciS0_iS0_.num_named_barrier)
	.set _ZL9mul_mat_fI15__hip_bfloat162Li32ELi3ELi6ELb1EEvPKT_PKfPKiPfiiiiiiiiiiiiiiii.private_seg_size, 0+max(.L_ZL14no_device_codePKciS0_iS0_.private_seg_size)
	.set _ZL9mul_mat_fI15__hip_bfloat162Li32ELi3ELi6ELb1EEvPKT_PKfPKiPfiiiiiiiiiiiiiiii.uses_vcc, or(1, .L_ZL14no_device_codePKciS0_iS0_.uses_vcc)
	.set _ZL9mul_mat_fI15__hip_bfloat162Li32ELi3ELi6ELb1EEvPKT_PKfPKiPfiiiiiiiiiiiiiiii.uses_flat_scratch, or(0, .L_ZL14no_device_codePKciS0_iS0_.uses_flat_scratch)
	.set _ZL9mul_mat_fI15__hip_bfloat162Li32ELi3ELi6ELb1EEvPKT_PKfPKiPfiiiiiiiiiiiiiiii.has_dyn_sized_stack, or(0, .L_ZL14no_device_codePKciS0_iS0_.has_dyn_sized_stack)
	.set _ZL9mul_mat_fI15__hip_bfloat162Li32ELi3ELi6ELb1EEvPKT_PKfPKiPfiiiiiiiiiiiiiiii.has_recursion, or(0, .L_ZL14no_device_codePKciS0_iS0_.has_recursion)
	.set _ZL9mul_mat_fI15__hip_bfloat162Li32ELi3ELi6ELb1EEvPKT_PKfPKiPfiiiiiiiiiiiiiiii.has_indirect_call, or(0, .L_ZL14no_device_codePKciS0_iS0_.has_indirect_call)
	.section	.AMDGPU.csdata,"",@progbits
; Kernel info:
; codeLenInByte = 72
; TotalNumSgprs: 40
; NumVgprs: 38
; NumAgprs: 0
; TotalNumVgprs: 38
; ScratchSize: 16
; MemoryBound: 0
; FloatMode: 240
; IeeeMode: 1
; LDSByteSize: 0 bytes/workgroup (compile time only)
; SGPRBlocks: 4
; VGPRBlocks: 4
; NumSGPRsForWavesPerEU: 40
; NumVGPRsForWavesPerEU: 38
; AccumOffset: 40
; Occupancy: 8
; WaveLimiterHint : 1
; COMPUTE_PGM_RSRC2:SCRATCH_EN: 1
; COMPUTE_PGM_RSRC2:USER_SGPR: 2
; COMPUTE_PGM_RSRC2:TRAP_HANDLER: 0
; COMPUTE_PGM_RSRC2:TGID_X_EN: 1
; COMPUTE_PGM_RSRC2:TGID_Y_EN: 0
; COMPUTE_PGM_RSRC2:TGID_Z_EN: 0
; COMPUTE_PGM_RSRC2:TIDIG_COMP_CNT: 0
; COMPUTE_PGM_RSRC3_GFX90A:ACCUM_OFFSET: 9
; COMPUTE_PGM_RSRC3_GFX90A:TG_SPLIT: 0
	.section	.text._ZL9mul_mat_fI15__hip_bfloat162Li32ELi3ELi6ELb0EEvPKT_PKfPKiPfiiiiiiiiiiiiiiii,"axG",@progbits,_ZL9mul_mat_fI15__hip_bfloat162Li32ELi3ELi6ELb0EEvPKT_PKfPKiPfiiiiiiiiiiiiiiii,comdat
	.globl	_ZL9mul_mat_fI15__hip_bfloat162Li32ELi3ELi6ELb0EEvPKT_PKfPKiPfiiiiiiiiiiiiiiii ; -- Begin function _ZL9mul_mat_fI15__hip_bfloat162Li32ELi3ELi6ELb0EEvPKT_PKfPKiPfiiiiiiiiiiiiiiii
	.p2align	8
	.type	_ZL9mul_mat_fI15__hip_bfloat162Li32ELi3ELi6ELb0EEvPKT_PKfPKiPfiiiiiiiiiiiiiiii,@function
_ZL9mul_mat_fI15__hip_bfloat162Li32ELi3ELi6ELb0EEvPKT_PKfPKiPfiiiiiiiiiiiiiiii: ; @_ZL9mul_mat_fI15__hip_bfloat162Li32ELi3ELi6ELb0EEvPKT_PKfPKiPfiiiiiiiiiiiiiiii
; %bb.0:
	s_add_u32 s8, s0, 0x60
	s_addc_u32 s9, s1, 0
	s_getpc_b64 s[0:1]
	s_add_u32 s0, s0, __FUNCTION__._ZL9mul_mat_fIfLi32ELi3ELi1ELb1EEvPKT_PKfPKiPfiiiiiiiiiiiiiiii@rel32@lo+4
	s_addc_u32 s1, s1, __FUNCTION__._ZL9mul_mat_fIfLi32ELi3ELi1ELb1EEvPKT_PKfPKiPfiiiiiiiiiiiiiiii@rel32@hi+12
	s_getpc_b64 s[2:3]
	s_add_u32 s2, s2, _ZL14no_device_codePKciS0_iS0_@rel32@lo+4
	s_addc_u32 s3, s3, _ZL14no_device_codePKciS0_iS0_@rel32@hi+12
	v_mov_b32_e32 v0, 64
	v_mov_b32_e32 v1, s0
	;; [unrolled: 1-line block ×3, first 2 shown]
	s_mov_b32 s32, 0
	s_swappc_b64 s[30:31], s[2:3]
	.section	.rodata,"a",@progbits
	.p2align	6, 0x0
	.amdhsa_kernel _ZL9mul_mat_fI15__hip_bfloat162Li32ELi3ELi6ELb0EEvPKT_PKfPKiPfiiiiiiiiiiiiiiii
		.amdhsa_group_segment_fixed_size 0
		.amdhsa_private_segment_fixed_size 16
		.amdhsa_kernarg_size 352
		.amdhsa_user_sgpr_count 2
		.amdhsa_user_sgpr_dispatch_ptr 0
		.amdhsa_user_sgpr_queue_ptr 0
		.amdhsa_user_sgpr_kernarg_segment_ptr 1
		.amdhsa_user_sgpr_dispatch_id 0
		.amdhsa_user_sgpr_kernarg_preload_length 0
		.amdhsa_user_sgpr_kernarg_preload_offset 0
		.amdhsa_user_sgpr_private_segment_size 0
		.amdhsa_uses_dynamic_stack 0
		.amdhsa_enable_private_segment 1
		.amdhsa_system_sgpr_workgroup_id_x 1
		.amdhsa_system_sgpr_workgroup_id_y 0
		.amdhsa_system_sgpr_workgroup_id_z 0
		.amdhsa_system_sgpr_workgroup_info 0
		.amdhsa_system_vgpr_workitem_id 0
		.amdhsa_next_free_vgpr 38
		.amdhsa_next_free_sgpr 34
		.amdhsa_accum_offset 40
		.amdhsa_reserve_vcc 1
		.amdhsa_float_round_mode_32 0
		.amdhsa_float_round_mode_16_64 0
		.amdhsa_float_denorm_mode_32 3
		.amdhsa_float_denorm_mode_16_64 3
		.amdhsa_dx10_clamp 1
		.amdhsa_ieee_mode 1
		.amdhsa_fp16_overflow 0
		.amdhsa_tg_split 0
		.amdhsa_exception_fp_ieee_invalid_op 0
		.amdhsa_exception_fp_denorm_src 0
		.amdhsa_exception_fp_ieee_div_zero 0
		.amdhsa_exception_fp_ieee_overflow 0
		.amdhsa_exception_fp_ieee_underflow 0
		.amdhsa_exception_fp_ieee_inexact 0
		.amdhsa_exception_int_div_zero 0
	.end_amdhsa_kernel
	.section	.text._ZL9mul_mat_fI15__hip_bfloat162Li32ELi3ELi6ELb0EEvPKT_PKfPKiPfiiiiiiiiiiiiiiii,"axG",@progbits,_ZL9mul_mat_fI15__hip_bfloat162Li32ELi3ELi6ELb0EEvPKT_PKfPKiPfiiiiiiiiiiiiiiii,comdat
.Lfunc_end68:
	.size	_ZL9mul_mat_fI15__hip_bfloat162Li32ELi3ELi6ELb0EEvPKT_PKfPKiPfiiiiiiiiiiiiiiii, .Lfunc_end68-_ZL9mul_mat_fI15__hip_bfloat162Li32ELi3ELi6ELb0EEvPKT_PKfPKiPfiiiiiiiiiiiiiiii
                                        ; -- End function
	.set _ZL9mul_mat_fI15__hip_bfloat162Li32ELi3ELi6ELb0EEvPKT_PKfPKiPfiiiiiiiiiiiiiiii.num_vgpr, max(3, .L_ZL14no_device_codePKciS0_iS0_.num_vgpr)
	.set _ZL9mul_mat_fI15__hip_bfloat162Li32ELi3ELi6ELb0EEvPKT_PKfPKiPfiiiiiiiiiiiiiiii.num_agpr, max(0, .L_ZL14no_device_codePKciS0_iS0_.num_agpr)
	.set _ZL9mul_mat_fI15__hip_bfloat162Li32ELi3ELi6ELb0EEvPKT_PKfPKiPfiiiiiiiiiiiiiiii.numbered_sgpr, max(33, .L_ZL14no_device_codePKciS0_iS0_.numbered_sgpr)
	.set _ZL9mul_mat_fI15__hip_bfloat162Li32ELi3ELi6ELb0EEvPKT_PKfPKiPfiiiiiiiiiiiiiiii.num_named_barrier, max(0, .L_ZL14no_device_codePKciS0_iS0_.num_named_barrier)
	.set _ZL9mul_mat_fI15__hip_bfloat162Li32ELi3ELi6ELb0EEvPKT_PKfPKiPfiiiiiiiiiiiiiiii.private_seg_size, 0+max(.L_ZL14no_device_codePKciS0_iS0_.private_seg_size)
	.set _ZL9mul_mat_fI15__hip_bfloat162Li32ELi3ELi6ELb0EEvPKT_PKfPKiPfiiiiiiiiiiiiiiii.uses_vcc, or(1, .L_ZL14no_device_codePKciS0_iS0_.uses_vcc)
	.set _ZL9mul_mat_fI15__hip_bfloat162Li32ELi3ELi6ELb0EEvPKT_PKfPKiPfiiiiiiiiiiiiiiii.uses_flat_scratch, or(0, .L_ZL14no_device_codePKciS0_iS0_.uses_flat_scratch)
	.set _ZL9mul_mat_fI15__hip_bfloat162Li32ELi3ELi6ELb0EEvPKT_PKfPKiPfiiiiiiiiiiiiiiii.has_dyn_sized_stack, or(0, .L_ZL14no_device_codePKciS0_iS0_.has_dyn_sized_stack)
	.set _ZL9mul_mat_fI15__hip_bfloat162Li32ELi3ELi6ELb0EEvPKT_PKfPKiPfiiiiiiiiiiiiiiii.has_recursion, or(0, .L_ZL14no_device_codePKciS0_iS0_.has_recursion)
	.set _ZL9mul_mat_fI15__hip_bfloat162Li32ELi3ELi6ELb0EEvPKT_PKfPKiPfiiiiiiiiiiiiiiii.has_indirect_call, or(0, .L_ZL14no_device_codePKciS0_iS0_.has_indirect_call)
	.section	.AMDGPU.csdata,"",@progbits
; Kernel info:
; codeLenInByte = 72
; TotalNumSgprs: 40
; NumVgprs: 38
; NumAgprs: 0
; TotalNumVgprs: 38
; ScratchSize: 16
; MemoryBound: 0
; FloatMode: 240
; IeeeMode: 1
; LDSByteSize: 0 bytes/workgroup (compile time only)
; SGPRBlocks: 4
; VGPRBlocks: 4
; NumSGPRsForWavesPerEU: 40
; NumVGPRsForWavesPerEU: 38
; AccumOffset: 40
; Occupancy: 8
; WaveLimiterHint : 1
; COMPUTE_PGM_RSRC2:SCRATCH_EN: 1
; COMPUTE_PGM_RSRC2:USER_SGPR: 2
; COMPUTE_PGM_RSRC2:TRAP_HANDLER: 0
; COMPUTE_PGM_RSRC2:TGID_X_EN: 1
; COMPUTE_PGM_RSRC2:TGID_Y_EN: 0
; COMPUTE_PGM_RSRC2:TGID_Z_EN: 0
; COMPUTE_PGM_RSRC2:TIDIG_COMP_CNT: 0
; COMPUTE_PGM_RSRC3_GFX90A:ACCUM_OFFSET: 9
; COMPUTE_PGM_RSRC3_GFX90A:TG_SPLIT: 0
	.section	.text._ZL13mul_mat_f_idsI15__hip_bfloat162Li32ELi3ELi7EEvPKT_PKfPKiS7_S7_Pfiiiiiiiiiiiiii15HIP_vector_typeIjLj3EESA_,"axG",@progbits,_ZL13mul_mat_f_idsI15__hip_bfloat162Li32ELi3ELi7EEvPKT_PKfPKiS7_S7_Pfiiiiiiiiiiiiii15HIP_vector_typeIjLj3EESA_,comdat
	.globl	_ZL13mul_mat_f_idsI15__hip_bfloat162Li32ELi3ELi7EEvPKT_PKfPKiS7_S7_Pfiiiiiiiiiiiiii15HIP_vector_typeIjLj3EESA_ ; -- Begin function _ZL13mul_mat_f_idsI15__hip_bfloat162Li32ELi3ELi7EEvPKT_PKfPKiS7_S7_Pfiiiiiiiiiiiiii15HIP_vector_typeIjLj3EESA_
	.p2align	8
	.type	_ZL13mul_mat_f_idsI15__hip_bfloat162Li32ELi3ELi7EEvPKT_PKfPKiS7_S7_Pfiiiiiiiiiiiiii15HIP_vector_typeIjLj3EESA_,@function
_ZL13mul_mat_f_idsI15__hip_bfloat162Li32ELi3ELi7EEvPKT_PKfPKiS7_S7_Pfiiiiiiiiiiiiii15HIP_vector_typeIjLj3EESA_: ; @_ZL13mul_mat_f_idsI15__hip_bfloat162Li32ELi3ELi7EEvPKT_PKfPKiS7_S7_Pfiiiiiiiiiiiiii15HIP_vector_typeIjLj3EESA_
; %bb.0:
	s_add_u32 s8, s0, 0x80
	s_addc_u32 s9, s1, 0
	s_getpc_b64 s[0:1]
	s_add_u32 s0, s0, __FUNCTION__._ZL13mul_mat_f_idsIfLi32ELi3ELi1EEvPKT_PKfPKiS6_S6_Pfiiiiiiiiiiiiii15HIP_vector_typeIjLj3EES9_@rel32@lo+4
	s_addc_u32 s1, s1, __FUNCTION__._ZL13mul_mat_f_idsIfLi32ELi3ELi1EEvPKT_PKfPKiS6_S6_Pfiiiiiiiiiiiiii15HIP_vector_typeIjLj3EES9_@rel32@hi+12
	s_getpc_b64 s[2:3]
	s_add_u32 s2, s2, _ZL14no_device_codePKciS0_iS0_@rel32@lo+4
	s_addc_u32 s3, s3, _ZL14no_device_codePKciS0_iS0_@rel32@hi+12
	v_mov_b32_e32 v0, 0x13b
	v_mov_b32_e32 v1, s0
	v_mov_b32_e32 v2, s1
	s_mov_b32 s32, 0
	s_swappc_b64 s[30:31], s[2:3]
	.section	.rodata,"a",@progbits
	.p2align	6, 0x0
	.amdhsa_kernel _ZL13mul_mat_f_idsI15__hip_bfloat162Li32ELi3ELi7EEvPKT_PKfPKiS7_S7_Pfiiiiiiiiiiiiii15HIP_vector_typeIjLj3EESA_
		.amdhsa_group_segment_fixed_size 0
		.amdhsa_private_segment_fixed_size 16
		.amdhsa_kernarg_size 384
		.amdhsa_user_sgpr_count 2
		.amdhsa_user_sgpr_dispatch_ptr 0
		.amdhsa_user_sgpr_queue_ptr 0
		.amdhsa_user_sgpr_kernarg_segment_ptr 1
		.amdhsa_user_sgpr_dispatch_id 0
		.amdhsa_user_sgpr_kernarg_preload_length 0
		.amdhsa_user_sgpr_kernarg_preload_offset 0
		.amdhsa_user_sgpr_private_segment_size 0
		.amdhsa_uses_dynamic_stack 0
		.amdhsa_enable_private_segment 1
		.amdhsa_system_sgpr_workgroup_id_x 1
		.amdhsa_system_sgpr_workgroup_id_y 0
		.amdhsa_system_sgpr_workgroup_id_z 0
		.amdhsa_system_sgpr_workgroup_info 0
		.amdhsa_system_vgpr_workitem_id 0
		.amdhsa_next_free_vgpr 38
		.amdhsa_next_free_sgpr 34
		.amdhsa_accum_offset 40
		.amdhsa_reserve_vcc 1
		.amdhsa_float_round_mode_32 0
		.amdhsa_float_round_mode_16_64 0
		.amdhsa_float_denorm_mode_32 3
		.amdhsa_float_denorm_mode_16_64 3
		.amdhsa_dx10_clamp 1
		.amdhsa_ieee_mode 1
		.amdhsa_fp16_overflow 0
		.amdhsa_tg_split 0
		.amdhsa_exception_fp_ieee_invalid_op 0
		.amdhsa_exception_fp_denorm_src 0
		.amdhsa_exception_fp_ieee_div_zero 0
		.amdhsa_exception_fp_ieee_overflow 0
		.amdhsa_exception_fp_ieee_underflow 0
		.amdhsa_exception_fp_ieee_inexact 0
		.amdhsa_exception_int_div_zero 0
	.end_amdhsa_kernel
	.section	.text._ZL13mul_mat_f_idsI15__hip_bfloat162Li32ELi3ELi7EEvPKT_PKfPKiS7_S7_Pfiiiiiiiiiiiiii15HIP_vector_typeIjLj3EESA_,"axG",@progbits,_ZL13mul_mat_f_idsI15__hip_bfloat162Li32ELi3ELi7EEvPKT_PKfPKiS7_S7_Pfiiiiiiiiiiiiii15HIP_vector_typeIjLj3EESA_,comdat
.Lfunc_end69:
	.size	_ZL13mul_mat_f_idsI15__hip_bfloat162Li32ELi3ELi7EEvPKT_PKfPKiS7_S7_Pfiiiiiiiiiiiiii15HIP_vector_typeIjLj3EESA_, .Lfunc_end69-_ZL13mul_mat_f_idsI15__hip_bfloat162Li32ELi3ELi7EEvPKT_PKfPKiS7_S7_Pfiiiiiiiiiiiiii15HIP_vector_typeIjLj3EESA_
                                        ; -- End function
	.set _ZL13mul_mat_f_idsI15__hip_bfloat162Li32ELi3ELi7EEvPKT_PKfPKiS7_S7_Pfiiiiiiiiiiiiii15HIP_vector_typeIjLj3EESA_.num_vgpr, max(3, .L_ZL14no_device_codePKciS0_iS0_.num_vgpr)
	.set _ZL13mul_mat_f_idsI15__hip_bfloat162Li32ELi3ELi7EEvPKT_PKfPKiS7_S7_Pfiiiiiiiiiiiiii15HIP_vector_typeIjLj3EESA_.num_agpr, max(0, .L_ZL14no_device_codePKciS0_iS0_.num_agpr)
	.set _ZL13mul_mat_f_idsI15__hip_bfloat162Li32ELi3ELi7EEvPKT_PKfPKiS7_S7_Pfiiiiiiiiiiiiii15HIP_vector_typeIjLj3EESA_.numbered_sgpr, max(33, .L_ZL14no_device_codePKciS0_iS0_.numbered_sgpr)
	.set _ZL13mul_mat_f_idsI15__hip_bfloat162Li32ELi3ELi7EEvPKT_PKfPKiS7_S7_Pfiiiiiiiiiiiiii15HIP_vector_typeIjLj3EESA_.num_named_barrier, max(0, .L_ZL14no_device_codePKciS0_iS0_.num_named_barrier)
	.set _ZL13mul_mat_f_idsI15__hip_bfloat162Li32ELi3ELi7EEvPKT_PKfPKiS7_S7_Pfiiiiiiiiiiiiii15HIP_vector_typeIjLj3EESA_.private_seg_size, 0+max(.L_ZL14no_device_codePKciS0_iS0_.private_seg_size)
	.set _ZL13mul_mat_f_idsI15__hip_bfloat162Li32ELi3ELi7EEvPKT_PKfPKiS7_S7_Pfiiiiiiiiiiiiii15HIP_vector_typeIjLj3EESA_.uses_vcc, or(1, .L_ZL14no_device_codePKciS0_iS0_.uses_vcc)
	.set _ZL13mul_mat_f_idsI15__hip_bfloat162Li32ELi3ELi7EEvPKT_PKfPKiS7_S7_Pfiiiiiiiiiiiiii15HIP_vector_typeIjLj3EESA_.uses_flat_scratch, or(0, .L_ZL14no_device_codePKciS0_iS0_.uses_flat_scratch)
	.set _ZL13mul_mat_f_idsI15__hip_bfloat162Li32ELi3ELi7EEvPKT_PKfPKiS7_S7_Pfiiiiiiiiiiiiii15HIP_vector_typeIjLj3EESA_.has_dyn_sized_stack, or(0, .L_ZL14no_device_codePKciS0_iS0_.has_dyn_sized_stack)
	.set _ZL13mul_mat_f_idsI15__hip_bfloat162Li32ELi3ELi7EEvPKT_PKfPKiS7_S7_Pfiiiiiiiiiiiiii15HIP_vector_typeIjLj3EESA_.has_recursion, or(0, .L_ZL14no_device_codePKciS0_iS0_.has_recursion)
	.set _ZL13mul_mat_f_idsI15__hip_bfloat162Li32ELi3ELi7EEvPKT_PKfPKiS7_S7_Pfiiiiiiiiiiiiii15HIP_vector_typeIjLj3EESA_.has_indirect_call, or(0, .L_ZL14no_device_codePKciS0_iS0_.has_indirect_call)
	.section	.AMDGPU.csdata,"",@progbits
; Kernel info:
; codeLenInByte = 76
; TotalNumSgprs: 40
; NumVgprs: 38
; NumAgprs: 0
; TotalNumVgprs: 38
; ScratchSize: 16
; MemoryBound: 0
; FloatMode: 240
; IeeeMode: 1
; LDSByteSize: 0 bytes/workgroup (compile time only)
; SGPRBlocks: 4
; VGPRBlocks: 4
; NumSGPRsForWavesPerEU: 40
; NumVGPRsForWavesPerEU: 38
; AccumOffset: 40
; Occupancy: 8
; WaveLimiterHint : 1
; COMPUTE_PGM_RSRC2:SCRATCH_EN: 1
; COMPUTE_PGM_RSRC2:USER_SGPR: 2
; COMPUTE_PGM_RSRC2:TRAP_HANDLER: 0
; COMPUTE_PGM_RSRC2:TGID_X_EN: 1
; COMPUTE_PGM_RSRC2:TGID_Y_EN: 0
; COMPUTE_PGM_RSRC2:TGID_Z_EN: 0
; COMPUTE_PGM_RSRC2:TIDIG_COMP_CNT: 0
; COMPUTE_PGM_RSRC3_GFX90A:ACCUM_OFFSET: 9
; COMPUTE_PGM_RSRC3_GFX90A:TG_SPLIT: 0
	.section	.text._ZL9mul_mat_fI15__hip_bfloat162Li32ELi3ELi7ELb1EEvPKT_PKfPKiPfiiiiiiiiiiiiiiii,"axG",@progbits,_ZL9mul_mat_fI15__hip_bfloat162Li32ELi3ELi7ELb1EEvPKT_PKfPKiPfiiiiiiiiiiiiiiii,comdat
	.globl	_ZL9mul_mat_fI15__hip_bfloat162Li32ELi3ELi7ELb1EEvPKT_PKfPKiPfiiiiiiiiiiiiiiii ; -- Begin function _ZL9mul_mat_fI15__hip_bfloat162Li32ELi3ELi7ELb1EEvPKT_PKfPKiPfiiiiiiiiiiiiiiii
	.p2align	8
	.type	_ZL9mul_mat_fI15__hip_bfloat162Li32ELi3ELi7ELb1EEvPKT_PKfPKiPfiiiiiiiiiiiiiiii,@function
_ZL9mul_mat_fI15__hip_bfloat162Li32ELi3ELi7ELb1EEvPKT_PKfPKiPfiiiiiiiiiiiiiiii: ; @_ZL9mul_mat_fI15__hip_bfloat162Li32ELi3ELi7ELb1EEvPKT_PKfPKiPfiiiiiiiiiiiiiiii
; %bb.0:
	s_add_u32 s8, s0, 0x60
	s_addc_u32 s9, s1, 0
	s_getpc_b64 s[0:1]
	s_add_u32 s0, s0, __FUNCTION__._ZL9mul_mat_fIfLi32ELi3ELi1ELb1EEvPKT_PKfPKiPfiiiiiiiiiiiiiiii@rel32@lo+4
	s_addc_u32 s1, s1, __FUNCTION__._ZL9mul_mat_fIfLi32ELi3ELi1ELb1EEvPKT_PKfPKiPfiiiiiiiiiiiiiiii@rel32@hi+12
	s_getpc_b64 s[2:3]
	s_add_u32 s2, s2, _ZL14no_device_codePKciS0_iS0_@rel32@lo+4
	s_addc_u32 s3, s3, _ZL14no_device_codePKciS0_iS0_@rel32@hi+12
	v_mov_b32_e32 v0, 64
	v_mov_b32_e32 v1, s0
	;; [unrolled: 1-line block ×3, first 2 shown]
	s_mov_b32 s32, 0
	s_swappc_b64 s[30:31], s[2:3]
	.section	.rodata,"a",@progbits
	.p2align	6, 0x0
	.amdhsa_kernel _ZL9mul_mat_fI15__hip_bfloat162Li32ELi3ELi7ELb1EEvPKT_PKfPKiPfiiiiiiiiiiiiiiii
		.amdhsa_group_segment_fixed_size 0
		.amdhsa_private_segment_fixed_size 16
		.amdhsa_kernarg_size 352
		.amdhsa_user_sgpr_count 2
		.amdhsa_user_sgpr_dispatch_ptr 0
		.amdhsa_user_sgpr_queue_ptr 0
		.amdhsa_user_sgpr_kernarg_segment_ptr 1
		.amdhsa_user_sgpr_dispatch_id 0
		.amdhsa_user_sgpr_kernarg_preload_length 0
		.amdhsa_user_sgpr_kernarg_preload_offset 0
		.amdhsa_user_sgpr_private_segment_size 0
		.amdhsa_uses_dynamic_stack 0
		.amdhsa_enable_private_segment 1
		.amdhsa_system_sgpr_workgroup_id_x 1
		.amdhsa_system_sgpr_workgroup_id_y 0
		.amdhsa_system_sgpr_workgroup_id_z 0
		.amdhsa_system_sgpr_workgroup_info 0
		.amdhsa_system_vgpr_workitem_id 0
		.amdhsa_next_free_vgpr 38
		.amdhsa_next_free_sgpr 34
		.amdhsa_accum_offset 40
		.amdhsa_reserve_vcc 1
		.amdhsa_float_round_mode_32 0
		.amdhsa_float_round_mode_16_64 0
		.amdhsa_float_denorm_mode_32 3
		.amdhsa_float_denorm_mode_16_64 3
		.amdhsa_dx10_clamp 1
		.amdhsa_ieee_mode 1
		.amdhsa_fp16_overflow 0
		.amdhsa_tg_split 0
		.amdhsa_exception_fp_ieee_invalid_op 0
		.amdhsa_exception_fp_denorm_src 0
		.amdhsa_exception_fp_ieee_div_zero 0
		.amdhsa_exception_fp_ieee_overflow 0
		.amdhsa_exception_fp_ieee_underflow 0
		.amdhsa_exception_fp_ieee_inexact 0
		.amdhsa_exception_int_div_zero 0
	.end_amdhsa_kernel
	.section	.text._ZL9mul_mat_fI15__hip_bfloat162Li32ELi3ELi7ELb1EEvPKT_PKfPKiPfiiiiiiiiiiiiiiii,"axG",@progbits,_ZL9mul_mat_fI15__hip_bfloat162Li32ELi3ELi7ELb1EEvPKT_PKfPKiPfiiiiiiiiiiiiiiii,comdat
.Lfunc_end70:
	.size	_ZL9mul_mat_fI15__hip_bfloat162Li32ELi3ELi7ELb1EEvPKT_PKfPKiPfiiiiiiiiiiiiiiii, .Lfunc_end70-_ZL9mul_mat_fI15__hip_bfloat162Li32ELi3ELi7ELb1EEvPKT_PKfPKiPfiiiiiiiiiiiiiiii
                                        ; -- End function
	.set _ZL9mul_mat_fI15__hip_bfloat162Li32ELi3ELi7ELb1EEvPKT_PKfPKiPfiiiiiiiiiiiiiiii.num_vgpr, max(3, .L_ZL14no_device_codePKciS0_iS0_.num_vgpr)
	.set _ZL9mul_mat_fI15__hip_bfloat162Li32ELi3ELi7ELb1EEvPKT_PKfPKiPfiiiiiiiiiiiiiiii.num_agpr, max(0, .L_ZL14no_device_codePKciS0_iS0_.num_agpr)
	.set _ZL9mul_mat_fI15__hip_bfloat162Li32ELi3ELi7ELb1EEvPKT_PKfPKiPfiiiiiiiiiiiiiiii.numbered_sgpr, max(33, .L_ZL14no_device_codePKciS0_iS0_.numbered_sgpr)
	.set _ZL9mul_mat_fI15__hip_bfloat162Li32ELi3ELi7ELb1EEvPKT_PKfPKiPfiiiiiiiiiiiiiiii.num_named_barrier, max(0, .L_ZL14no_device_codePKciS0_iS0_.num_named_barrier)
	.set _ZL9mul_mat_fI15__hip_bfloat162Li32ELi3ELi7ELb1EEvPKT_PKfPKiPfiiiiiiiiiiiiiiii.private_seg_size, 0+max(.L_ZL14no_device_codePKciS0_iS0_.private_seg_size)
	.set _ZL9mul_mat_fI15__hip_bfloat162Li32ELi3ELi7ELb1EEvPKT_PKfPKiPfiiiiiiiiiiiiiiii.uses_vcc, or(1, .L_ZL14no_device_codePKciS0_iS0_.uses_vcc)
	.set _ZL9mul_mat_fI15__hip_bfloat162Li32ELi3ELi7ELb1EEvPKT_PKfPKiPfiiiiiiiiiiiiiiii.uses_flat_scratch, or(0, .L_ZL14no_device_codePKciS0_iS0_.uses_flat_scratch)
	.set _ZL9mul_mat_fI15__hip_bfloat162Li32ELi3ELi7ELb1EEvPKT_PKfPKiPfiiiiiiiiiiiiiiii.has_dyn_sized_stack, or(0, .L_ZL14no_device_codePKciS0_iS0_.has_dyn_sized_stack)
	.set _ZL9mul_mat_fI15__hip_bfloat162Li32ELi3ELi7ELb1EEvPKT_PKfPKiPfiiiiiiiiiiiiiiii.has_recursion, or(0, .L_ZL14no_device_codePKciS0_iS0_.has_recursion)
	.set _ZL9mul_mat_fI15__hip_bfloat162Li32ELi3ELi7ELb1EEvPKT_PKfPKiPfiiiiiiiiiiiiiiii.has_indirect_call, or(0, .L_ZL14no_device_codePKciS0_iS0_.has_indirect_call)
	.section	.AMDGPU.csdata,"",@progbits
; Kernel info:
; codeLenInByte = 72
; TotalNumSgprs: 40
; NumVgprs: 38
; NumAgprs: 0
; TotalNumVgprs: 38
; ScratchSize: 16
; MemoryBound: 0
; FloatMode: 240
; IeeeMode: 1
; LDSByteSize: 0 bytes/workgroup (compile time only)
; SGPRBlocks: 4
; VGPRBlocks: 4
; NumSGPRsForWavesPerEU: 40
; NumVGPRsForWavesPerEU: 38
; AccumOffset: 40
; Occupancy: 8
; WaveLimiterHint : 1
; COMPUTE_PGM_RSRC2:SCRATCH_EN: 1
; COMPUTE_PGM_RSRC2:USER_SGPR: 2
; COMPUTE_PGM_RSRC2:TRAP_HANDLER: 0
; COMPUTE_PGM_RSRC2:TGID_X_EN: 1
; COMPUTE_PGM_RSRC2:TGID_Y_EN: 0
; COMPUTE_PGM_RSRC2:TGID_Z_EN: 0
; COMPUTE_PGM_RSRC2:TIDIG_COMP_CNT: 0
; COMPUTE_PGM_RSRC3_GFX90A:ACCUM_OFFSET: 9
; COMPUTE_PGM_RSRC3_GFX90A:TG_SPLIT: 0
	.section	.text._ZL9mul_mat_fI15__hip_bfloat162Li32ELi3ELi7ELb0EEvPKT_PKfPKiPfiiiiiiiiiiiiiiii,"axG",@progbits,_ZL9mul_mat_fI15__hip_bfloat162Li32ELi3ELi7ELb0EEvPKT_PKfPKiPfiiiiiiiiiiiiiiii,comdat
	.globl	_ZL9mul_mat_fI15__hip_bfloat162Li32ELi3ELi7ELb0EEvPKT_PKfPKiPfiiiiiiiiiiiiiiii ; -- Begin function _ZL9mul_mat_fI15__hip_bfloat162Li32ELi3ELi7ELb0EEvPKT_PKfPKiPfiiiiiiiiiiiiiiii
	.p2align	8
	.type	_ZL9mul_mat_fI15__hip_bfloat162Li32ELi3ELi7ELb0EEvPKT_PKfPKiPfiiiiiiiiiiiiiiii,@function
_ZL9mul_mat_fI15__hip_bfloat162Li32ELi3ELi7ELb0EEvPKT_PKfPKiPfiiiiiiiiiiiiiiii: ; @_ZL9mul_mat_fI15__hip_bfloat162Li32ELi3ELi7ELb0EEvPKT_PKfPKiPfiiiiiiiiiiiiiiii
; %bb.0:
	s_add_u32 s8, s0, 0x60
	s_addc_u32 s9, s1, 0
	s_getpc_b64 s[0:1]
	s_add_u32 s0, s0, __FUNCTION__._ZL9mul_mat_fIfLi32ELi3ELi1ELb1EEvPKT_PKfPKiPfiiiiiiiiiiiiiiii@rel32@lo+4
	s_addc_u32 s1, s1, __FUNCTION__._ZL9mul_mat_fIfLi32ELi3ELi1ELb1EEvPKT_PKfPKiPfiiiiiiiiiiiiiiii@rel32@hi+12
	s_getpc_b64 s[2:3]
	s_add_u32 s2, s2, _ZL14no_device_codePKciS0_iS0_@rel32@lo+4
	s_addc_u32 s3, s3, _ZL14no_device_codePKciS0_iS0_@rel32@hi+12
	v_mov_b32_e32 v0, 64
	v_mov_b32_e32 v1, s0
	;; [unrolled: 1-line block ×3, first 2 shown]
	s_mov_b32 s32, 0
	s_swappc_b64 s[30:31], s[2:3]
	.section	.rodata,"a",@progbits
	.p2align	6, 0x0
	.amdhsa_kernel _ZL9mul_mat_fI15__hip_bfloat162Li32ELi3ELi7ELb0EEvPKT_PKfPKiPfiiiiiiiiiiiiiiii
		.amdhsa_group_segment_fixed_size 0
		.amdhsa_private_segment_fixed_size 16
		.amdhsa_kernarg_size 352
		.amdhsa_user_sgpr_count 2
		.amdhsa_user_sgpr_dispatch_ptr 0
		.amdhsa_user_sgpr_queue_ptr 0
		.amdhsa_user_sgpr_kernarg_segment_ptr 1
		.amdhsa_user_sgpr_dispatch_id 0
		.amdhsa_user_sgpr_kernarg_preload_length 0
		.amdhsa_user_sgpr_kernarg_preload_offset 0
		.amdhsa_user_sgpr_private_segment_size 0
		.amdhsa_uses_dynamic_stack 0
		.amdhsa_enable_private_segment 1
		.amdhsa_system_sgpr_workgroup_id_x 1
		.amdhsa_system_sgpr_workgroup_id_y 0
		.amdhsa_system_sgpr_workgroup_id_z 0
		.amdhsa_system_sgpr_workgroup_info 0
		.amdhsa_system_vgpr_workitem_id 0
		.amdhsa_next_free_vgpr 38
		.amdhsa_next_free_sgpr 34
		.amdhsa_accum_offset 40
		.amdhsa_reserve_vcc 1
		.amdhsa_float_round_mode_32 0
		.amdhsa_float_round_mode_16_64 0
		.amdhsa_float_denorm_mode_32 3
		.amdhsa_float_denorm_mode_16_64 3
		.amdhsa_dx10_clamp 1
		.amdhsa_ieee_mode 1
		.amdhsa_fp16_overflow 0
		.amdhsa_tg_split 0
		.amdhsa_exception_fp_ieee_invalid_op 0
		.amdhsa_exception_fp_denorm_src 0
		.amdhsa_exception_fp_ieee_div_zero 0
		.amdhsa_exception_fp_ieee_overflow 0
		.amdhsa_exception_fp_ieee_underflow 0
		.amdhsa_exception_fp_ieee_inexact 0
		.amdhsa_exception_int_div_zero 0
	.end_amdhsa_kernel
	.section	.text._ZL9mul_mat_fI15__hip_bfloat162Li32ELi3ELi7ELb0EEvPKT_PKfPKiPfiiiiiiiiiiiiiiii,"axG",@progbits,_ZL9mul_mat_fI15__hip_bfloat162Li32ELi3ELi7ELb0EEvPKT_PKfPKiPfiiiiiiiiiiiiiiii,comdat
.Lfunc_end71:
	.size	_ZL9mul_mat_fI15__hip_bfloat162Li32ELi3ELi7ELb0EEvPKT_PKfPKiPfiiiiiiiiiiiiiiii, .Lfunc_end71-_ZL9mul_mat_fI15__hip_bfloat162Li32ELi3ELi7ELb0EEvPKT_PKfPKiPfiiiiiiiiiiiiiiii
                                        ; -- End function
	.set _ZL9mul_mat_fI15__hip_bfloat162Li32ELi3ELi7ELb0EEvPKT_PKfPKiPfiiiiiiiiiiiiiiii.num_vgpr, max(3, .L_ZL14no_device_codePKciS0_iS0_.num_vgpr)
	.set _ZL9mul_mat_fI15__hip_bfloat162Li32ELi3ELi7ELb0EEvPKT_PKfPKiPfiiiiiiiiiiiiiiii.num_agpr, max(0, .L_ZL14no_device_codePKciS0_iS0_.num_agpr)
	.set _ZL9mul_mat_fI15__hip_bfloat162Li32ELi3ELi7ELb0EEvPKT_PKfPKiPfiiiiiiiiiiiiiiii.numbered_sgpr, max(33, .L_ZL14no_device_codePKciS0_iS0_.numbered_sgpr)
	.set _ZL9mul_mat_fI15__hip_bfloat162Li32ELi3ELi7ELb0EEvPKT_PKfPKiPfiiiiiiiiiiiiiiii.num_named_barrier, max(0, .L_ZL14no_device_codePKciS0_iS0_.num_named_barrier)
	.set _ZL9mul_mat_fI15__hip_bfloat162Li32ELi3ELi7ELb0EEvPKT_PKfPKiPfiiiiiiiiiiiiiiii.private_seg_size, 0+max(.L_ZL14no_device_codePKciS0_iS0_.private_seg_size)
	.set _ZL9mul_mat_fI15__hip_bfloat162Li32ELi3ELi7ELb0EEvPKT_PKfPKiPfiiiiiiiiiiiiiiii.uses_vcc, or(1, .L_ZL14no_device_codePKciS0_iS0_.uses_vcc)
	.set _ZL9mul_mat_fI15__hip_bfloat162Li32ELi3ELi7ELb0EEvPKT_PKfPKiPfiiiiiiiiiiiiiiii.uses_flat_scratch, or(0, .L_ZL14no_device_codePKciS0_iS0_.uses_flat_scratch)
	.set _ZL9mul_mat_fI15__hip_bfloat162Li32ELi3ELi7ELb0EEvPKT_PKfPKiPfiiiiiiiiiiiiiiii.has_dyn_sized_stack, or(0, .L_ZL14no_device_codePKciS0_iS0_.has_dyn_sized_stack)
	.set _ZL9mul_mat_fI15__hip_bfloat162Li32ELi3ELi7ELb0EEvPKT_PKfPKiPfiiiiiiiiiiiiiiii.has_recursion, or(0, .L_ZL14no_device_codePKciS0_iS0_.has_recursion)
	.set _ZL9mul_mat_fI15__hip_bfloat162Li32ELi3ELi7ELb0EEvPKT_PKfPKiPfiiiiiiiiiiiiiiii.has_indirect_call, or(0, .L_ZL14no_device_codePKciS0_iS0_.has_indirect_call)
	.section	.AMDGPU.csdata,"",@progbits
; Kernel info:
; codeLenInByte = 72
; TotalNumSgprs: 40
; NumVgprs: 38
; NumAgprs: 0
; TotalNumVgprs: 38
; ScratchSize: 16
; MemoryBound: 0
; FloatMode: 240
; IeeeMode: 1
; LDSByteSize: 0 bytes/workgroup (compile time only)
; SGPRBlocks: 4
; VGPRBlocks: 4
; NumSGPRsForWavesPerEU: 40
; NumVGPRsForWavesPerEU: 38
; AccumOffset: 40
; Occupancy: 8
; WaveLimiterHint : 1
; COMPUTE_PGM_RSRC2:SCRATCH_EN: 1
; COMPUTE_PGM_RSRC2:USER_SGPR: 2
; COMPUTE_PGM_RSRC2:TRAP_HANDLER: 0
; COMPUTE_PGM_RSRC2:TGID_X_EN: 1
; COMPUTE_PGM_RSRC2:TGID_Y_EN: 0
; COMPUTE_PGM_RSRC2:TGID_Z_EN: 0
; COMPUTE_PGM_RSRC2:TIDIG_COMP_CNT: 0
; COMPUTE_PGM_RSRC3_GFX90A:ACCUM_OFFSET: 9
; COMPUTE_PGM_RSRC3_GFX90A:TG_SPLIT: 0
	.section	.text._ZL13mul_mat_f_idsI15__hip_bfloat162Li32ELi3ELi8EEvPKT_PKfPKiS7_S7_Pfiiiiiiiiiiiiii15HIP_vector_typeIjLj3EESA_,"axG",@progbits,_ZL13mul_mat_f_idsI15__hip_bfloat162Li32ELi3ELi8EEvPKT_PKfPKiS7_S7_Pfiiiiiiiiiiiiii15HIP_vector_typeIjLj3EESA_,comdat
	.globl	_ZL13mul_mat_f_idsI15__hip_bfloat162Li32ELi3ELi8EEvPKT_PKfPKiS7_S7_Pfiiiiiiiiiiiiii15HIP_vector_typeIjLj3EESA_ ; -- Begin function _ZL13mul_mat_f_idsI15__hip_bfloat162Li32ELi3ELi8EEvPKT_PKfPKiS7_S7_Pfiiiiiiiiiiiiii15HIP_vector_typeIjLj3EESA_
	.p2align	8
	.type	_ZL13mul_mat_f_idsI15__hip_bfloat162Li32ELi3ELi8EEvPKT_PKfPKiS7_S7_Pfiiiiiiiiiiiiii15HIP_vector_typeIjLj3EESA_,@function
_ZL13mul_mat_f_idsI15__hip_bfloat162Li32ELi3ELi8EEvPKT_PKfPKiS7_S7_Pfiiiiiiiiiiiiii15HIP_vector_typeIjLj3EESA_: ; @_ZL13mul_mat_f_idsI15__hip_bfloat162Li32ELi3ELi8EEvPKT_PKfPKiS7_S7_Pfiiiiiiiiiiiiii15HIP_vector_typeIjLj3EESA_
; %bb.0:
	s_add_u32 s8, s0, 0x80
	s_addc_u32 s9, s1, 0
	s_getpc_b64 s[0:1]
	s_add_u32 s0, s0, __FUNCTION__._ZL13mul_mat_f_idsIfLi32ELi3ELi1EEvPKT_PKfPKiS6_S6_Pfiiiiiiiiiiiiii15HIP_vector_typeIjLj3EES9_@rel32@lo+4
	s_addc_u32 s1, s1, __FUNCTION__._ZL13mul_mat_f_idsIfLi32ELi3ELi1EEvPKT_PKfPKiS6_S6_Pfiiiiiiiiiiiiii15HIP_vector_typeIjLj3EES9_@rel32@hi+12
	s_getpc_b64 s[2:3]
	s_add_u32 s2, s2, _ZL14no_device_codePKciS0_iS0_@rel32@lo+4
	s_addc_u32 s3, s3, _ZL14no_device_codePKciS0_iS0_@rel32@hi+12
	v_mov_b32_e32 v0, 0x13b
	v_mov_b32_e32 v1, s0
	;; [unrolled: 1-line block ×3, first 2 shown]
	s_mov_b32 s32, 0
	s_swappc_b64 s[30:31], s[2:3]
	.section	.rodata,"a",@progbits
	.p2align	6, 0x0
	.amdhsa_kernel _ZL13mul_mat_f_idsI15__hip_bfloat162Li32ELi3ELi8EEvPKT_PKfPKiS7_S7_Pfiiiiiiiiiiiiii15HIP_vector_typeIjLj3EESA_
		.amdhsa_group_segment_fixed_size 0
		.amdhsa_private_segment_fixed_size 16
		.amdhsa_kernarg_size 384
		.amdhsa_user_sgpr_count 2
		.amdhsa_user_sgpr_dispatch_ptr 0
		.amdhsa_user_sgpr_queue_ptr 0
		.amdhsa_user_sgpr_kernarg_segment_ptr 1
		.amdhsa_user_sgpr_dispatch_id 0
		.amdhsa_user_sgpr_kernarg_preload_length 0
		.amdhsa_user_sgpr_kernarg_preload_offset 0
		.amdhsa_user_sgpr_private_segment_size 0
		.amdhsa_uses_dynamic_stack 0
		.amdhsa_enable_private_segment 1
		.amdhsa_system_sgpr_workgroup_id_x 1
		.amdhsa_system_sgpr_workgroup_id_y 0
		.amdhsa_system_sgpr_workgroup_id_z 0
		.amdhsa_system_sgpr_workgroup_info 0
		.amdhsa_system_vgpr_workitem_id 0
		.amdhsa_next_free_vgpr 38
		.amdhsa_next_free_sgpr 34
		.amdhsa_accum_offset 40
		.amdhsa_reserve_vcc 1
		.amdhsa_float_round_mode_32 0
		.amdhsa_float_round_mode_16_64 0
		.amdhsa_float_denorm_mode_32 3
		.amdhsa_float_denorm_mode_16_64 3
		.amdhsa_dx10_clamp 1
		.amdhsa_ieee_mode 1
		.amdhsa_fp16_overflow 0
		.amdhsa_tg_split 0
		.amdhsa_exception_fp_ieee_invalid_op 0
		.amdhsa_exception_fp_denorm_src 0
		.amdhsa_exception_fp_ieee_div_zero 0
		.amdhsa_exception_fp_ieee_overflow 0
		.amdhsa_exception_fp_ieee_underflow 0
		.amdhsa_exception_fp_ieee_inexact 0
		.amdhsa_exception_int_div_zero 0
	.end_amdhsa_kernel
	.section	.text._ZL13mul_mat_f_idsI15__hip_bfloat162Li32ELi3ELi8EEvPKT_PKfPKiS7_S7_Pfiiiiiiiiiiiiii15HIP_vector_typeIjLj3EESA_,"axG",@progbits,_ZL13mul_mat_f_idsI15__hip_bfloat162Li32ELi3ELi8EEvPKT_PKfPKiS7_S7_Pfiiiiiiiiiiiiii15HIP_vector_typeIjLj3EESA_,comdat
.Lfunc_end72:
	.size	_ZL13mul_mat_f_idsI15__hip_bfloat162Li32ELi3ELi8EEvPKT_PKfPKiS7_S7_Pfiiiiiiiiiiiiii15HIP_vector_typeIjLj3EESA_, .Lfunc_end72-_ZL13mul_mat_f_idsI15__hip_bfloat162Li32ELi3ELi8EEvPKT_PKfPKiS7_S7_Pfiiiiiiiiiiiiii15HIP_vector_typeIjLj3EESA_
                                        ; -- End function
	.set _ZL13mul_mat_f_idsI15__hip_bfloat162Li32ELi3ELi8EEvPKT_PKfPKiS7_S7_Pfiiiiiiiiiiiiii15HIP_vector_typeIjLj3EESA_.num_vgpr, max(3, .L_ZL14no_device_codePKciS0_iS0_.num_vgpr)
	.set _ZL13mul_mat_f_idsI15__hip_bfloat162Li32ELi3ELi8EEvPKT_PKfPKiS7_S7_Pfiiiiiiiiiiiiii15HIP_vector_typeIjLj3EESA_.num_agpr, max(0, .L_ZL14no_device_codePKciS0_iS0_.num_agpr)
	.set _ZL13mul_mat_f_idsI15__hip_bfloat162Li32ELi3ELi8EEvPKT_PKfPKiS7_S7_Pfiiiiiiiiiiiiii15HIP_vector_typeIjLj3EESA_.numbered_sgpr, max(33, .L_ZL14no_device_codePKciS0_iS0_.numbered_sgpr)
	.set _ZL13mul_mat_f_idsI15__hip_bfloat162Li32ELi3ELi8EEvPKT_PKfPKiS7_S7_Pfiiiiiiiiiiiiii15HIP_vector_typeIjLj3EESA_.num_named_barrier, max(0, .L_ZL14no_device_codePKciS0_iS0_.num_named_barrier)
	.set _ZL13mul_mat_f_idsI15__hip_bfloat162Li32ELi3ELi8EEvPKT_PKfPKiS7_S7_Pfiiiiiiiiiiiiii15HIP_vector_typeIjLj3EESA_.private_seg_size, 0+max(.L_ZL14no_device_codePKciS0_iS0_.private_seg_size)
	.set _ZL13mul_mat_f_idsI15__hip_bfloat162Li32ELi3ELi8EEvPKT_PKfPKiS7_S7_Pfiiiiiiiiiiiiii15HIP_vector_typeIjLj3EESA_.uses_vcc, or(1, .L_ZL14no_device_codePKciS0_iS0_.uses_vcc)
	.set _ZL13mul_mat_f_idsI15__hip_bfloat162Li32ELi3ELi8EEvPKT_PKfPKiS7_S7_Pfiiiiiiiiiiiiii15HIP_vector_typeIjLj3EESA_.uses_flat_scratch, or(0, .L_ZL14no_device_codePKciS0_iS0_.uses_flat_scratch)
	.set _ZL13mul_mat_f_idsI15__hip_bfloat162Li32ELi3ELi8EEvPKT_PKfPKiS7_S7_Pfiiiiiiiiiiiiii15HIP_vector_typeIjLj3EESA_.has_dyn_sized_stack, or(0, .L_ZL14no_device_codePKciS0_iS0_.has_dyn_sized_stack)
	.set _ZL13mul_mat_f_idsI15__hip_bfloat162Li32ELi3ELi8EEvPKT_PKfPKiS7_S7_Pfiiiiiiiiiiiiii15HIP_vector_typeIjLj3EESA_.has_recursion, or(0, .L_ZL14no_device_codePKciS0_iS0_.has_recursion)
	.set _ZL13mul_mat_f_idsI15__hip_bfloat162Li32ELi3ELi8EEvPKT_PKfPKiS7_S7_Pfiiiiiiiiiiiiii15HIP_vector_typeIjLj3EESA_.has_indirect_call, or(0, .L_ZL14no_device_codePKciS0_iS0_.has_indirect_call)
	.section	.AMDGPU.csdata,"",@progbits
; Kernel info:
; codeLenInByte = 76
; TotalNumSgprs: 40
; NumVgprs: 38
; NumAgprs: 0
; TotalNumVgprs: 38
; ScratchSize: 16
; MemoryBound: 0
; FloatMode: 240
; IeeeMode: 1
; LDSByteSize: 0 bytes/workgroup (compile time only)
; SGPRBlocks: 4
; VGPRBlocks: 4
; NumSGPRsForWavesPerEU: 40
; NumVGPRsForWavesPerEU: 38
; AccumOffset: 40
; Occupancy: 8
; WaveLimiterHint : 1
; COMPUTE_PGM_RSRC2:SCRATCH_EN: 1
; COMPUTE_PGM_RSRC2:USER_SGPR: 2
; COMPUTE_PGM_RSRC2:TRAP_HANDLER: 0
; COMPUTE_PGM_RSRC2:TGID_X_EN: 1
; COMPUTE_PGM_RSRC2:TGID_Y_EN: 0
; COMPUTE_PGM_RSRC2:TGID_Z_EN: 0
; COMPUTE_PGM_RSRC2:TIDIG_COMP_CNT: 0
; COMPUTE_PGM_RSRC3_GFX90A:ACCUM_OFFSET: 9
; COMPUTE_PGM_RSRC3_GFX90A:TG_SPLIT: 0
	.section	.text._ZL9mul_mat_fI15__hip_bfloat162Li32ELi3ELi8ELb1EEvPKT_PKfPKiPfiiiiiiiiiiiiiiii,"axG",@progbits,_ZL9mul_mat_fI15__hip_bfloat162Li32ELi3ELi8ELb1EEvPKT_PKfPKiPfiiiiiiiiiiiiiiii,comdat
	.globl	_ZL9mul_mat_fI15__hip_bfloat162Li32ELi3ELi8ELb1EEvPKT_PKfPKiPfiiiiiiiiiiiiiiii ; -- Begin function _ZL9mul_mat_fI15__hip_bfloat162Li32ELi3ELi8ELb1EEvPKT_PKfPKiPfiiiiiiiiiiiiiiii
	.p2align	8
	.type	_ZL9mul_mat_fI15__hip_bfloat162Li32ELi3ELi8ELb1EEvPKT_PKfPKiPfiiiiiiiiiiiiiiii,@function
_ZL9mul_mat_fI15__hip_bfloat162Li32ELi3ELi8ELb1EEvPKT_PKfPKiPfiiiiiiiiiiiiiiii: ; @_ZL9mul_mat_fI15__hip_bfloat162Li32ELi3ELi8ELb1EEvPKT_PKfPKiPfiiiiiiiiiiiiiiii
; %bb.0:
	s_add_u32 s8, s0, 0x60
	s_addc_u32 s9, s1, 0
	s_getpc_b64 s[0:1]
	s_add_u32 s0, s0, __FUNCTION__._ZL9mul_mat_fIfLi32ELi3ELi1ELb1EEvPKT_PKfPKiPfiiiiiiiiiiiiiiii@rel32@lo+4
	s_addc_u32 s1, s1, __FUNCTION__._ZL9mul_mat_fIfLi32ELi3ELi1ELb1EEvPKT_PKfPKiPfiiiiiiiiiiiiiiii@rel32@hi+12
	s_getpc_b64 s[2:3]
	s_add_u32 s2, s2, _ZL14no_device_codePKciS0_iS0_@rel32@lo+4
	s_addc_u32 s3, s3, _ZL14no_device_codePKciS0_iS0_@rel32@hi+12
	v_mov_b32_e32 v0, 64
	v_mov_b32_e32 v1, s0
	;; [unrolled: 1-line block ×3, first 2 shown]
	s_mov_b32 s32, 0
	s_swappc_b64 s[30:31], s[2:3]
	.section	.rodata,"a",@progbits
	.p2align	6, 0x0
	.amdhsa_kernel _ZL9mul_mat_fI15__hip_bfloat162Li32ELi3ELi8ELb1EEvPKT_PKfPKiPfiiiiiiiiiiiiiiii
		.amdhsa_group_segment_fixed_size 0
		.amdhsa_private_segment_fixed_size 16
		.amdhsa_kernarg_size 352
		.amdhsa_user_sgpr_count 2
		.amdhsa_user_sgpr_dispatch_ptr 0
		.amdhsa_user_sgpr_queue_ptr 0
		.amdhsa_user_sgpr_kernarg_segment_ptr 1
		.amdhsa_user_sgpr_dispatch_id 0
		.amdhsa_user_sgpr_kernarg_preload_length 0
		.amdhsa_user_sgpr_kernarg_preload_offset 0
		.amdhsa_user_sgpr_private_segment_size 0
		.amdhsa_uses_dynamic_stack 0
		.amdhsa_enable_private_segment 1
		.amdhsa_system_sgpr_workgroup_id_x 1
		.amdhsa_system_sgpr_workgroup_id_y 0
		.amdhsa_system_sgpr_workgroup_id_z 0
		.amdhsa_system_sgpr_workgroup_info 0
		.amdhsa_system_vgpr_workitem_id 0
		.amdhsa_next_free_vgpr 38
		.amdhsa_next_free_sgpr 34
		.amdhsa_accum_offset 40
		.amdhsa_reserve_vcc 1
		.amdhsa_float_round_mode_32 0
		.amdhsa_float_round_mode_16_64 0
		.amdhsa_float_denorm_mode_32 3
		.amdhsa_float_denorm_mode_16_64 3
		.amdhsa_dx10_clamp 1
		.amdhsa_ieee_mode 1
		.amdhsa_fp16_overflow 0
		.amdhsa_tg_split 0
		.amdhsa_exception_fp_ieee_invalid_op 0
		.amdhsa_exception_fp_denorm_src 0
		.amdhsa_exception_fp_ieee_div_zero 0
		.amdhsa_exception_fp_ieee_overflow 0
		.amdhsa_exception_fp_ieee_underflow 0
		.amdhsa_exception_fp_ieee_inexact 0
		.amdhsa_exception_int_div_zero 0
	.end_amdhsa_kernel
	.section	.text._ZL9mul_mat_fI15__hip_bfloat162Li32ELi3ELi8ELb1EEvPKT_PKfPKiPfiiiiiiiiiiiiiiii,"axG",@progbits,_ZL9mul_mat_fI15__hip_bfloat162Li32ELi3ELi8ELb1EEvPKT_PKfPKiPfiiiiiiiiiiiiiiii,comdat
.Lfunc_end73:
	.size	_ZL9mul_mat_fI15__hip_bfloat162Li32ELi3ELi8ELb1EEvPKT_PKfPKiPfiiiiiiiiiiiiiiii, .Lfunc_end73-_ZL9mul_mat_fI15__hip_bfloat162Li32ELi3ELi8ELb1EEvPKT_PKfPKiPfiiiiiiiiiiiiiiii
                                        ; -- End function
	.set _ZL9mul_mat_fI15__hip_bfloat162Li32ELi3ELi8ELb1EEvPKT_PKfPKiPfiiiiiiiiiiiiiiii.num_vgpr, max(3, .L_ZL14no_device_codePKciS0_iS0_.num_vgpr)
	.set _ZL9mul_mat_fI15__hip_bfloat162Li32ELi3ELi8ELb1EEvPKT_PKfPKiPfiiiiiiiiiiiiiiii.num_agpr, max(0, .L_ZL14no_device_codePKciS0_iS0_.num_agpr)
	.set _ZL9mul_mat_fI15__hip_bfloat162Li32ELi3ELi8ELb1EEvPKT_PKfPKiPfiiiiiiiiiiiiiiii.numbered_sgpr, max(33, .L_ZL14no_device_codePKciS0_iS0_.numbered_sgpr)
	.set _ZL9mul_mat_fI15__hip_bfloat162Li32ELi3ELi8ELb1EEvPKT_PKfPKiPfiiiiiiiiiiiiiiii.num_named_barrier, max(0, .L_ZL14no_device_codePKciS0_iS0_.num_named_barrier)
	.set _ZL9mul_mat_fI15__hip_bfloat162Li32ELi3ELi8ELb1EEvPKT_PKfPKiPfiiiiiiiiiiiiiiii.private_seg_size, 0+max(.L_ZL14no_device_codePKciS0_iS0_.private_seg_size)
	.set _ZL9mul_mat_fI15__hip_bfloat162Li32ELi3ELi8ELb1EEvPKT_PKfPKiPfiiiiiiiiiiiiiiii.uses_vcc, or(1, .L_ZL14no_device_codePKciS0_iS0_.uses_vcc)
	.set _ZL9mul_mat_fI15__hip_bfloat162Li32ELi3ELi8ELb1EEvPKT_PKfPKiPfiiiiiiiiiiiiiiii.uses_flat_scratch, or(0, .L_ZL14no_device_codePKciS0_iS0_.uses_flat_scratch)
	.set _ZL9mul_mat_fI15__hip_bfloat162Li32ELi3ELi8ELb1EEvPKT_PKfPKiPfiiiiiiiiiiiiiiii.has_dyn_sized_stack, or(0, .L_ZL14no_device_codePKciS0_iS0_.has_dyn_sized_stack)
	.set _ZL9mul_mat_fI15__hip_bfloat162Li32ELi3ELi8ELb1EEvPKT_PKfPKiPfiiiiiiiiiiiiiiii.has_recursion, or(0, .L_ZL14no_device_codePKciS0_iS0_.has_recursion)
	.set _ZL9mul_mat_fI15__hip_bfloat162Li32ELi3ELi8ELb1EEvPKT_PKfPKiPfiiiiiiiiiiiiiiii.has_indirect_call, or(0, .L_ZL14no_device_codePKciS0_iS0_.has_indirect_call)
	.section	.AMDGPU.csdata,"",@progbits
; Kernel info:
; codeLenInByte = 72
; TotalNumSgprs: 40
; NumVgprs: 38
; NumAgprs: 0
; TotalNumVgprs: 38
; ScratchSize: 16
; MemoryBound: 0
; FloatMode: 240
; IeeeMode: 1
; LDSByteSize: 0 bytes/workgroup (compile time only)
; SGPRBlocks: 4
; VGPRBlocks: 4
; NumSGPRsForWavesPerEU: 40
; NumVGPRsForWavesPerEU: 38
; AccumOffset: 40
; Occupancy: 8
; WaveLimiterHint : 1
; COMPUTE_PGM_RSRC2:SCRATCH_EN: 1
; COMPUTE_PGM_RSRC2:USER_SGPR: 2
; COMPUTE_PGM_RSRC2:TRAP_HANDLER: 0
; COMPUTE_PGM_RSRC2:TGID_X_EN: 1
; COMPUTE_PGM_RSRC2:TGID_Y_EN: 0
; COMPUTE_PGM_RSRC2:TGID_Z_EN: 0
; COMPUTE_PGM_RSRC2:TIDIG_COMP_CNT: 0
; COMPUTE_PGM_RSRC3_GFX90A:ACCUM_OFFSET: 9
; COMPUTE_PGM_RSRC3_GFX90A:TG_SPLIT: 0
	.section	.text._ZL9mul_mat_fI15__hip_bfloat162Li32ELi3ELi8ELb0EEvPKT_PKfPKiPfiiiiiiiiiiiiiiii,"axG",@progbits,_ZL9mul_mat_fI15__hip_bfloat162Li32ELi3ELi8ELb0EEvPKT_PKfPKiPfiiiiiiiiiiiiiiii,comdat
	.globl	_ZL9mul_mat_fI15__hip_bfloat162Li32ELi3ELi8ELb0EEvPKT_PKfPKiPfiiiiiiiiiiiiiiii ; -- Begin function _ZL9mul_mat_fI15__hip_bfloat162Li32ELi3ELi8ELb0EEvPKT_PKfPKiPfiiiiiiiiiiiiiiii
	.p2align	8
	.type	_ZL9mul_mat_fI15__hip_bfloat162Li32ELi3ELi8ELb0EEvPKT_PKfPKiPfiiiiiiiiiiiiiiii,@function
_ZL9mul_mat_fI15__hip_bfloat162Li32ELi3ELi8ELb0EEvPKT_PKfPKiPfiiiiiiiiiiiiiiii: ; @_ZL9mul_mat_fI15__hip_bfloat162Li32ELi3ELi8ELb0EEvPKT_PKfPKiPfiiiiiiiiiiiiiiii
; %bb.0:
	s_add_u32 s8, s0, 0x60
	s_addc_u32 s9, s1, 0
	s_getpc_b64 s[0:1]
	s_add_u32 s0, s0, __FUNCTION__._ZL9mul_mat_fIfLi32ELi3ELi1ELb1EEvPKT_PKfPKiPfiiiiiiiiiiiiiiii@rel32@lo+4
	s_addc_u32 s1, s1, __FUNCTION__._ZL9mul_mat_fIfLi32ELi3ELi1ELb1EEvPKT_PKfPKiPfiiiiiiiiiiiiiiii@rel32@hi+12
	s_getpc_b64 s[2:3]
	s_add_u32 s2, s2, _ZL14no_device_codePKciS0_iS0_@rel32@lo+4
	s_addc_u32 s3, s3, _ZL14no_device_codePKciS0_iS0_@rel32@hi+12
	v_mov_b32_e32 v0, 64
	v_mov_b32_e32 v1, s0
	;; [unrolled: 1-line block ×3, first 2 shown]
	s_mov_b32 s32, 0
	s_swappc_b64 s[30:31], s[2:3]
	.section	.rodata,"a",@progbits
	.p2align	6, 0x0
	.amdhsa_kernel _ZL9mul_mat_fI15__hip_bfloat162Li32ELi3ELi8ELb0EEvPKT_PKfPKiPfiiiiiiiiiiiiiiii
		.amdhsa_group_segment_fixed_size 0
		.amdhsa_private_segment_fixed_size 16
		.amdhsa_kernarg_size 352
		.amdhsa_user_sgpr_count 2
		.amdhsa_user_sgpr_dispatch_ptr 0
		.amdhsa_user_sgpr_queue_ptr 0
		.amdhsa_user_sgpr_kernarg_segment_ptr 1
		.amdhsa_user_sgpr_dispatch_id 0
		.amdhsa_user_sgpr_kernarg_preload_length 0
		.amdhsa_user_sgpr_kernarg_preload_offset 0
		.amdhsa_user_sgpr_private_segment_size 0
		.amdhsa_uses_dynamic_stack 0
		.amdhsa_enable_private_segment 1
		.amdhsa_system_sgpr_workgroup_id_x 1
		.amdhsa_system_sgpr_workgroup_id_y 0
		.amdhsa_system_sgpr_workgroup_id_z 0
		.amdhsa_system_sgpr_workgroup_info 0
		.amdhsa_system_vgpr_workitem_id 0
		.amdhsa_next_free_vgpr 38
		.amdhsa_next_free_sgpr 34
		.amdhsa_accum_offset 40
		.amdhsa_reserve_vcc 1
		.amdhsa_float_round_mode_32 0
		.amdhsa_float_round_mode_16_64 0
		.amdhsa_float_denorm_mode_32 3
		.amdhsa_float_denorm_mode_16_64 3
		.amdhsa_dx10_clamp 1
		.amdhsa_ieee_mode 1
		.amdhsa_fp16_overflow 0
		.amdhsa_tg_split 0
		.amdhsa_exception_fp_ieee_invalid_op 0
		.amdhsa_exception_fp_denorm_src 0
		.amdhsa_exception_fp_ieee_div_zero 0
		.amdhsa_exception_fp_ieee_overflow 0
		.amdhsa_exception_fp_ieee_underflow 0
		.amdhsa_exception_fp_ieee_inexact 0
		.amdhsa_exception_int_div_zero 0
	.end_amdhsa_kernel
	.section	.text._ZL9mul_mat_fI15__hip_bfloat162Li32ELi3ELi8ELb0EEvPKT_PKfPKiPfiiiiiiiiiiiiiiii,"axG",@progbits,_ZL9mul_mat_fI15__hip_bfloat162Li32ELi3ELi8ELb0EEvPKT_PKfPKiPfiiiiiiiiiiiiiiii,comdat
.Lfunc_end74:
	.size	_ZL9mul_mat_fI15__hip_bfloat162Li32ELi3ELi8ELb0EEvPKT_PKfPKiPfiiiiiiiiiiiiiiii, .Lfunc_end74-_ZL9mul_mat_fI15__hip_bfloat162Li32ELi3ELi8ELb0EEvPKT_PKfPKiPfiiiiiiiiiiiiiiii
                                        ; -- End function
	.set _ZL9mul_mat_fI15__hip_bfloat162Li32ELi3ELi8ELb0EEvPKT_PKfPKiPfiiiiiiiiiiiiiiii.num_vgpr, max(3, .L_ZL14no_device_codePKciS0_iS0_.num_vgpr)
	.set _ZL9mul_mat_fI15__hip_bfloat162Li32ELi3ELi8ELb0EEvPKT_PKfPKiPfiiiiiiiiiiiiiiii.num_agpr, max(0, .L_ZL14no_device_codePKciS0_iS0_.num_agpr)
	.set _ZL9mul_mat_fI15__hip_bfloat162Li32ELi3ELi8ELb0EEvPKT_PKfPKiPfiiiiiiiiiiiiiiii.numbered_sgpr, max(33, .L_ZL14no_device_codePKciS0_iS0_.numbered_sgpr)
	.set _ZL9mul_mat_fI15__hip_bfloat162Li32ELi3ELi8ELb0EEvPKT_PKfPKiPfiiiiiiiiiiiiiiii.num_named_barrier, max(0, .L_ZL14no_device_codePKciS0_iS0_.num_named_barrier)
	.set _ZL9mul_mat_fI15__hip_bfloat162Li32ELi3ELi8ELb0EEvPKT_PKfPKiPfiiiiiiiiiiiiiiii.private_seg_size, 0+max(.L_ZL14no_device_codePKciS0_iS0_.private_seg_size)
	.set _ZL9mul_mat_fI15__hip_bfloat162Li32ELi3ELi8ELb0EEvPKT_PKfPKiPfiiiiiiiiiiiiiiii.uses_vcc, or(1, .L_ZL14no_device_codePKciS0_iS0_.uses_vcc)
	.set _ZL9mul_mat_fI15__hip_bfloat162Li32ELi3ELi8ELb0EEvPKT_PKfPKiPfiiiiiiiiiiiiiiii.uses_flat_scratch, or(0, .L_ZL14no_device_codePKciS0_iS0_.uses_flat_scratch)
	.set _ZL9mul_mat_fI15__hip_bfloat162Li32ELi3ELi8ELb0EEvPKT_PKfPKiPfiiiiiiiiiiiiiiii.has_dyn_sized_stack, or(0, .L_ZL14no_device_codePKciS0_iS0_.has_dyn_sized_stack)
	.set _ZL9mul_mat_fI15__hip_bfloat162Li32ELi3ELi8ELb0EEvPKT_PKfPKiPfiiiiiiiiiiiiiiii.has_recursion, or(0, .L_ZL14no_device_codePKciS0_iS0_.has_recursion)
	.set _ZL9mul_mat_fI15__hip_bfloat162Li32ELi3ELi8ELb0EEvPKT_PKfPKiPfiiiiiiiiiiiiiiii.has_indirect_call, or(0, .L_ZL14no_device_codePKciS0_iS0_.has_indirect_call)
	.section	.AMDGPU.csdata,"",@progbits
; Kernel info:
; codeLenInByte = 72
; TotalNumSgprs: 40
; NumVgprs: 38
; NumAgprs: 0
; TotalNumVgprs: 38
; ScratchSize: 16
; MemoryBound: 0
; FloatMode: 240
; IeeeMode: 1
; LDSByteSize: 0 bytes/workgroup (compile time only)
; SGPRBlocks: 4
; VGPRBlocks: 4
; NumSGPRsForWavesPerEU: 40
; NumVGPRsForWavesPerEU: 38
; AccumOffset: 40
; Occupancy: 8
; WaveLimiterHint : 1
; COMPUTE_PGM_RSRC2:SCRATCH_EN: 1
; COMPUTE_PGM_RSRC2:USER_SGPR: 2
; COMPUTE_PGM_RSRC2:TRAP_HANDLER: 0
; COMPUTE_PGM_RSRC2:TGID_X_EN: 1
; COMPUTE_PGM_RSRC2:TGID_Y_EN: 0
; COMPUTE_PGM_RSRC2:TGID_Z_EN: 0
; COMPUTE_PGM_RSRC2:TIDIG_COMP_CNT: 0
; COMPUTE_PGM_RSRC3_GFX90A:ACCUM_OFFSET: 9
; COMPUTE_PGM_RSRC3_GFX90A:TG_SPLIT: 0
	.section	.text._ZL13mul_mat_f_idsIfLi64ELi3ELi1EEvPKT_PKfPKiS6_S6_Pfiiiiiiiiiiiiii15HIP_vector_typeIjLj3EES9_,"axG",@progbits,_ZL13mul_mat_f_idsIfLi64ELi3ELi1EEvPKT_PKfPKiS6_S6_Pfiiiiiiiiiiiiii15HIP_vector_typeIjLj3EES9_,comdat
	.globl	_ZL13mul_mat_f_idsIfLi64ELi3ELi1EEvPKT_PKfPKiS6_S6_Pfiiiiiiiiiiiiii15HIP_vector_typeIjLj3EES9_ ; -- Begin function _ZL13mul_mat_f_idsIfLi64ELi3ELi1EEvPKT_PKfPKiS6_S6_Pfiiiiiiiiiiiiii15HIP_vector_typeIjLj3EES9_
	.p2align	8
	.type	_ZL13mul_mat_f_idsIfLi64ELi3ELi1EEvPKT_PKfPKiS6_S6_Pfiiiiiiiiiiiiii15HIP_vector_typeIjLj3EES9_,@function
_ZL13mul_mat_f_idsIfLi64ELi3ELi1EEvPKT_PKfPKiS6_S6_Pfiiiiiiiiiiiiii15HIP_vector_typeIjLj3EES9_: ; @_ZL13mul_mat_f_idsIfLi64ELi3ELi1EEvPKT_PKfPKiS6_S6_Pfiiiiiiiiiiiiii15HIP_vector_typeIjLj3EES9_
; %bb.0:
	s_load_dwordx2 s[6:7], s[0:1], 0x20
	s_mov_b32 s34, s3
	s_ashr_i32 s35, s3, 31
	s_lshl_b64 s[8:9], s[34:35], 2
	s_waitcnt lgkmcnt(0)
	s_add_u32 s6, s6, s8
	s_addc_u32 s7, s7, s9
	s_load_dwordx2 s[26:27], s[6:7], 0x0
	s_waitcnt lgkmcnt(0)
	s_sub_i32 s33, s27, s26
	s_add_i32 s3, s33, 2
	s_mul_hi_i32 s3, s3, 0x55555556
	s_lshr_b32 s5, s3, 31
	s_add_i32 s3, s3, s5
	s_cmp_ge_i32 s4, s3
	s_cbranch_scc1 .LBB75_25
; %bb.1:
	v_bfe_u32 v2, v0, 10, 10
	v_lshlrev_b32_e32 v70, 6, v2
	v_and_b32_e32 v3, 0x3ff, v0
	s_load_dwordx4 s[12:15], s[0:1], 0x30
	s_load_dwordx2 s[20:21], s[0:1], 0x40
	s_load_dwordx4 s[8:11], s[0:1], 0x4c
	s_load_dwordx4 s[16:19], s[0:1], 0x68
	s_load_dwordx2 s[22:23], s[0:1], 0x78
	v_or_b32_e32 v72, v70, v3
	s_ashr_i32 s27, s26, 31
	s_waitcnt lgkmcnt(0)
	v_cmp_le_i32_e32 vcc, s12, v72
	v_and_b32_e32 v0, 15, v3
                                        ; implicit-def: $vgpr71
	s_and_saveexec_b64 s[6:7], vcc
	s_xor_b64 s[6:7], exec, s[6:7]
; %bb.2:
	v_mul_u32_u24_e32 v71, 0x108, v0
                                        ; implicit-def: $vgpr72
                                        ; implicit-def: $vgpr0
; %bb.3:
	s_or_saveexec_b64 s[30:31], s[6:7]
	s_load_dwordx2 s[28:29], s[0:1], 0x18
	s_load_dwordx2 s[6:7], s[0:1], 0x28
                                        ; implicit-def: $vgpr84 : SGPR spill to VGPR lane
	s_lshl_b32 s3, s2, 6
	s_mul_i32 s2, s4, 3
	v_mov_b32_e32 v1, 0
	v_accvgpr_write_b32 a0, 0
	s_waitcnt lgkmcnt(0)
	v_writelane_b32 v84, s6, 0
	v_accvgpr_write_b32 a1, 0
	v_accvgpr_write_b32 a2, 0
	;; [unrolled: 1-line block ×15, first 2 shown]
	v_writelane_b32 v84, s7, 1
	s_xor_b64 exec, exec, s[30:31]
	s_cbranch_execz .LBB75_16
; %bb.4:
	s_load_dwordx4 s[4:7], s[0:1], 0x0
	s_load_dwordx2 s[24:25], s[0:1], 0x10
	s_mul_i32 s0, s8, s34
	s_ashr_i32 s1, s0, 31
	s_lshl_b64 s[44:45], s[0:1], 2
	s_mul_i32 s34, s15, s3
	s_waitcnt lgkmcnt(0)
	s_add_u32 s0, s4, s44
	s_addc_u32 s1, s5, s45
	s_ashr_i32 s35, s34, 31
	s_lshl_b64 s[46:47], s[34:35], 2
	s_add_u32 s0, s0, s46
	s_addc_u32 s1, s1, s47
	s_lshl_b64 s[34:35], s[26:27], 2
	v_writelane_b32 v84, s22, 2
	s_add_u32 s8, s24, s34
	s_addc_u32 s11, s25, s35
	v_writelane_b32 v84, s23, 3
	v_writelane_b32 v84, s3, 4
	s_movk_i32 s3, 0x1080
	s_cmp_lt_i32 s2, s33
	v_mad_u32_u24 v5, v2, s3, 0
	s_cselect_b64 s[34:35], -1, 0
	s_ashr_i32 s3, s2, 31
	s_lshl_b64 s[24:25], s[2:3], 2
	s_add_u32 s36, s8, s24
	s_addc_u32 s37, s11, s25
	s_add_i32 s3, s2, 1
	s_cmp_lt_i32 s3, s33
	s_cselect_b64 s[38:39], -1, 0
	s_add_i32 s3, s2, 2
	s_cmp_lt_i32 s3, s33
	s_cselect_b64 s[40:41], -1, 0
	s_ashr_i32 s25, s15, 31
	s_mov_b32 s24, s15
	v_mul_u32_u24_e32 v71, 0x108, v0
	v_lshrrev_b32_e32 v0, 1, v3
	s_add_i32 s3, s15, s15
	s_lshl_b32 s48, s15, 2
	s_lshl_b32 s52, s15, 3
	s_lshl_b32 s60, s15, 4
	s_lshl_b32 s76, s15, 5
	s_lshl_b64 s[42:43], s[24:25], 2
	v_and_b32_e32 v0, 0x1f8, v0
	s_add_u32 s24, s44, s46
	v_lshlrev_b32_e32 v4, 2, v3
	v_add3_u32 v74, v5, v71, v0
	s_addc_u32 s25, s45, s47
	v_lshlrev_b32_e32 v0, 8, v2
	v_add_u32_e32 v73, v5, v4
	v_lshl_add_u64 v[6:7], s[24:25], 0, v[0:1]
	v_mov_b32_e32 v5, v1
	v_lshl_add_u64 v[4:5], v[6:7], 0, v[4:5]
	s_mul_i32 s8, s15, 3
	s_mul_i32 s49, s15, 5
	;; [unrolled: 1-line block ×43, first 2 shown]
	v_accvgpr_write_b32 a15, 0
	v_accvgpr_write_b32 a14, 0
	;; [unrolled: 1-line block ×16, first 2 shown]
	v_lshl_add_u64 v[4:5], s[4:5], 0, v[4:5]
	s_mul_i32 s90, s15, 50
	s_mul_i32 s91, s15, 51
	;; [unrolled: 1-line block ×14, first 2 shown]
	s_mov_b64 s[4:5], 0
	s_branch .LBB75_6
.LBB75_5:                               ;   in Loop: Header=BB75_6 Depth=1
	s_waitcnt vmcnt(0)
	ds_write2_b32 v73, v0, v76 offset1:66
	ds_write2_b32 v73, v75, v1 offset0:132 offset1:198
	v_add_u32_e32 v0, 0x400, v73
	ds_write2_b32 v0, v1, v1 offset0:8 offset1:74
	ds_write2_b32 v0, v1, v1 offset0:140 offset1:206
	v_add_u32_e32 v0, 0x800, v73
	ds_write2_b32 v0, v1, v1 offset0:16 offset1:82
	;; [unrolled: 3-line block ×3, first 2 shown]
	ds_write2_b32 v0, v1, v1 offset0:156 offset1:222
	ds_read2_b64 v[76:79], v74 offset1:4
	v_add_u32_e32 v72, 64, v72
	s_waitcnt lgkmcnt(0)
	v_mfma_f32_16x16x4_f32 a[12:15], v12, v76, a[12:15]
	s_mov_b64 vcc, 0x100
	v_lshl_add_u64 v[4:5], v[4:5], 0, vcc
	v_cmp_le_i32_e32 vcc, s12, v72
	s_or_b64 s[4:5], vcc, s[4:5]
	v_mfma_f32_16x16x4_f32 a[8:11], v46, v76, a[8:11]
	v_mfma_f32_16x16x4_f32 a[4:7], v56, v76, a[4:7]
	;; [unrolled: 1-line block ×12, first 2 shown]
	ds_read2_b64 v[10:13], v74 offset0:8 offset1:12
	v_mfma_f32_16x16x4_f32 a[8:11], v43, v79, a[8:11]
	v_mfma_f32_16x16x4_f32 a[4:7], v53, v79, a[4:7]
	;; [unrolled: 1-line block ×3, first 2 shown]
	s_waitcnt lgkmcnt(0)
	v_mfma_f32_16x16x4_f32 a[12:15], v8, v10, a[12:15]
	v_mfma_f32_16x16x4_f32 a[8:11], v38, v10, a[8:11]
	;; [unrolled: 1-line block ×13, first 2 shown]
	ds_read2_b64 v[6:9], v74 offset0:16 offset1:20
	v_mfma_f32_16x16x4_f32 a[8:11], v35, v13, a[8:11]
	v_mfma_f32_16x16x4_f32 a[4:7], v45, v13, a[4:7]
	;; [unrolled: 1-line block ×3, first 2 shown]
	s_waitcnt lgkmcnt(0)
	v_mfma_f32_16x16x4_f32 a[12:15], v22, v6, a[12:15]
	v_mfma_f32_16x16x4_f32 a[8:11], v30, v6, a[8:11]
	;; [unrolled: 1-line block ×16, first 2 shown]
	ds_read2_b64 v[6:9], v74 offset0:24 offset1:28
	s_waitcnt lgkmcnt(0)
	v_mfma_f32_16x16x4_f32 a[12:15], v16, v6, a[12:15]
	v_mfma_f32_16x16x4_f32 a[8:11], v24, v6, a[8:11]
	;; [unrolled: 1-line block ×16, first 2 shown]
	s_andn2_b64 exec, exec, s[4:5]
	s_cbranch_execz .LBB75_15
.LBB75_6:                               ; =>This Inner Loop Header: Depth=1
	v_lshl_add_u64 v[6:7], v[4:5], 0, s[42:43]
	global_load_dword v0, v[4:5], off
	global_load_dword v22, v[6:7], off
	v_add_u32_e32 v6, s3, v72
	v_add_u32_e32 v10, s48, v72
	;; [unrolled: 1-line block ×4, first 2 shown]
	v_ashrrev_i32_e32 v7, 31, v6
	v_add_u32_e32 v8, s8, v72
	v_ashrrev_i32_e32 v11, 31, v10
	v_ashrrev_i32_e32 v13, 31, v12
	v_add_u32_e32 v14, s50, v72
	v_add_u32_e32 v16, s51, v72
	v_ashrrev_i32_e32 v19, 31, v18
	v_add_u32_e32 v20, s53, v72
	v_lshl_add_u64 v[6:7], v[6:7], 2, s[0:1]
	v_ashrrev_i32_e32 v9, 31, v8
	v_lshl_add_u64 v[10:11], v[10:11], 2, s[0:1]
	v_lshl_add_u64 v[12:13], v[12:13], 2, s[0:1]
	v_ashrrev_i32_e32 v15, 31, v14
	v_ashrrev_i32_e32 v17, 31, v16
	v_lshl_add_u64 v[18:19], v[18:19], 2, s[0:1]
	v_ashrrev_i32_e32 v21, 31, v20
	v_lshl_add_u64 v[8:9], v[8:9], 2, s[0:1]
	v_lshl_add_u64 v[14:15], v[14:15], 2, s[0:1]
	;; [unrolled: 1-line block ×4, first 2 shown]
	global_load_dword v23, v[6:7], off
	global_load_dword v24, v[8:9], off
	;; [unrolled: 1-line block ×6, first 2 shown]
	s_nop 0
	global_load_dword v18, v[18:19], off
	s_nop 0
	global_load_dword v19, v[20:21], off
	v_add_u32_e32 v6, s54, v72
	v_add_u32_e32 v10, s56, v72
	;; [unrolled: 1-line block ×3, first 2 shown]
	v_ashrrev_i32_e32 v7, 31, v6
	v_add_u32_e32 v8, s55, v72
	v_ashrrev_i32_e32 v11, 31, v10
	v_ashrrev_i32_e32 v13, 31, v12
	v_add_u32_e32 v14, s58, v72
	v_add_u32_e32 v16, s59, v72
	v_lshl_add_u64 v[6:7], v[6:7], 2, s[0:1]
	v_ashrrev_i32_e32 v9, 31, v8
	v_lshl_add_u64 v[10:11], v[10:11], 2, s[0:1]
	v_lshl_add_u64 v[12:13], v[12:13], 2, s[0:1]
	v_ashrrev_i32_e32 v15, 31, v14
	v_ashrrev_i32_e32 v17, 31, v16
	v_lshl_add_u64 v[8:9], v[8:9], 2, s[0:1]
	v_lshl_add_u64 v[14:15], v[14:15], 2, s[0:1]
	;; [unrolled: 1-line block ×3, first 2 shown]
	global_load_dword v20, v[6:7], off
	global_load_dword v21, v[8:9], off
	s_nop 0
	global_load_dword v10, v[10:11], off
	s_nop 0
	global_load_dword v11, v[12:13], off
	s_nop 0
	global_load_dword v12, v[14:15], off
	global_load_dword v13, v[16:17], off
	v_add_u32_e32 v6, s60, v72
	v_add_u32_e32 v8, s61, v72
	v_ashrrev_i32_e32 v7, 31, v6
	v_ashrrev_i32_e32 v9, 31, v8
	v_lshl_add_u64 v[6:7], v[6:7], 2, s[0:1]
	v_add_u32_e32 v14, s62, v72
	v_lshl_add_u64 v[8:9], v[8:9], 2, s[0:1]
	global_load_dword v30, v[6:7], off
	global_load_dword v31, v[8:9], off
	v_ashrrev_i32_e32 v15, 31, v14
	v_add_u32_e32 v16, s63, v72
	v_lshl_add_u64 v[14:15], v[14:15], 2, s[0:1]
	v_ashrrev_i32_e32 v17, 31, v16
	v_lshl_add_u64 v[16:17], v[16:17], 2, s[0:1]
	s_andn2_b64 vcc, exec, s[34:35]
	s_waitcnt vmcnt(17)
	ds_write_b32 v73, v0
	s_waitcnt vmcnt(16)
	ds_write_b32 v73, v22 offset:264
	s_waitcnt vmcnt(15)
	ds_write_b32 v73, v23 offset:528
	s_waitcnt vmcnt(14)
	ds_write_b32 v73, v24 offset:792
	s_waitcnt vmcnt(13)
	ds_write_b32 v73, v25 offset:1056
	s_waitcnt vmcnt(12)
	ds_write_b32 v73, v26 offset:1320
	s_waitcnt vmcnt(11)
	ds_write_b32 v73, v27 offset:1584
	s_waitcnt vmcnt(10)
	ds_write_b32 v73, v28 offset:1848
	s_waitcnt vmcnt(9)
	ds_write_b32 v73, v18 offset:2112
	s_waitcnt vmcnt(8)
	ds_write_b32 v73, v19 offset:2376
	s_waitcnt vmcnt(7)
	ds_write_b32 v73, v20 offset:2640
	s_waitcnt vmcnt(6)
	ds_write_b32 v73, v21 offset:2904
	s_waitcnt vmcnt(5)
	ds_write_b32 v73, v10 offset:3168
	s_waitcnt vmcnt(4)
	ds_write_b32 v73, v11 offset:3432
	s_waitcnt vmcnt(3)
	ds_write_b32 v73, v12 offset:3696
	s_waitcnt vmcnt(2)
	ds_write_b32 v73, v13 offset:3960
	v_add_u32_e32 v18, s64, v72
	v_add_u32_e32 v20, s65, v72
	v_add_u32_e32 v22, s66, v72
	v_add_u32_e32 v24, s67, v72
	v_add_u32_e32 v26, s68, v72
	v_add_u32_e32 v28, s69, v72
	v_ashrrev_i32_e32 v19, 31, v18
	v_ashrrev_i32_e32 v21, 31, v20
	;; [unrolled: 1-line block ×6, first 2 shown]
	ds_read_b64 v[12:13], v74
	ds_read_b64 v[10:11], v74 offset:32
	ds_read_b64 v[8:9], v74 offset:64
	;; [unrolled: 1-line block ×3, first 2 shown]
	v_lshl_add_u64 v[18:19], v[18:19], 2, s[0:1]
	v_lshl_add_u64 v[20:21], v[20:21], 2, s[0:1]
	v_lshl_add_u64 v[22:23], v[22:23], 2, s[0:1]
	v_lshl_add_u64 v[24:25], v[24:25], 2, s[0:1]
	v_lshl_add_u64 v[26:27], v[26:27], 2, s[0:1]
	v_lshl_add_u64 v[28:29], v[28:29], 2, s[0:1]
	global_load_dword v0, v[14:15], off
	global_load_dword v32, v[16:17], off
	global_load_dword v33, v[18:19], off
	global_load_dword v34, v[20:21], off
	global_load_dword v35, v[22:23], off
	global_load_dword v36, v[24:25], off
	global_load_dword v37, v[26:27], off
	global_load_dword v38, v[28:29], off
	v_add_u32_e32 v14, s70, v72
	v_ashrrev_i32_e32 v15, 31, v14
	v_add_u32_e32 v16, s71, v72
	v_add_u32_e32 v18, s72, v72
	v_add_u32_e32 v20, s73, v72
	v_add_u32_e32 v22, s74, v72
	v_add_u32_e32 v24, s75, v72
	v_add_u32_e32 v26, s76, v72
	v_add_u32_e32 v28, s77, v72
	v_lshl_add_u64 v[14:15], v[14:15], 2, s[0:1]
	v_ashrrev_i32_e32 v17, 31, v16
	v_ashrrev_i32_e32 v19, 31, v18
	v_ashrrev_i32_e32 v21, 31, v20
	v_ashrrev_i32_e32 v23, 31, v22
	v_ashrrev_i32_e32 v25, 31, v24
	v_ashrrev_i32_e32 v27, 31, v26
	v_ashrrev_i32_e32 v29, 31, v28
	v_lshl_add_u64 v[16:17], v[16:17], 2, s[0:1]
	v_lshl_add_u64 v[18:19], v[18:19], 2, s[0:1]
	v_lshl_add_u64 v[20:21], v[20:21], 2, s[0:1]
	v_lshl_add_u64 v[22:23], v[22:23], 2, s[0:1]
	v_lshl_add_u64 v[24:25], v[24:25], 2, s[0:1]
	v_lshl_add_u64 v[26:27], v[26:27], 2, s[0:1]
	v_lshl_add_u64 v[28:29], v[28:29], 2, s[0:1]
	global_load_dword v39, v[14:15], off
	global_load_dword v40, v[16:17], off
	global_load_dword v41, v[18:19], off
	global_load_dword v42, v[20:21], off
	global_load_dword v43, v[22:23], off
	global_load_dword v44, v[24:25], off
	global_load_dword v45, v[26:27], off
	global_load_dword v48, v[28:29], off
	v_add_u32_e32 v14, s78, v72
	v_ashrrev_i32_e32 v15, 31, v14
	v_add_u32_e32 v16, s79, v72
	v_add_u32_e32 v18, s80, v72
	v_add_u32_e32 v20, s81, v72
	v_add_u32_e32 v22, s82, v72
	v_add_u32_e32 v24, s83, v72
	v_add_u32_e32 v26, s84, v72
	v_add_u32_e32 v28, s85, v72
	v_lshl_add_u64 v[14:15], v[14:15], 2, s[0:1]
	v_ashrrev_i32_e32 v17, 31, v16
	v_ashrrev_i32_e32 v19, 31, v18
	v_ashrrev_i32_e32 v21, 31, v20
	v_ashrrev_i32_e32 v23, 31, v22
	v_ashrrev_i32_e32 v25, 31, v24
	v_ashrrev_i32_e32 v27, 31, v26
	v_ashrrev_i32_e32 v29, 31, v28
	v_lshl_add_u64 v[16:17], v[16:17], 2, s[0:1]
	;; [unrolled: 32-line block ×4, first 2 shown]
	v_lshl_add_u64 v[18:19], v[18:19], 2, s[0:1]
	v_lshl_add_u64 v[20:21], v[20:21], 2, s[0:1]
	;; [unrolled: 1-line block ×6, first 2 shown]
	global_load_dword v65, v[14:15], off
	global_load_dword v66, v[16:17], off
	;; [unrolled: 1-line block ×8, first 2 shown]
	v_add_u32_e32 v14, s98, v72
	v_ashrrev_i32_e32 v15, 31, v14
	v_add_u32_e32 v16, s99, v72
	v_add_u32_e32 v18, s24, v72
	;; [unrolled: 1-line block ×5, first 2 shown]
	v_lshl_add_u64 v[14:15], v[14:15], 2, s[0:1]
	v_ashrrev_i32_e32 v17, 31, v16
	v_ashrrev_i32_e32 v19, 31, v18
	;; [unrolled: 1-line block ×5, first 2 shown]
	v_lshl_add_u64 v[16:17], v[16:17], 2, s[0:1]
	v_lshl_add_u64 v[18:19], v[18:19], 2, s[0:1]
	;; [unrolled: 1-line block ×5, first 2 shown]
	global_load_dword v78, v[14:15], off
	global_load_dword v79, v[16:17], off
	;; [unrolled: 1-line block ×6, first 2 shown]
	ds_read_b64 v[22:23], v74 offset:128
	ds_read_b64 v[18:19], v74 offset:160
	ds_read_b64 v[16:17], v74 offset:192
	ds_read_b64 v[14:15], v74 offset:224
	s_waitcnt vmcnt(47)
	ds_write_b32 v73, v30
	s_waitcnt vmcnt(46)
	ds_write_b32 v73, v31 offset:264
	s_waitcnt vmcnt(45)
	ds_write_b32 v73, v0 offset:528
	s_waitcnt vmcnt(44)
	ds_write_b32 v73, v32 offset:792
	s_waitcnt vmcnt(43)
	ds_write_b32 v73, v33 offset:1056
	s_waitcnt vmcnt(42)
	ds_write_b32 v73, v34 offset:1320
	s_waitcnt vmcnt(41)
	ds_write_b32 v73, v35 offset:1584
	s_waitcnt vmcnt(40)
	ds_write_b32 v73, v36 offset:1848
	s_waitcnt vmcnt(39)
	ds_write_b32 v73, v37 offset:2112
	s_waitcnt vmcnt(38)
	ds_write_b32 v73, v38 offset:2376
	s_waitcnt vmcnt(37)
	ds_write_b32 v73, v39 offset:2640
	s_waitcnt vmcnt(36)
	ds_write_b32 v73, v40 offset:2904
	s_waitcnt vmcnt(35)
	ds_write_b32 v73, v41 offset:3168
	s_waitcnt vmcnt(34)
	ds_write_b32 v73, v42 offset:3432
	s_waitcnt vmcnt(33)
	ds_write_b32 v73, v43 offset:3696
	s_waitcnt vmcnt(32)
	ds_write_b32 v73, v44 offset:3960
	ds_read_b64 v[46:47], v74
	ds_read_b64 v[42:43], v74 offset:32
	ds_read_b64 v[38:39], v74 offset:64
	ds_read_b64 v[34:35], v74 offset:96
	ds_read_b64 v[30:31], v74 offset:128
	ds_read_b64 v[26:27], v74 offset:160
	ds_read_b64 v[24:25], v74 offset:192
	ds_read_b64 v[20:21], v74 offset:224
	s_waitcnt vmcnt(31)
	ds_write_b32 v73, v45
	s_waitcnt vmcnt(30)
	ds_write_b32 v73, v48 offset:264
	s_waitcnt vmcnt(29)
	ds_write_b32 v73, v49 offset:528
	s_waitcnt vmcnt(28)
	ds_write_b32 v73, v50 offset:792
	s_waitcnt vmcnt(27)
	ds_write_b32 v73, v51 offset:1056
	s_waitcnt vmcnt(26)
	ds_write_b32 v73, v52 offset:1320
	s_waitcnt vmcnt(25)
	ds_write_b32 v73, v53 offset:1584
	s_waitcnt vmcnt(24)
	ds_write_b32 v73, v54 offset:1848
	s_waitcnt vmcnt(23)
	ds_write_b32 v73, v55 offset:2112
	s_waitcnt vmcnt(22)
	ds_write_b32 v73, v56 offset:2376
	s_waitcnt vmcnt(21)
	ds_write_b32 v73, v57 offset:2640
	s_waitcnt vmcnt(20)
	ds_write_b32 v73, v58 offset:2904
	s_waitcnt vmcnt(19)
	ds_write_b32 v73, v59 offset:3168
	s_waitcnt vmcnt(18)
	ds_write_b32 v73, v60 offset:3432
	s_waitcnt vmcnt(17)
	ds_write_b32 v73, v61 offset:3696
	s_waitcnt vmcnt(16)
	ds_write_b32 v73, v62 offset:3960
	ds_read_b64 v[56:57], v74
	ds_read_b64 v[52:53], v74 offset:32
	ds_read_b64 v[50:51], v74 offset:64
	ds_read_b64 v[44:45], v74 offset:96
	;; [unrolled: 40-line block ×3, first 2 shown]
	ds_read_b64 v[60:61], v74 offset:128
	ds_read_b64 v[58:59], v74 offset:160
	;; [unrolled: 1-line block ×4, first 2 shown]
	v_mov_b32_e32 v0, 0
	s_cbranch_vccnz .LBB75_9
; %bb.7:                                ;   in Loop: Header=BB75_6 Depth=1
	s_load_dword vcc_lo, s[36:37], 0x0
	v_mov_b32_e32 v0, 0
	s_waitcnt lgkmcnt(0)
	s_mul_hi_u32 vcc_hi, vcc_lo, s16
	s_add_i32 vcc_hi, vcc_lo, vcc_hi
	s_lshr_b32 s22, vcc_hi, s17
	s_cmp_ge_i32 s22, s13
	s_cbranch_scc1 .LBB75_9
; %bb.8:                                ;   in Loop: Header=BB75_6 Depth=1
	s_mul_i32 vcc_hi, s22, s18
	s_sub_i32 s23, vcc_lo, vcc_hi
	s_mul_i32 s23, s23, s9
	s_mul_i32 s22, s22, s20
	s_add_i32 s22, s22, s23
	v_add_u32_e32 v76, s22, v72
	v_ashrrev_i32_e32 v77, 31, v76
	v_lshl_add_u64 v[76:77], v[76:77], 2, s[6:7]
	global_load_dword v0, v[76:77], off
.LBB75_9:                               ;   in Loop: Header=BB75_6 Depth=1
	v_mov_b32_e32 v75, 0
	s_andn2_b64 vcc, exec, s[38:39]
	v_mov_b32_e32 v76, 0
	s_cbranch_vccnz .LBB75_12
; %bb.10:                               ;   in Loop: Header=BB75_6 Depth=1
	s_load_dword vcc_lo, s[36:37], 0x4
	v_mov_b32_e32 v76, 0
	s_waitcnt lgkmcnt(0)
	s_mul_hi_u32 s22, vcc_lo, s16
	s_add_i32 s22, vcc_lo, s22
	s_lshr_b32 vcc_hi, s22, s17
	s_cmp_ge_i32 vcc_hi, s13
	s_cbranch_scc1 .LBB75_12
; %bb.11:                               ;   in Loop: Header=BB75_6 Depth=1
	s_mul_i32 s22, vcc_hi, s18
	s_sub_i32 s22, vcc_lo, s22
	s_mul_i32 s22, s22, s9
	s_mul_i32 s23, vcc_hi, s20
	s_add_i32 s23, s23, s22
	v_add_u32_e32 v76, s23, v72
	v_ashrrev_i32_e32 v77, 31, v76
	v_lshl_add_u64 v[76:77], v[76:77], 2, s[6:7]
	global_load_dword v76, v[76:77], off
.LBB75_12:                              ;   in Loop: Header=BB75_6 Depth=1
	s_andn2_b64 vcc, exec, s[40:41]
	s_cbranch_vccnz .LBB75_5
; %bb.13:                               ;   in Loop: Header=BB75_6 Depth=1
	s_load_dword vcc_lo, s[36:37], 0x8
	v_mov_b32_e32 v75, 0
	s_waitcnt lgkmcnt(0)
	s_mul_hi_u32 s22, vcc_lo, s16
	s_add_i32 s22, vcc_lo, s22
	s_lshr_b32 vcc_hi, s22, s17
	s_cmp_ge_i32 vcc_hi, s13
	s_cbranch_scc1 .LBB75_5
; %bb.14:                               ;   in Loop: Header=BB75_6 Depth=1
	s_mul_i32 s22, vcc_hi, s18
	s_sub_i32 s22, vcc_lo, s22
	s_mul_i32 s22, s22, s9
	s_mul_i32 s23, vcc_hi, s20
	s_add_i32 s23, s23, s22
	v_add_u32_e32 v78, s23, v72
	v_ashrrev_i32_e32 v79, 31, v78
	v_lshl_add_u64 v[78:79], v[78:79], 2, s[6:7]
	global_load_dword v75, v[78:79], off
	s_branch .LBB75_5
.LBB75_15:
	s_or_b64 exec, exec, s[4:5]
	v_readlane_b32 s22, v84, 2
	v_readlane_b32 s23, v84, 3
	v_readlane_b32 s3, v84, 4
.LBB75_16:
	s_or_b64 exec, exec, s[30:31]
	v_lshl_add_u32 v0, v70, 2, 0
	v_and_b32_e32 v1, 0x3f0, v3
	v_add3_u32 v0, v0, v71, v1
	v_accvgpr_read_b32 v1, a13
	v_accvgpr_read_b32 v4, a12
	ds_write2_b32 v0, v4, v1 offset1:1
	v_accvgpr_read_b32 v1, a15
	v_accvgpr_read_b32 v4, a14
	ds_write2_b32 v0, v4, v1 offset0:2 offset1:3
	v_accvgpr_read_b32 v1, a9
	v_accvgpr_read_b32 v4, a8
	ds_write2_b32 v0, v4, v1 offset0:16 offset1:17
	;; [unrolled: 3-line block ×3, first 2 shown]
	v_accvgpr_read_b32 v1, a5
	v_accvgpr_read_b32 v4, a4
	s_lshl_b64 s[0:1], s[26:27], 2
	ds_write2_b32 v0, v4, v1 offset0:32 offset1:33
	v_accvgpr_read_b32 v1, a7
	v_accvgpr_read_b32 v4, a6
	s_add_u32 s4, s28, s0
	ds_write2_b32 v0, v4, v1 offset0:34 offset1:35
	v_accvgpr_read_b32 v1, a1
	v_accvgpr_read_b32 v4, a0
	s_addc_u32 s5, s29, s1
	ds_write2_b32 v0, v4, v1 offset0:48 offset1:49
	v_accvgpr_read_b32 v1, a3
	v_accvgpr_read_b32 v4, a2
	ds_write2_b32 v0, v4, v1 offset0:50 offset1:51
	s_cmp_gt_i32 s14, 0
	v_add_u32_e32 v0, s2, v2
	s_cselect_b64 s[6:7], -1, 0
	v_cmp_gt_i32_e64 s[0:1], s33, v0
	v_cmp_gt_u32_e32 vcc, 3, v2
	s_and_b64 s[0:1], s[6:7], s[0:1]
	v_lshl_add_u32 v5, v3, 2, 0
	v_add_u32_e32 v4, s3, v3
	v_mul_u32_u24_e32 v6, 0x108, v2
	s_and_b64 s[8:9], vcc, s[0:1]
	s_and_saveexec_b64 s[0:1], s[8:9]
	s_cbranch_execz .LBB75_19
; %bb.17:
	v_ashrrev_i32_e32 v1, 31, v0
	v_lshl_add_u64 v[8:9], v[0:1], 2, s[4:5]
	global_load_dword v1, v[8:9], off
	s_waitcnt vmcnt(0)
	v_mul_hi_u32 v3, v1, s19
	v_add_u32_e32 v3, v1, v3
	v_lshrrev_b32_e32 v3, s22, v3
	v_cmp_gt_i32_e32 vcc, s13, v3
	s_and_b64 exec, exec, vcc
	s_cbranch_execz .LBB75_19
; %bb.18:
	v_add_u32_e32 v7, v5, v6
	ds_read_b32 v7, v7
	v_mul_lo_u32 v8, v3, s23
	v_sub_u32_e32 v1, v1, v8
	v_mul_lo_u32 v3, v3, s21
	v_mul_lo_u32 v1, v1, s10
	v_readlane_b32 s8, v84, 0
	v_add3_u32 v8, v4, v3, v1
	v_mov_b32_e32 v9, 0
	v_readlane_b32 s9, v84, 1
	s_waitcnt lgkmcnt(0)
	v_add_f32_e32 v7, 0, v7
	v_lshl_add_u64 v[8:9], v[8:9], 2, s[8:9]
	global_store_dword v[8:9], v7, off
.LBB75_19:
	s_or_b64 exec, exec, s[0:1]
	v_add_u32_e32 v1, 1, v0
	v_cmp_gt_i32_e64 s[0:1], s33, v1
	v_cmp_gt_u32_e32 vcc, 2, v2
	s_and_b64 s[0:1], s[6:7], s[0:1]
	s_and_b64 s[8:9], vcc, s[0:1]
	s_and_saveexec_b64 s[0:1], s[8:9]
	s_cbranch_execz .LBB75_22
; %bb.20:
	s_ashr_i32 s3, s2, 31
	v_mov_b32_e32 v3, 0
	v_lshl_add_u64 v[8:9], v[2:3], 0, s[2:3]
	v_lshl_add_u64 v[8:9], v[8:9], 2, s[4:5]
	global_load_dword v1, v[8:9], off offset:4
	s_waitcnt vmcnt(0)
	v_mul_hi_u32 v7, v1, s19
	v_add_u32_e32 v7, v1, v7
	v_lshrrev_b32_e32 v7, s22, v7
	v_cmp_gt_i32_e32 vcc, s13, v7
	s_and_b64 exec, exec, vcc
	s_cbranch_execz .LBB75_22
; %bb.21:
	v_add_u32_e32 v8, v6, v5
	ds_read_b32 v8, v8 offset:264
	v_mul_lo_u32 v9, v7, s23
	v_sub_u32_e32 v1, v1, v9
	v_mul_lo_u32 v7, v7, s21
	v_mul_lo_u32 v1, v1, s10
	v_readlane_b32 s8, v84, 0
	s_waitcnt lgkmcnt(0)
	v_add_f32_e32 v10, 0, v8
	v_add3_u32 v8, v4, v7, v1
	v_mov_b32_e32 v9, v3
	v_readlane_b32 s9, v84, 1
	s_nop 1
	v_lshl_add_u64 v[8:9], v[8:9], 2, s[8:9]
	global_store_dword v[8:9], v10, off
.LBB75_22:
	s_or_b64 exec, exec, s[0:1]
	v_add_u32_e32 v0, 2, v0
	v_cmp_gt_i32_e64 s[0:1], s33, v0
	v_cmp_eq_u32_e32 vcc, 0, v2
	s_and_b64 s[0:1], s[6:7], s[0:1]
	s_and_b64 s[0:1], vcc, s[0:1]
	s_and_saveexec_b64 s[6:7], s[0:1]
	s_cbranch_execz .LBB75_25
; %bb.23:
	s_ashr_i32 s3, s2, 31
	s_lshl_b64 s[0:1], s[2:3], 2
	s_add_u32 s0, s4, s0
	s_addc_u32 s1, s5, s1
	s_load_dword s0, s[0:1], 0x8
	s_waitcnt lgkmcnt(0)
	s_mul_hi_u32 s1, s0, s19
	s_add_i32 s1, s0, s1
	s_lshr_b32 s1, s1, s22
	s_cmp_ge_i32 s1, s13
	s_cbranch_scc1 .LBB75_25
; %bb.24:
	v_add_u32_e32 v0, v5, v6
	ds_read_b32 v0, v0 offset:528
	s_mul_i32 s2, s1, s23
	s_sub_i32 s0, s0, s2
	s_mul_i32 s1, s1, s21
	s_mul_i32 s0, s0, s10
	s_add_i32 s0, s0, s1
	s_waitcnt lgkmcnt(0)
	v_add_f32_e32 v2, 0, v0
	v_add_u32_e32 v0, s0, v4
	v_readlane_b32 s0, v84, 0
	v_mov_b32_e32 v1, 0
	v_readlane_b32 s1, v84, 1
	s_nop 1
	v_lshl_add_u64 v[0:1], v[0:1], 2, s[0:1]
	global_store_dword v[0:1], v2, off
.LBB75_25:
	s_endpgm
	.section	.rodata,"a",@progbits
	.p2align	6, 0x0
	.amdhsa_kernel _ZL13mul_mat_f_idsIfLi64ELi3ELi1EEvPKT_PKfPKiS6_S6_Pfiiiiiiiiiiiiii15HIP_vector_typeIjLj3EES9_
		.amdhsa_group_segment_fixed_size 0
		.amdhsa_private_segment_fixed_size 0
		.amdhsa_kernarg_size 128
		.amdhsa_user_sgpr_count 2
		.amdhsa_user_sgpr_dispatch_ptr 0
		.amdhsa_user_sgpr_queue_ptr 0
		.amdhsa_user_sgpr_kernarg_segment_ptr 1
		.amdhsa_user_sgpr_dispatch_id 0
		.amdhsa_user_sgpr_kernarg_preload_length 0
		.amdhsa_user_sgpr_kernarg_preload_offset 0
		.amdhsa_user_sgpr_private_segment_size 0
		.amdhsa_uses_dynamic_stack 0
		.amdhsa_enable_private_segment 0
		.amdhsa_system_sgpr_workgroup_id_x 1
		.amdhsa_system_sgpr_workgroup_id_y 1
		.amdhsa_system_sgpr_workgroup_id_z 1
		.amdhsa_system_sgpr_workgroup_info 0
		.amdhsa_system_vgpr_workitem_id 1
		.amdhsa_next_free_vgpr 104
		.amdhsa_next_free_sgpr 100
		.amdhsa_accum_offset 88
		.amdhsa_reserve_vcc 1
		.amdhsa_float_round_mode_32 0
		.amdhsa_float_round_mode_16_64 0
		.amdhsa_float_denorm_mode_32 3
		.amdhsa_float_denorm_mode_16_64 3
		.amdhsa_dx10_clamp 1
		.amdhsa_ieee_mode 1
		.amdhsa_fp16_overflow 0
		.amdhsa_tg_split 0
		.amdhsa_exception_fp_ieee_invalid_op 0
		.amdhsa_exception_fp_denorm_src 0
		.amdhsa_exception_fp_ieee_div_zero 0
		.amdhsa_exception_fp_ieee_overflow 0
		.amdhsa_exception_fp_ieee_underflow 0
		.amdhsa_exception_fp_ieee_inexact 0
		.amdhsa_exception_int_div_zero 0
	.end_amdhsa_kernel
	.section	.text._ZL13mul_mat_f_idsIfLi64ELi3ELi1EEvPKT_PKfPKiS6_S6_Pfiiiiiiiiiiiiii15HIP_vector_typeIjLj3EES9_,"axG",@progbits,_ZL13mul_mat_f_idsIfLi64ELi3ELi1EEvPKT_PKfPKiS6_S6_Pfiiiiiiiiiiiiii15HIP_vector_typeIjLj3EES9_,comdat
.Lfunc_end75:
	.size	_ZL13mul_mat_f_idsIfLi64ELi3ELi1EEvPKT_PKfPKiS6_S6_Pfiiiiiiiiiiiiii15HIP_vector_typeIjLj3EES9_, .Lfunc_end75-_ZL13mul_mat_f_idsIfLi64ELi3ELi1EEvPKT_PKfPKiS6_S6_Pfiiiiiiiiiiiiii15HIP_vector_typeIjLj3EES9_
                                        ; -- End function
	.set _ZL13mul_mat_f_idsIfLi64ELi3ELi1EEvPKT_PKfPKiS6_S6_Pfiiiiiiiiiiiiii15HIP_vector_typeIjLj3EES9_.num_vgpr, 85
	.set _ZL13mul_mat_f_idsIfLi64ELi3ELi1EEvPKT_PKfPKiS6_S6_Pfiiiiiiiiiiiiii15HIP_vector_typeIjLj3EES9_.num_agpr, 16
	.set _ZL13mul_mat_f_idsIfLi64ELi3ELi1EEvPKT_PKfPKiS6_S6_Pfiiiiiiiiiiiiii15HIP_vector_typeIjLj3EES9_.numbered_sgpr, 100
	.set _ZL13mul_mat_f_idsIfLi64ELi3ELi1EEvPKT_PKfPKiS6_S6_Pfiiiiiiiiiiiiii15HIP_vector_typeIjLj3EES9_.num_named_barrier, 0
	.set _ZL13mul_mat_f_idsIfLi64ELi3ELi1EEvPKT_PKfPKiS6_S6_Pfiiiiiiiiiiiiii15HIP_vector_typeIjLj3EES9_.private_seg_size, 0
	.set _ZL13mul_mat_f_idsIfLi64ELi3ELi1EEvPKT_PKfPKiS6_S6_Pfiiiiiiiiiiiiii15HIP_vector_typeIjLj3EES9_.uses_vcc, 1
	.set _ZL13mul_mat_f_idsIfLi64ELi3ELi1EEvPKT_PKfPKiS6_S6_Pfiiiiiiiiiiiiii15HIP_vector_typeIjLj3EES9_.uses_flat_scratch, 0
	.set _ZL13mul_mat_f_idsIfLi64ELi3ELi1EEvPKT_PKfPKiS6_S6_Pfiiiiiiiiiiiiii15HIP_vector_typeIjLj3EES9_.has_dyn_sized_stack, 0
	.set _ZL13mul_mat_f_idsIfLi64ELi3ELi1EEvPKT_PKfPKiS6_S6_Pfiiiiiiiiiiiiii15HIP_vector_typeIjLj3EES9_.has_recursion, 0
	.set _ZL13mul_mat_f_idsIfLi64ELi3ELi1EEvPKT_PKfPKiS6_S6_Pfiiiiiiiiiiiiii15HIP_vector_typeIjLj3EES9_.has_indirect_call, 0
	.section	.AMDGPU.csdata,"",@progbits
; Kernel info:
; codeLenInByte = 5344
; TotalNumSgprs: 106
; NumVgprs: 85
; NumAgprs: 16
; TotalNumVgprs: 104
; ScratchSize: 0
; MemoryBound: 0
; FloatMode: 240
; IeeeMode: 1
; LDSByteSize: 0 bytes/workgroup (compile time only)
; SGPRBlocks: 13
; VGPRBlocks: 12
; NumSGPRsForWavesPerEU: 106
; NumVGPRsForWavesPerEU: 104
; AccumOffset: 88
; Occupancy: 4
; WaveLimiterHint : 1
; COMPUTE_PGM_RSRC2:SCRATCH_EN: 0
; COMPUTE_PGM_RSRC2:USER_SGPR: 2
; COMPUTE_PGM_RSRC2:TRAP_HANDLER: 0
; COMPUTE_PGM_RSRC2:TGID_X_EN: 1
; COMPUTE_PGM_RSRC2:TGID_Y_EN: 1
; COMPUTE_PGM_RSRC2:TGID_Z_EN: 1
; COMPUTE_PGM_RSRC2:TIDIG_COMP_CNT: 1
; COMPUTE_PGM_RSRC3_GFX90A:ACCUM_OFFSET: 21
; COMPUTE_PGM_RSRC3_GFX90A:TG_SPLIT: 0
	.section	.text._ZL9mul_mat_fIfLi64ELi3ELi1ELb1EEvPKT_PKfPKiPfiiiiiiiiiiiiiiii,"axG",@progbits,_ZL9mul_mat_fIfLi64ELi3ELi1ELb1EEvPKT_PKfPKiPfiiiiiiiiiiiiiiii,comdat
	.globl	_ZL9mul_mat_fIfLi64ELi3ELi1ELb1EEvPKT_PKfPKiPfiiiiiiiiiiiiiiii ; -- Begin function _ZL9mul_mat_fIfLi64ELi3ELi1ELb1EEvPKT_PKfPKiPfiiiiiiiiiiiiiiii
	.p2align	8
	.type	_ZL9mul_mat_fIfLi64ELi3ELi1ELb1EEvPKT_PKfPKiPfiiiiiiiiiiiiiiii,@function
_ZL9mul_mat_fIfLi64ELi3ELi1ELb1EEvPKT_PKfPKiPfiiiiiiiiiiiiiiii: ; @_ZL9mul_mat_fIfLi64ELi3ELi1ELb1EEvPKT_PKfPKiPfiiiiiiiiiiiiiiii
; %bb.0:
	s_load_dwordx8 s[20:27], s[0:1], 0x20
	s_waitcnt lgkmcnt(0)
	s_add_i32 s5, s21, 2
	s_mul_hi_i32 s5, s5, 0x55555556
	s_lshr_b32 s6, s5, 31
	s_add_i32 s5, s5, s6
	v_cvt_f32_u32_e32 v1, s5
	s_load_dword s6, s[0:1], 0x64
	s_add_u32 s34, s0, 0x60
	s_addc_u32 s35, s1, 0
	v_rcp_iflag_f32_e32 v1, v1
	s_sub_i32 s7, 0, s5
	s_load_dwordx4 s[28:31], s[0:1], 0x44
	s_load_dwordx2 s[8:9], s[0:1], 0x10
	v_mul_f32_e32 v1, 0x4f7ffffe, v1
	v_cvt_u32_f32_e32 v1, v1
	s_waitcnt lgkmcnt(0)
	s_abs_i32 s33, s31
	v_mul_lo_u32 v2, s7, v1
	v_mul_hi_u32 v2, v1, v2
	v_add_u32_e32 v1, v1, v2
	v_mul_hi_u32 v1, s6, v1
	v_mul_lo_u32 v2, v1, s5
	v_sub_u32_e32 v2, s6, v2
	v_add_u32_e32 v3, 1, v1
	v_subrev_u32_e32 v4, s5, v2
	v_cmp_le_u32_e32 vcc, s5, v2
	s_nop 1
	v_cndmask_b32_e32 v1, v1, v3, vcc
	v_cndmask_b32_e32 v2, v2, v4, vcc
	v_add_u32_e32 v3, 1, v1
	v_cmp_le_u32_e32 vcc, s5, v2
	v_cvt_f32_u32_e32 v4, s33
	v_rcp_iflag_f32_e32 v5, v4
	v_cndmask_b32_e32 v1, v1, v3, vcc
	v_cvt_f32_u32_e32 v2, v1
	v_sub_u32_e32 v4, 0, v1
	v_bfe_u32 v3, v0, 10, 10
	v_rcp_iflag_f32_e32 v2, v2
	s_nop 0
	v_mul_f32_e32 v2, 0x4f7ffffe, v2
	v_cvt_u32_f32_e32 v6, v2
	v_and_b32_e32 v2, 0x3ff, v0
	v_cmp_eq_u32_e32 vcc, 0, v2
	v_mul_lo_u32 v4, v4, v6
	v_mul_hi_u32 v4, v6, v4
	v_add_u32_e32 v4, v6, v4
	v_mul_hi_u32 v4, s3, v4
	s_and_saveexec_b64 s[6:7], vcc
; %bb.1:
	v_mov_b32_e32 v6, 0x100
	v_lshl_add_u32 v6, v3, 2, v6
	v_mov_b32_e32 v7, -1
	ds_write_b32 v6, v7
; %bb.2:
	s_or_b64 exec, exec, s[6:7]
	v_mul_f32_e32 v11, 0x4f7ffffe, v5
	v_mul_lo_u32 v5, v4, v1
	v_sub_u32_e32 v5, s3, v5
	v_add_u32_e32 v6, 1, v4
	v_sub_u32_e32 v7, v5, v1
	v_cmp_ge_u32_e64 s[6:7], v5, v1
	s_nop 1
	v_cndmask_b32_e64 v4, v4, v6, s[6:7]
	v_cndmask_b32_e64 v5, v5, v7, s[6:7]
	v_add_u32_e32 v6, 1, v4
	v_cmp_ge_u32_e64 s[6:7], v5, v1
	s_nop 1
	v_cndmask_b32_e64 v4, v4, v6, s[6:7]
	v_mul_lo_u32 v74, v4, 3
	v_mul_lo_u32 v1, v4, v1
	v_mul_hi_i32 v5, v74, s27
	v_mul_lo_u32 v4, v74, s27
	v_sub_u32_e32 v10, s3, v1
	v_lshlrev_b64 v[4:5], 2, v[4:5]
	v_add_u32_e32 v1, v3, v74
	v_lshl_add_u64 v[4:5], s[8:9], 0, v[4:5]
	v_cmp_gt_i32_e64 s[6:7], s22, v2
	v_cmp_gt_i32_e64 s[12:13], s21, v1
	v_mov_b32_e32 v1, 0
	s_and_saveexec_b64 s[14:15], s[12:13]
	s_cbranch_execz .LBB76_10
; %bb.3:
	v_mov_b32_e32 v1, 0
	s_and_saveexec_b64 s[16:17], s[6:7]
	s_cbranch_execz .LBB76_9
; %bb.4:
	v_mul_lo_u32 v6, v3, s27
	v_ashrrev_i32_e32 v7, 31, v6
	v_mov_b32_e32 v1, 0x100
	v_lshl_add_u64 v[6:7], v[6:7], 2, v[4:5]
	v_lshl_add_u32 v12, v3, 2, v1
	v_mul_lo_u32 v8, v2, s26
	s_lshl_b32 s3, s26, 6
	v_mov_b32_e32 v1, 0
	s_mov_b64 s[18:19], 0
	v_mov_b32_e32 v13, v2
	s_branch .LBB76_6
.LBB76_5:                               ;   in Loop: Header=BB76_6 Depth=1
	s_or_b64 exec, exec, s[36:37]
	v_add_u32_e32 v13, 64, v13
	v_cmp_le_i32_e64 s[10:11], s22, v13
	s_xor_b64 s[8:9], s[8:9], -1
	s_or_b64 s[8:9], s[8:9], s[10:11]
	s_and_b64 s[8:9], exec, s[8:9]
	s_or_b64 s[18:19], s[8:9], s[18:19]
	v_add_u32_e32 v8, s3, v8
	s_andn2_b64 exec, exec, s[18:19]
	s_cbranch_execz .LBB76_8
.LBB76_6:                               ; =>This Inner Loop Header: Depth=1
	v_ashrrev_i32_e32 v9, 31, v8
	v_lshl_add_u64 v[14:15], v[8:9], 2, v[6:7]
	global_load_dword v9, v[14:15], off
	s_waitcnt vmcnt(0)
	v_cmp_ne_u32_e64 s[8:9], v9, v10
	v_cmp_eq_u32_e64 s[10:11], v9, v10
	s_and_saveexec_b64 s[36:37], s[10:11]
	s_cbranch_execz .LBB76_5
; %bb.7:                                ;   in Loop: Header=BB76_6 Depth=1
	v_mov_b32_e32 v1, 1
	ds_write_b32 v12, v13
	s_branch .LBB76_5
.LBB76_8:
	s_or_b64 exec, exec, s[18:19]
.LBB76_9:
	s_or_b64 exec, exec, s[16:17]
.LBB76_10:
	s_or_b64 exec, exec, s[14:15]
	v_cvt_u32_f32_e32 v11, v11
	s_sub_i32 s3, 0, s33
	s_and_saveexec_b64 s[8:9], vcc
; %bb.11:
	v_mov_b32_e32 v6, 0x100
	v_lshl_add_u32 v6, v3, 2, v6
	v_mov_b32_e32 v7, -1
	ds_write_b32 v6, v7 offset:4
; %bb.12:
	s_or_b64 exec, exec, s[8:9]
	v_add_u32_e32 v75, 1, v3
	v_add_u32_e32 v6, v75, v74
	v_mul_lo_u32 v12, s3, v11
	v_cmp_gt_i32_e64 s[16:17], s21, v6
	s_and_saveexec_b64 s[14:15], s[16:17]
	s_cbranch_execz .LBB76_20
; %bb.13:
	s_and_saveexec_b64 s[18:19], s[6:7]
	s_cbranch_execz .LBB76_19
; %bb.14:
	v_mul_lo_u32 v6, v75, s27
	v_ashrrev_i32_e32 v7, 31, v6
	v_mov_b32_e32 v8, 0x100
	v_lshl_add_u64 v[6:7], v[6:7], 2, v[4:5]
	v_lshl_add_u32 v13, v3, 2, v8
	v_mul_lo_u32 v8, v2, s26
	s_lshl_b32 s3, s26, 6
	s_mov_b64 s[36:37], 0
	v_mov_b32_e32 v14, v2
	s_branch .LBB76_16
.LBB76_15:                              ;   in Loop: Header=BB76_16 Depth=1
	s_or_b64 exec, exec, s[38:39]
	v_add_u32_e32 v14, 64, v14
	v_cmp_le_i32_e64 s[10:11], s22, v14
	s_xor_b64 s[8:9], s[8:9], -1
	s_or_b64 s[8:9], s[8:9], s[10:11]
	s_and_b64 s[8:9], exec, s[8:9]
	s_or_b64 s[36:37], s[8:9], s[36:37]
	v_add_u32_e32 v8, s3, v8
	s_andn2_b64 exec, exec, s[36:37]
	s_cbranch_execz .LBB76_18
.LBB76_16:                              ; =>This Inner Loop Header: Depth=1
	v_ashrrev_i32_e32 v9, 31, v8
	v_lshl_add_u64 v[16:17], v[8:9], 2, v[6:7]
	global_load_dword v9, v[16:17], off
	s_waitcnt vmcnt(0)
	v_cmp_ne_u32_e64 s[8:9], v9, v10
	v_cmp_eq_u32_e64 s[10:11], v9, v10
	s_and_saveexec_b64 s[38:39], s[10:11]
	s_cbranch_execz .LBB76_15
; %bb.17:                               ;   in Loop: Header=BB76_16 Depth=1
	v_mov_b32_e32 v1, 1
	ds_write_b32 v13, v14 offset:4
	s_branch .LBB76_15
.LBB76_18:
	s_or_b64 exec, exec, s[36:37]
.LBB76_19:
	s_or_b64 exec, exec, s[18:19]
.LBB76_20:
	s_or_b64 exec, exec, s[14:15]
	v_mul_hi_u32 v6, v11, v12
	s_and_saveexec_b64 s[8:9], vcc
; %bb.21:
	v_mov_b32_e32 v7, 0x100
	v_lshl_add_u32 v7, v3, 2, v7
	v_mov_b32_e32 v8, -1
	ds_write_b32 v7, v8 offset:8
; %bb.22:
	s_or_b64 exec, exec, s[8:9]
	s_load_dwordx4 s[36:39], s[0:1], 0x54
	v_add_u32_e32 v76, 2, v3
	v_add_u32_e32 v8, v11, v6
	;; [unrolled: 1-line block ×3, first 2 shown]
	s_abs_i32 s3, s4
	v_cmp_gt_i32_e64 s[14:15], s21, v6
	s_and_saveexec_b64 s[8:9], s[14:15]
	s_cbranch_execz .LBB76_30
; %bb.23:
	s_and_saveexec_b64 s[10:11], s[6:7]
	s_cbranch_execz .LBB76_29
; %bb.24:
	v_mul_lo_u32 v6, v76, s27
	v_ashrrev_i32_e32 v7, 31, v6
	v_lshl_add_u64 v[4:5], v[6:7], 2, v[4:5]
	v_mov_b32_e32 v6, 0x100
	v_lshl_add_u32 v9, v3, 2, v6
	v_mul_lo_u32 v6, v2, s26
	s_lshl_b32 s5, s26, 6
	s_mov_b64 s[18:19], 0
	v_mov_b32_e32 v11, v2
	s_branch .LBB76_26
.LBB76_25:                              ;   in Loop: Header=BB76_26 Depth=1
	s_or_b64 exec, exec, s[26:27]
	v_add_u32_e32 v11, 64, v11
	v_cmp_le_i32_e64 s[6:7], s22, v11
	s_xor_b64 s[26:27], vcc, -1
	s_or_b64 s[6:7], s[26:27], s[6:7]
	s_and_b64 s[6:7], exec, s[6:7]
	s_or_b64 s[18:19], s[6:7], s[18:19]
	v_add_u32_e32 v6, s5, v6
	s_andn2_b64 exec, exec, s[18:19]
	s_cbranch_execz .LBB76_28
.LBB76_26:                              ; =>This Inner Loop Header: Depth=1
	v_ashrrev_i32_e32 v7, 31, v6
	v_lshl_add_u64 v[12:13], v[6:7], 2, v[4:5]
	global_load_dword v7, v[12:13], off
	s_waitcnt vmcnt(0)
	v_cmp_ne_u32_e32 vcc, v7, v10
	v_cmp_eq_u32_e64 s[6:7], v7, v10
	s_and_saveexec_b64 s[26:27], s[6:7]
	s_cbranch_execz .LBB76_25
; %bb.27:                               ;   in Loop: Header=BB76_26 Depth=1
	v_mov_b32_e32 v1, 1
	ds_write_b32 v9, v11 offset:8
	s_branch .LBB76_25
.LBB76_28:
	s_or_b64 exec, exec, s[18:19]
.LBB76_29:
	s_or_b64 exec, exec, s[10:11]
.LBB76_30:
	s_or_b64 exec, exec, s[8:9]
	s_load_dwordx2 s[6:7], s[34:35], 0xc
	s_load_dwordx2 s[8:9], s[0:1], 0x8
	;; [unrolled: 1-line block ×3, first 2 shown]
	v_or_b32_dpp v1, v1, v1 row_shl:1 row_mask:0xf bank_mask:0xf bound_ctrl:1
	v_mul_hi_u32 v4, s3, v8
	s_waitcnt lgkmcnt(0)
	s_and_b32 s5, s7, 0xffff
	s_lshr_b32 s7, s6, 16
	s_and_b32 s6, s6, 0xffff
	v_or_b32_dpp v1, v1, v1 row_shl:2 row_mask:0xf bank_mask:0xf bound_ctrl:1
	s_mul_i32 s10, s7, s6
	s_bfe_i32 s10, s10, 0x180000
	v_or_b32_dpp v1, v1, v1 row_shl:4 row_mask:0xf bank_mask:0xf bound_ctrl:1
	s_mul_i32 s5, s10, s5
	s_add_i32 s10, s5, 63
	v_or_b32_dpp v1, v1, v1 row_shl:8 row_mask:0xf bank_mask:0xf bound_ctrl:1
	s_bitcmp1_b32 exec_hi, 0
	s_nop 0
	v_mov_b32_dpp v5, v1 wave_shl:1 row_mask:0xf bank_mask:0xf bound_ctrl:1
	s_nop 1
	v_or_b32_dpp v1, v5, v1 row_mirror row_mask:0xf bank_mask:0xf bound_ctrl:1
	s_nop 0
	v_readlane_b32 s5, v1, 32
	s_cselect_b32 s5, s5, 0
	v_readlane_b32 s11, v1, 0
	s_or_b32 s5, s5, s11
	s_andn2_b32 s10, s10, 63
	s_cmp_lg_u32 s10, 64
	v_mov_b32_e32 v1, s5
	s_cbranch_scc0 .LBB76_37
; %bb.31:
	v_bfe_u32 v0, v0, 20, 10
	v_mbcnt_lo_u32_b32 v1, -1, 0
	v_mad_u32_u24 v0, v0, s7, v3
	v_mbcnt_hi_u32_b32 v5, -1, v1
	v_mad_u64_u32 v[0:1], s[6:7], v0, s6, v[2:3]
	v_lshrrev_b32_e32 v1, 6, v0
	v_or_b32_e32 v1, v5, v1
	v_cmp_eq_u32_e32 vcc, 0, v1
	s_and_saveexec_b64 s[6:7], vcc
; %bb.32:
	v_mov_b32_e32 v1, 0
	v_mov_b32_e32 v6, s5
	ds_write_b32 v1, v6
; %bb.33:
	s_or_b64 exec, exec, s[6:7]
	v_cmp_eq_u32_e32 vcc, 0, v5
	v_cmp_lt_u32_e64 s[6:7], 63, v0
	s_and_b64 s[10:11], s[6:7], vcc
	s_waitcnt lgkmcnt(0)
	; wave barrier
	s_and_saveexec_b64 s[6:7], s[10:11]
	s_cbranch_execz .LBB76_36
; %bb.34:
	v_mbcnt_lo_u32_b32 v0, exec_lo, 0
	v_mbcnt_hi_u32_b32 v0, exec_hi, v0
	v_cmp_eq_u32_e32 vcc, 0, v0
	s_and_b64 exec, exec, vcc
; %bb.35:
	v_mov_b32_e32 v0, 0
	v_mov_b32_e32 v1, s5
	ds_or_b32 v0, v1
.LBB76_36:
	s_or_b64 exec, exec, s[6:7]
	v_mov_b32_e32 v0, 0
	s_waitcnt lgkmcnt(0)
	; wave barrier
	ds_read_b32 v1, v0
	s_waitcnt lgkmcnt(0)
	; wave barrier
.LBB76_37:
	s_load_dwordx2 s[6:7], s[0:1], 0x0
	v_cmp_ne_u32_e32 vcc, 0, v1
	s_ashr_i32 s10, s4, 31
	s_ashr_i32 s11, s31, 31
	s_cbranch_vccz .LBB76_68
; %bb.38:
	v_lshlrev_b32_e32 v77, 6, v3
	v_add_u32_e32 v78, v77, v2
	v_cmp_le_i32_e32 vcc, s20, v78
	v_and_b32_e32 v0, 15, v2
                                        ; implicit-def: $vgpr79
	s_and_saveexec_b64 s[0:1], vcc
	s_xor_b64 s[0:1], exec, s[0:1]
; %bb.39:
	v_mul_u32_u24_e32 v79, 0x108, v0
                                        ; implicit-def: $vgpr78
                                        ; implicit-def: $vgpr4
                                        ; implicit-def: $vgpr10
                                        ; implicit-def: $vgpr0
; %bb.40:
	s_or_saveexec_b64 s[0:1], s[0:1]
	s_lshl_b32 s5, s2, 6
	v_mov_b32_e32 v1, 0
	v_accvgpr_write_b32 a0, 0
	v_accvgpr_write_b32 a1, 0
	;; [unrolled: 1-line block ×16, first 2 shown]
	s_xor_b64 exec, exec, s[0:1]
	s_cbranch_execz .LBB76_56
; %bb.41:
	v_mul_lo_u32 v5, v4, s33
	v_sub_u32_e32 v5, s3, v5
	v_add_u32_e32 v6, 1, v4
	v_subrev_u32_e32 v7, s33, v5
	v_cmp_le_u32_e32 vcc, s33, v5
	s_xor_b32 s2, s10, s11
	s_movk_i32 s10, 0x1080
	v_cndmask_b32_e32 v4, v4, v6, vcc
	v_cndmask_b32_e32 v5, v5, v7, vcc
	v_add_u32_e32 v6, 1, v4
	v_cmp_le_u32_e32 vcc, s33, v5
	v_mov_b32_e32 v80, 0x100
	v_mad_u32_u24 v12, v3, s10, v80
	v_cndmask_b32_e32 v4, v4, v6, vcc
	v_xor_b32_e32 v4, s2, v4
	v_subrev_u32_e32 v4, s2, v4
	s_mul_i32 s2, s23, s5
	v_mul_hi_i32 v5, v4, s36
	v_mul_lo_u32 v4, v4, s36
	v_mul_lo_u32 v6, v10, s28
	s_ashr_i32 s3, s2, 31
	s_mul_hi_i32 s11, s37, s4
	s_mul_i32 s10, s37, s4
	v_ashrrev_i32_e32 v7, 31, v6
	v_lshlrev_b64 v[8:9], 2, v[4:5]
	s_lshl_b64 s[2:3], s[2:3], 2
	s_lshl_b64 s[10:11], s[10:11], 2
	s_waitcnt lgkmcnt(0)
	v_lshl_add_u64 v[4:5], s[6:7], 0, v[8:9]
	v_lshlrev_b64 v[10:11], 2, v[6:7]
	v_mul_hi_i32 v7, v74, s24
	v_mul_lo_u32 v6, v74, s24
	s_add_u32 s8, s8, s10
	v_mul_u32_u24_e32 v79, 0x108, v0
	v_lshrrev_b32_e32 v0, 1, v2
	v_lshl_add_u64 v[8:9], v[8:9], 0, s[2:3]
	s_addc_u32 s9, s9, s11
	v_lshlrev_b64 v[6:7], 2, v[6:7]
	v_and_b32_e32 v0, 0x1f8, v0
	v_lshl_add_u64 v[8:9], v[8:9], 0, v[10:11]
	v_lshl_add_u64 v[4:5], v[4:5], 0, v[10:11]
	;; [unrolled: 1-line block ×3, first 2 shown]
	v_lshl_add_u32 v81, v2, 2, v12
	v_add3_u32 v82, v12, v79, v0
	v_add_u32_e32 v12, 1, v74
	v_add_u32_e32 v13, 2, v74
	s_ashr_i32 s9, s23, 31
	s_mov_b32 s8, s23
	v_lshl_add_u64 v[8:9], s[6:7], 0, v[8:9]
	v_lshlrev_b32_e32 v0, 2, v78
	v_lshl_add_u64 v[4:5], v[4:5], 0, s[2:3]
	s_lshl_b32 s28, s24, 1
	s_add_i32 s31, s23, s23
	s_mul_i32 s33, s23, 3
	s_lshl_b32 s34, s23, 2
	s_mul_i32 s35, s23, 5
	s_mul_i32 s36, s23, 6
	;; [unrolled: 1-line block ×3, first 2 shown]
	s_lshl_b32 s39, s23, 3
	s_mul_i32 s40, s23, 9
	s_mul_i32 s41, s23, 10
	;; [unrolled: 1-line block ×7, first 2 shown]
	s_lshl_b32 s47, s23, 4
	s_mul_i32 s48, s23, 17
	s_mul_i32 s49, s23, 18
	;; [unrolled: 1-line block ×15, first 2 shown]
	s_lshl_b32 s63, s23, 5
	s_mul_i32 s64, s23, 33
	s_mul_i32 s65, s23, 34
	s_mul_i32 s66, s23, 35
	s_mul_i32 s67, s23, 36
	s_mul_i32 s68, s23, 37
	s_mul_i32 s69, s23, 38
	s_mul_i32 s70, s23, 39
	s_mul_i32 s71, s23, 40
	s_mul_i32 s72, s23, 41
	s_mul_i32 s73, s23, 42
	s_mul_i32 s74, s23, 43
	s_mul_i32 s75, s23, 44
	s_mul_i32 s76, s23, 45
	s_mul_i32 s77, s23, 46
	s_mul_i32 s78, s23, 47
	s_mul_i32 s79, s23, 48
	s_mul_i32 s80, s23, 49
	s_mul_i32 s81, s23, 50
	s_mul_i32 s82, s23, 51
	s_mul_i32 s83, s23, 52
	s_mul_i32 s84, s23, 53
	s_mul_i32 s85, s23, 54
	v_cmp_gt_i32_e64 s[6:7], s21, v74
	s_mul_i32 s86, s23, 55
	s_mul_i32 s87, s23, 56
	s_lshl_b64 s[2:3], s[8:9], 2
	v_accvgpr_write_b32 a15, 0
	v_accvgpr_write_b32 a14, 0
	;; [unrolled: 1-line block ×16, first 2 shown]
	v_lshl_add_u64 v[8:9], v[8:9], 0, v[0:1]
	s_mul_i32 s88, s23, 57
	s_mul_i32 s89, s23, 58
	s_mul_i32 s90, s23, 59
	s_mul_i32 s91, s23, 60
	s_mul_i32 s92, s23, 61
	s_mul_i32 s93, s23, 62
	s_mul_i32 s94, s23, 63
	v_cmp_gt_i32_e64 s[8:9], s21, v12
	v_cmp_gt_i32_e64 s[10:11], s21, v13
	s_mov_b64 s[22:23], 0
	s_mov_b64 s[26:27], 0x100
	s_branch .LBB76_44
.LBB76_42:                              ;   in Loop: Header=BB76_44 Depth=1
	v_mul_lo_u32 v0, v0, s29
	v_add_u32_e32 v0, s28, v0
	v_add_u32_e32 v84, v0, v78
	v_ashrrev_i32_e32 v85, 31, v84
	v_lshl_add_u64 v[84:85], v[84:85], 2, v[6:7]
	global_load_dword v0, v[84:85], off
.LBB76_43:                              ;   in Loop: Header=BB76_44 Depth=1
	s_waitcnt vmcnt(0)
	ds_write2_b32 v81, v0, v1 offset0:148 offset1:214
	v_add_u32_e32 v0, 0x400, v81
	ds_write2_b32 v0, v1, v1 offset0:24 offset1:90
	ds_write2_b32 v0, v1, v1 offset0:156 offset1:222
	v_add_u32_e32 v0, 0x800, v81
	ds_write2_b32 v0, v1, v1 offset0:32 offset1:98
	;; [unrolled: 3-line block ×3, first 2 shown]
	ds_write2_b32 v0, v1, v1 offset0:172 offset1:238
	ds_read2_b64 v[84:87], v82 offset0:8 offset1:12
	v_add_u32_e32 v78, 64, v78
	s_waitcnt lgkmcnt(0)
	v_mfma_f32_16x16x4_f32 a[12:15], v38, v84, a[12:15]
	v_cmp_le_i32_e32 vcc, s20, v78
	v_lshl_add_u64 v[8:9], v[8:9], 0, s[26:27]
	s_or_b64 s[22:23], vcc, s[22:23]
	v_mfma_f32_16x16x4_f32 a[8:11], v50, v84, a[8:11]
	v_mfma_f32_16x16x4_f32 a[4:7], v60, v84, a[4:7]
	;; [unrolled: 1-line block ×15, first 2 shown]
	ds_read2_b64 v[70:73], v82 offset0:16 offset1:20
	s_waitcnt lgkmcnt(0)
	v_mfma_f32_16x16x4_f32 a[12:15], v26, v70, a[12:15]
	v_mfma_f32_16x16x4_f32 a[8:11], v42, v70, a[8:11]
	;; [unrolled: 1-line block ×14, first 2 shown]
	ds_read2_b64 v[36:39], v82 offset0:24 offset1:28
	v_mfma_f32_16x16x4_f32 a[4:7], v49, v73, a[4:7]
	v_mfma_f32_16x16x4_f32 a[0:3], v67, v73, a[0:3]
	s_waitcnt lgkmcnt(0)
	v_mfma_f32_16x16x4_f32 a[12:15], v18, v36, a[12:15]
	v_mfma_f32_16x16x4_f32 a[8:11], v30, v36, a[8:11]
	;; [unrolled: 1-line block ×14, first 2 shown]
	ds_read2_b64 v[22:25], v82 offset0:32 offset1:36
	v_mfma_f32_16x16x4_f32 a[4:7], v41, v39, a[4:7]
	v_mfma_f32_16x16x4_f32 a[0:3], v63, v39, a[0:3]
	s_waitcnt lgkmcnt(0)
	v_mfma_f32_16x16x4_f32 a[12:15], v12, v22, a[12:15]
	v_mfma_f32_16x16x4_f32 a[8:11], v20, v22, a[8:11]
	;; [unrolled: 1-line block ×16, first 2 shown]
	s_andn2_b64 exec, exec, s[22:23]
	s_cbranch_execz .LBB76_55
.LBB76_44:                              ; =>This Inner Loop Header: Depth=1
	v_lshl_add_u64 v[10:11], v[8:9], 0, s[2:3]
	global_load_dword v0, v[8:9], off
	global_load_dword v26, v[10:11], off
	v_add_u32_e32 v10, s31, v78
	v_add_u32_e32 v14, s34, v78
	;; [unrolled: 1-line block ×5, first 2 shown]
	v_ashrrev_i32_e32 v11, 31, v10
	v_add_u32_e32 v12, s33, v78
	v_ashrrev_i32_e32 v15, 31, v14
	v_ashrrev_i32_e32 v17, 31, v16
	;; [unrolled: 1-line block ×3, first 2 shown]
	v_add_u32_e32 v20, s37, v78
	v_ashrrev_i32_e32 v23, 31, v22
	v_add_u32_e32 v24, s40, v78
	v_lshl_add_u64 v[10:11], v[10:11], 2, v[4:5]
	v_ashrrev_i32_e32 v13, 31, v12
	v_lshl_add_u64 v[14:15], v[14:15], 2, v[4:5]
	v_lshl_add_u64 v[16:17], v[16:17], 2, v[4:5]
	;; [unrolled: 1-line block ×3, first 2 shown]
	v_ashrrev_i32_e32 v21, 31, v20
	v_lshl_add_u64 v[22:23], v[22:23], 2, v[4:5]
	v_ashrrev_i32_e32 v25, 31, v24
	v_lshl_add_u64 v[12:13], v[12:13], 2, v[4:5]
	v_lshl_add_u64 v[20:21], v[20:21], 2, v[4:5]
	;; [unrolled: 1-line block ×3, first 2 shown]
	global_load_dword v27, v[10:11], off
	global_load_dword v28, v[12:13], off
	;; [unrolled: 1-line block ×6, first 2 shown]
	s_nop 0
	global_load_dword v22, v[22:23], off
	s_nop 0
	global_load_dword v23, v[24:25], off
	v_add_u32_e32 v10, s41, v78
	v_add_u32_e32 v14, s43, v78
	;; [unrolled: 1-line block ×4, first 2 shown]
	v_ashrrev_i32_e32 v11, 31, v10
	v_add_u32_e32 v12, s42, v78
	v_ashrrev_i32_e32 v15, 31, v14
	v_ashrrev_i32_e32 v17, 31, v16
	;; [unrolled: 1-line block ×3, first 2 shown]
	v_add_u32_e32 v20, s46, v78
	v_lshl_add_u64 v[10:11], v[10:11], 2, v[4:5]
	v_ashrrev_i32_e32 v13, 31, v12
	v_lshl_add_u64 v[14:15], v[14:15], 2, v[4:5]
	v_lshl_add_u64 v[16:17], v[16:17], 2, v[4:5]
	;; [unrolled: 1-line block ×3, first 2 shown]
	v_ashrrev_i32_e32 v21, 31, v20
	v_lshl_add_u64 v[12:13], v[12:13], 2, v[4:5]
	v_lshl_add_u64 v[20:21], v[20:21], 2, v[4:5]
	global_load_dword v24, v[10:11], off
	global_load_dword v25, v[12:13], off
	s_nop 0
	global_load_dword v15, v[14:15], off
	s_nop 0
	global_load_dword v16, v[16:17], off
	s_nop 0
	global_load_dword v17, v[18:19], off
	s_nop 0
	global_load_dword v18, v[20:21], off
	v_add_u32_e32 v10, s47, v78
	v_add_u32_e32 v12, s48, v78
	v_ashrrev_i32_e32 v11, 31, v10
	v_add_u32_e32 v14, s49, v78
	v_ashrrev_i32_e32 v13, 31, v12
	v_lshl_add_u64 v[10:11], v[10:11], 2, v[4:5]
	v_lshl_add_u64 v[12:13], v[12:13], 2, v[4:5]
	global_load_dword v34, v[10:11], off
	global_load_dword v35, v[12:13], off
	v_add_u32_e32 v12, s50, v78
	v_add_u32_e32 v20, s54, v78
	v_ashrrev_i32_e32 v13, 31, v12
	v_ashrrev_i32_e32 v21, 31, v20
	v_lshl_add_u64 v[12:13], v[12:13], 2, v[4:5]
	v_lshl_add_u64 v[20:21], v[20:21], 2, v[4:5]
	s_andn2_b64 vcc, exec, s[6:7]
	s_waitcnt vmcnt(17)
	ds_write_b32 v81, v0 offset:64
	s_waitcnt vmcnt(16)
	ds_write_b32 v81, v26 offset:328
	s_waitcnt vmcnt(15)
	ds_write_b32 v81, v27 offset:592
	s_waitcnt vmcnt(14)
	ds_write_b32 v81, v28 offset:856
	s_waitcnt vmcnt(13)
	ds_write_b32 v81, v29 offset:1120
	s_waitcnt vmcnt(12)
	ds_write_b32 v81, v30 offset:1384
	s_waitcnt vmcnt(11)
	ds_write_b32 v81, v31 offset:1648
	s_waitcnt vmcnt(10)
	ds_write_b32 v81, v32 offset:1912
	s_waitcnt vmcnt(9)
	ds_write_b32 v81, v22 offset:2176
	s_waitcnt vmcnt(8)
	ds_write_b32 v81, v23 offset:2440
	s_waitcnt vmcnt(7)
	ds_write_b32 v81, v24 offset:2704
	s_waitcnt vmcnt(6)
	ds_write_b32 v81, v25 offset:2968
	s_waitcnt vmcnt(5)
	ds_write_b32 v81, v15 offset:3232
	s_waitcnt vmcnt(4)
	ds_write_b32 v81, v16 offset:3496
	s_waitcnt vmcnt(3)
	ds_write_b32 v81, v17 offset:3760
	s_waitcnt vmcnt(2)
	ds_write_b32 v81, v18 offset:4024
	v_ashrrev_i32_e32 v15, 31, v14
	v_lshl_add_u64 v[10:11], v[14:15], 2, v[4:5]
	v_add_u32_e32 v14, s51, v78
	v_add_u32_e32 v16, s52, v78
	v_add_u32_e32 v18, s53, v78
	v_add_u32_e32 v22, s55, v78
	v_add_u32_e32 v24, s56, v78
	v_ashrrev_i32_e32 v15, 31, v14
	v_ashrrev_i32_e32 v17, 31, v16
	;; [unrolled: 1-line block ×5, first 2 shown]
	v_lshl_add_u64 v[14:15], v[14:15], 2, v[4:5]
	v_lshl_add_u64 v[16:17], v[16:17], 2, v[4:5]
	v_lshl_add_u64 v[18:19], v[18:19], 2, v[4:5]
	v_lshl_add_u64 v[22:23], v[22:23], 2, v[4:5]
	v_lshl_add_u64 v[24:25], v[24:25], 2, v[4:5]
	global_load_dword v0, v[10:11], off
	global_load_dword v28, v[12:13], off
	global_load_dword v29, v[14:15], off
	global_load_dword v30, v[16:17], off
	global_load_dword v31, v[18:19], off
	global_load_dword v36, v[20:21], off
	global_load_dword v37, v[22:23], off
	global_load_dword v40, v[24:25], off
	v_add_u32_e32 v10, s57, v78
	v_ashrrev_i32_e32 v11, 31, v10
	v_add_u32_e32 v12, s58, v78
	v_add_u32_e32 v14, s59, v78
	v_add_u32_e32 v16, s60, v78
	v_add_u32_e32 v18, s61, v78
	v_add_u32_e32 v20, s62, v78
	v_add_u32_e32 v22, s63, v78
	v_add_u32_e32 v24, s64, v78
	v_lshl_add_u64 v[10:11], v[10:11], 2, v[4:5]
	v_ashrrev_i32_e32 v13, 31, v12
	v_ashrrev_i32_e32 v15, 31, v14
	v_ashrrev_i32_e32 v17, 31, v16
	v_ashrrev_i32_e32 v19, 31, v18
	v_ashrrev_i32_e32 v21, 31, v20
	v_ashrrev_i32_e32 v23, 31, v22
	v_ashrrev_i32_e32 v25, 31, v24
	v_lshl_add_u64 v[12:13], v[12:13], 2, v[4:5]
	v_lshl_add_u64 v[14:15], v[14:15], 2, v[4:5]
	v_lshl_add_u64 v[16:17], v[16:17], 2, v[4:5]
	v_lshl_add_u64 v[18:19], v[18:19], 2, v[4:5]
	v_lshl_add_u64 v[20:21], v[20:21], 2, v[4:5]
	v_lshl_add_u64 v[22:23], v[22:23], 2, v[4:5]
	v_lshl_add_u64 v[24:25], v[24:25], 2, v[4:5]
	global_load_dword v41, v[10:11], off
	global_load_dword v42, v[12:13], off
	global_load_dword v43, v[14:15], off
	global_load_dword v44, v[16:17], off
	global_load_dword v45, v[18:19], off
	global_load_dword v46, v[20:21], off
	global_load_dword v48, v[22:23], off
	global_load_dword v49, v[24:25], off
	v_add_u32_e32 v10, s65, v78
	v_ashrrev_i32_e32 v11, 31, v10
	v_add_u32_e32 v12, s66, v78
	v_add_u32_e32 v14, s67, v78
	v_add_u32_e32 v16, s68, v78
	v_add_u32_e32 v18, s69, v78
	v_add_u32_e32 v20, s70, v78
	v_add_u32_e32 v22, s71, v78
	v_add_u32_e32 v24, s72, v78
	v_lshl_add_u64 v[10:11], v[10:11], 2, v[4:5]
	v_ashrrev_i32_e32 v13, 31, v12
	v_ashrrev_i32_e32 v15, 31, v14
	v_ashrrev_i32_e32 v17, 31, v16
	v_ashrrev_i32_e32 v19, 31, v18
	v_ashrrev_i32_e32 v21, 31, v20
	v_ashrrev_i32_e32 v23, 31, v22
	v_ashrrev_i32_e32 v25, 31, v24
	v_lshl_add_u64 v[12:13], v[12:13], 2, v[4:5]
	v_lshl_add_u64 v[14:15], v[14:15], 2, v[4:5]
	;; [unrolled: 32-line block ×4, first 2 shown]
	v_lshl_add_u64 v[16:17], v[16:17], 2, v[4:5]
	v_lshl_add_u64 v[18:19], v[18:19], 2, v[4:5]
	;; [unrolled: 1-line block ×5, first 2 shown]
	global_load_dword v68, v[10:11], off
	global_load_dword v69, v[12:13], off
	;; [unrolled: 1-line block ×8, first 2 shown]
	v_add_u32_e32 v10, s89, v78
	v_ashrrev_i32_e32 v11, 31, v10
	v_add_u32_e32 v12, s90, v78
	v_lshl_add_u64 v[10:11], v[10:11], 2, v[4:5]
	v_ashrrev_i32_e32 v13, 31, v12
	v_lshl_add_u64 v[12:13], v[12:13], 2, v[4:5]
	global_load_dword v85, v[10:11], off
	global_load_dword v86, v[12:13], off
	v_add_u32_e32 v10, s91, v78
	v_ashrrev_i32_e32 v11, 31, v10
	v_add_u32_e32 v12, s92, v78
	v_add_u32_e32 v14, s93, v78
	;; [unrolled: 1-line block ×3, first 2 shown]
	v_lshl_add_u64 v[10:11], v[10:11], 2, v[4:5]
	v_ashrrev_i32_e32 v13, 31, v12
	v_ashrrev_i32_e32 v15, 31, v14
	;; [unrolled: 1-line block ×3, first 2 shown]
	v_lshl_add_u64 v[12:13], v[12:13], 2, v[4:5]
	v_lshl_add_u64 v[14:15], v[14:15], 2, v[4:5]
	;; [unrolled: 1-line block ×3, first 2 shown]
	global_load_dword v87, v[10:11], off
	global_load_dword v88, v[12:13], off
	;; [unrolled: 1-line block ×4, first 2 shown]
	ds_read_b64 v[38:39], v82 offset:64
	ds_read_b64 v[32:33], v82 offset:96
	ds_read_b64 v[26:27], v82 offset:128
	ds_read_b64 v[22:23], v82 offset:160
	ds_read_b64 v[18:19], v82 offset:192
	ds_read_b64 v[14:15], v82 offset:224
	ds_read_b64 v[12:13], v82 offset:256
	ds_read_b64 v[10:11], v82 offset:288
	s_waitcnt vmcnt(47)
	ds_write_b32 v81, v34 offset:64
	s_waitcnt vmcnt(46)
	ds_write_b32 v81, v35 offset:328
	s_waitcnt vmcnt(45)
	ds_write_b32 v81, v0 offset:592
	s_waitcnt vmcnt(44)
	ds_write_b32 v81, v28 offset:856
	s_waitcnt vmcnt(43)
	ds_write_b32 v81, v29 offset:1120
	s_waitcnt vmcnt(42)
	ds_write_b32 v81, v30 offset:1384
	s_waitcnt vmcnt(41)
	ds_write_b32 v81, v31 offset:1648
	s_waitcnt vmcnt(40)
	ds_write_b32 v81, v36 offset:1912
	s_waitcnt vmcnt(39)
	ds_write_b32 v81, v37 offset:2176
	s_waitcnt vmcnt(38)
	ds_write_b32 v81, v40 offset:2440
	s_waitcnt vmcnt(37)
	ds_write_b32 v81, v41 offset:2704
	s_waitcnt vmcnt(36)
	ds_write_b32 v81, v42 offset:2968
	s_waitcnt vmcnt(35)
	ds_write_b32 v81, v43 offset:3232
	s_waitcnt vmcnt(34)
	ds_write_b32 v81, v44 offset:3496
	s_waitcnt vmcnt(33)
	ds_write_b32 v81, v45 offset:3760
	s_waitcnt vmcnt(32)
	ds_write_b32 v81, v46 offset:4024
	ds_read_b64 v[50:51], v82 offset:64
	ds_read_b64 v[46:47], v82 offset:96
	ds_read_b64 v[42:43], v82 offset:128
	ds_read_b64 v[36:37], v82 offset:160
	ds_read_b64 v[30:31], v82 offset:192
	ds_read_b64 v[24:25], v82 offset:224
	ds_read_b64 v[20:21], v82 offset:256
	ds_read_b64 v[16:17], v82 offset:288
	s_waitcnt vmcnt(31)
	ds_write_b32 v81, v48 offset:64
	s_waitcnt vmcnt(30)
	ds_write_b32 v81, v49 offset:328
	s_waitcnt vmcnt(29)
	ds_write_b32 v81, v52 offset:592
	s_waitcnt vmcnt(28)
	ds_write_b32 v81, v53 offset:856
	s_waitcnt vmcnt(27)
	ds_write_b32 v81, v54 offset:1120
	s_waitcnt vmcnt(26)
	ds_write_b32 v81, v55 offset:1384
	s_waitcnt vmcnt(25)
	ds_write_b32 v81, v56 offset:1648
	s_waitcnt vmcnt(24)
	ds_write_b32 v81, v57 offset:1912
	s_waitcnt vmcnt(23)
	ds_write_b32 v81, v58 offset:2176
	s_waitcnt vmcnt(22)
	ds_write_b32 v81, v59 offset:2440
	s_waitcnt vmcnt(21)
	ds_write_b32 v81, v60 offset:2704
	s_waitcnt vmcnt(20)
	ds_write_b32 v81, v61 offset:2968
	s_waitcnt vmcnt(19)
	ds_write_b32 v81, v62 offset:3232
	s_waitcnt vmcnt(18)
	ds_write_b32 v81, v63 offset:3496
	s_waitcnt vmcnt(17)
	ds_write_b32 v81, v64 offset:3760
	s_waitcnt vmcnt(16)
	ds_write_b32 v81, v65 offset:4024
	;; [unrolled: 40-line block ×3, first 2 shown]
	ds_read_b64 v[72:73], v82 offset:64
	ds_read_b64 v[70:71], v82 offset:96
	;; [unrolled: 1-line block ×8, first 2 shown]
	v_mov_b32_e32 v0, 0
	s_cbranch_vccnz .LBB76_48
; %bb.45:                               ;   in Loop: Header=BB76_44 Depth=1
	ds_read_b32 v0, v80
	s_waitcnt lgkmcnt(0)
	v_cmp_gt_i32_e32 vcc, 0, v0
	s_cbranch_vccnz .LBB76_47
; %bb.46:                               ;   in Loop: Header=BB76_44 Depth=1
	v_mul_lo_u32 v0, v0, s29
	v_add_u32_e32 v84, v78, v0
	v_ashrrev_i32_e32 v85, 31, v84
	v_lshl_add_u64 v[84:85], v[84:85], 2, v[6:7]
	global_load_dword v0, v[84:85], off
	s_branch .LBB76_48
.LBB76_47:                              ;   in Loop: Header=BB76_44 Depth=1
	v_mov_b32_e32 v0, 0
.LBB76_48:                              ;   in Loop: Header=BB76_44 Depth=1
	s_waitcnt vmcnt(0)
	ds_write_b32 v81, v0 offset:64
	v_mov_b32_e32 v0, 0
	s_andn2_b64 vcc, exec, s[8:9]
	v_mov_b32_e32 v83, 0
	s_cbranch_vccnz .LBB76_51
; %bb.49:                               ;   in Loop: Header=BB76_44 Depth=1
	ds_read_b32 v83, v80 offset:4
	s_waitcnt lgkmcnt(0)
	v_cmp_gt_i32_e32 vcc, 0, v83
	s_cbranch_vccnz .LBB76_54
; %bb.50:                               ;   in Loop: Header=BB76_44 Depth=1
	v_mul_lo_u32 v83, v83, s29
	v_add_u32_e32 v83, s24, v83
	v_add_u32_e32 v84, v83, v78
	v_ashrrev_i32_e32 v85, 31, v84
	v_lshl_add_u64 v[84:85], v[84:85], 2, v[6:7]
	global_load_dword v83, v[84:85], off
.LBB76_51:                              ;   in Loop: Header=BB76_44 Depth=1
	s_andn2_b64 vcc, exec, s[10:11]
	s_waitcnt vmcnt(0)
	ds_write_b32 v81, v83 offset:328
	s_cbranch_vccnz .LBB76_43
.LBB76_52:                              ;   in Loop: Header=BB76_44 Depth=1
	ds_read_b32 v0, v80 offset:8
	s_waitcnt lgkmcnt(0)
	v_cmp_gt_i32_e32 vcc, 0, v0
	s_cbranch_vccz .LBB76_42
; %bb.53:                               ;   in Loop: Header=BB76_44 Depth=1
	v_mov_b32_e32 v0, 0
	s_branch .LBB76_43
.LBB76_54:                              ;   in Loop: Header=BB76_44 Depth=1
	v_mov_b32_e32 v83, 0
	s_andn2_b64 vcc, exec, s[10:11]
	ds_write_b32 v81, v83 offset:328
	s_cbranch_vccnz .LBB76_43
	s_branch .LBB76_52
.LBB76_55:
	s_or_b64 exec, exec, s[22:23]
.LBB76_56:
	s_or_b64 exec, exec, s[0:1]
	v_mov_b32_e32 v0, 0x100
	v_lshl_add_u32 v4, v77, 2, v0
	v_and_b32_e32 v1, 0x3f0, v2
	v_add3_u32 v1, v4, v79, v1
	v_accvgpr_read_b32 v5, a13
	v_accvgpr_read_b32 v6, a12
	ds_write2_b32 v1, v6, v5 offset0:16 offset1:17
	v_accvgpr_read_b32 v5, a15
	v_accvgpr_read_b32 v6, a14
	ds_write2_b32 v1, v6, v5 offset0:18 offset1:19
	;; [unrolled: 3-line block ×8, first 2 shown]
	v_lshl_add_u32 v5, v2, 2, v0
	s_movk_i32 s0, 0x108
	v_mad_u32_u24 v0, v3, s0, v5
	ds_read_b32 v6, v0 offset:64
	v_cmp_gt_u32_e32 vcc, 3, v3
	v_mov_b32_e32 v7, -1
	s_and_saveexec_b64 s[0:1], vcc
; %bb.57:
	s_movk_i32 s2, 0xff04
	v_mad_i32_i24 v0, v3, s2, v4
	ds_read_b32 v7, v0
; %bb.58:
	s_or_b64 exec, exec, s[0:1]
	s_mul_hi_i32 s1, s38, s4
	s_mul_i32 s0, s38, s4
	s_lshl_b64 s[0:1], s[0:1], 2
	v_mul_hi_i32 v1, v74, s25
	v_mul_lo_u32 v0, v74, s25
	s_add_u32 s0, s18, s0
	s_addc_u32 s1, s19, s1
	v_lshlrev_b64 v[0:1], 2, v[0:1]
	s_waitcnt lgkmcnt(0)
	v_cmp_lt_i32_e32 vcc, -1, v7
	v_mul_u32_u24_e32 v8, 0x108, v3
	v_add_u32_e32 v2, s5, v2
	v_lshl_add_u64 v[0:1], s[0:1], 0, v[0:1]
	s_and_b64 s[2:3], vcc, s[12:13]
	s_and_saveexec_b64 s[0:1], s[2:3]
	s_cbranch_execz .LBB76_60
; %bb.59:
	v_add_f32_e32 v9, 0, v6
	v_mul_lo_u32 v6, v7, s30
	v_mul_lo_u32 v7, v3, s25
	v_add3_u32 v6, v2, v7, v6
	v_mov_b32_e32 v7, 0
	v_lshl_add_u64 v[6:7], v[6:7], 2, v[0:1]
	global_store_dword v[6:7], v9, off
.LBB76_60:
	s_or_b64 exec, exec, s[0:1]
	v_add_u32_e32 v5, v8, v5
	ds_read_b32 v6, v5 offset:328
	v_cmp_gt_u32_e32 vcc, 2, v3
	v_mov_b32_e32 v7, -1
	s_and_saveexec_b64 s[0:1], vcc
; %bb.61:
	s_movk_i32 s2, 0xff04
	v_mad_i32_i24 v4, v3, s2, v4
	ds_read_b32 v7, v4 offset:4
; %bb.62:
	s_or_b64 exec, exec, s[0:1]
	s_waitcnt lgkmcnt(0)
	v_cmp_lt_i32_e32 vcc, -1, v7
	s_and_b64 s[2:3], vcc, s[16:17]
	s_and_saveexec_b64 s[0:1], s[2:3]
	s_cbranch_execz .LBB76_64
; %bb.63:
	v_add_f32_e32 v4, 0, v6
	v_mul_lo_u32 v6, v7, s30
	v_mul_lo_u32 v7, v75, s25
	v_add3_u32 v6, v2, v7, v6
	v_mov_b32_e32 v7, 0
	v_lshl_add_u64 v[6:7], v[6:7], 2, v[0:1]
	global_store_dword v[6:7], v4, off
.LBB76_64:
	s_or_b64 exec, exec, s[0:1]
	ds_read_b32 v4, v5 offset:592
	v_cmp_eq_u32_e32 vcc, 0, v3
	v_mov_b32_e32 v3, -1
	s_and_saveexec_b64 s[0:1], vcc
; %bb.65:
	v_mov_b32_e32 v3, 0x100
	ds_read_b32 v3, v3 offset:8
; %bb.66:
	s_or_b64 exec, exec, s[0:1]
	s_waitcnt lgkmcnt(0)
	v_cmp_lt_i32_e32 vcc, -1, v3
	s_and_b64 s[0:1], vcc, s[14:15]
	s_and_saveexec_b64 s[2:3], s[0:1]
	s_cbranch_execz .LBB76_68
; %bb.67:
	v_mul_lo_u32 v3, v3, s30
	v_mul_lo_u32 v5, v76, s25
	v_add3_u32 v2, v2, v5, v3
	v_mov_b32_e32 v3, 0
	v_add_f32_e32 v4, 0, v4
	v_lshl_add_u64 v[0:1], v[2:3], 2, v[0:1]
	global_store_dword v[0:1], v4, off
.LBB76_68:
	s_endpgm
	.section	.rodata,"a",@progbits
	.p2align	6, 0x0
	.amdhsa_kernel _ZL9mul_mat_fIfLi64ELi3ELi1ELb1EEvPKT_PKfPKiPfiiiiiiiiiiiiiiii
		.amdhsa_group_segment_fixed_size 256
		.amdhsa_private_segment_fixed_size 0
		.amdhsa_kernarg_size 352
		.amdhsa_user_sgpr_count 2
		.amdhsa_user_sgpr_dispatch_ptr 0
		.amdhsa_user_sgpr_queue_ptr 0
		.amdhsa_user_sgpr_kernarg_segment_ptr 1
		.amdhsa_user_sgpr_dispatch_id 0
		.amdhsa_user_sgpr_kernarg_preload_length 0
		.amdhsa_user_sgpr_kernarg_preload_offset 0
		.amdhsa_user_sgpr_private_segment_size 0
		.amdhsa_uses_dynamic_stack 0
		.amdhsa_enable_private_segment 0
		.amdhsa_system_sgpr_workgroup_id_x 1
		.amdhsa_system_sgpr_workgroup_id_y 1
		.amdhsa_system_sgpr_workgroup_id_z 1
		.amdhsa_system_sgpr_workgroup_info 0
		.amdhsa_system_vgpr_workitem_id 2
		.amdhsa_next_free_vgpr 108
		.amdhsa_next_free_sgpr 95
		.amdhsa_accum_offset 92
		.amdhsa_reserve_vcc 1
		.amdhsa_float_round_mode_32 0
		.amdhsa_float_round_mode_16_64 0
		.amdhsa_float_denorm_mode_32 3
		.amdhsa_float_denorm_mode_16_64 3
		.amdhsa_dx10_clamp 1
		.amdhsa_ieee_mode 1
		.amdhsa_fp16_overflow 0
		.amdhsa_tg_split 0
		.amdhsa_exception_fp_ieee_invalid_op 0
		.amdhsa_exception_fp_denorm_src 0
		.amdhsa_exception_fp_ieee_div_zero 0
		.amdhsa_exception_fp_ieee_overflow 0
		.amdhsa_exception_fp_ieee_underflow 0
		.amdhsa_exception_fp_ieee_inexact 0
		.amdhsa_exception_int_div_zero 0
	.end_amdhsa_kernel
	.section	.text._ZL9mul_mat_fIfLi64ELi3ELi1ELb1EEvPKT_PKfPKiPfiiiiiiiiiiiiiiii,"axG",@progbits,_ZL9mul_mat_fIfLi64ELi3ELi1ELb1EEvPKT_PKfPKiPfiiiiiiiiiiiiiiii,comdat
.Lfunc_end76:
	.size	_ZL9mul_mat_fIfLi64ELi3ELi1ELb1EEvPKT_PKfPKiPfiiiiiiiiiiiiiiii, .Lfunc_end76-_ZL9mul_mat_fIfLi64ELi3ELi1ELb1EEvPKT_PKfPKiPfiiiiiiiiiiiiiiii
                                        ; -- End function
	.set _ZL9mul_mat_fIfLi64ELi3ELi1ELb1EEvPKT_PKfPKiPfiiiiiiiiiiiiiiii.num_vgpr, 91
	.set _ZL9mul_mat_fIfLi64ELi3ELi1ELb1EEvPKT_PKfPKiPfiiiiiiiiiiiiiiii.num_agpr, 16
	.set _ZL9mul_mat_fIfLi64ELi3ELi1ELb1EEvPKT_PKfPKiPfiiiiiiiiiiiiiiii.numbered_sgpr, 95
	.set _ZL9mul_mat_fIfLi64ELi3ELi1ELb1EEvPKT_PKfPKiPfiiiiiiiiiiiiiiii.num_named_barrier, 0
	.set _ZL9mul_mat_fIfLi64ELi3ELi1ELb1EEvPKT_PKfPKiPfiiiiiiiiiiiiiiii.private_seg_size, 0
	.set _ZL9mul_mat_fIfLi64ELi3ELi1ELb1EEvPKT_PKfPKiPfiiiiiiiiiiiiiiii.uses_vcc, 1
	.set _ZL9mul_mat_fIfLi64ELi3ELi1ELb1EEvPKT_PKfPKiPfiiiiiiiiiiiiiiii.uses_flat_scratch, 0
	.set _ZL9mul_mat_fIfLi64ELi3ELi1ELb1EEvPKT_PKfPKiPfiiiiiiiiiiiiiiii.has_dyn_sized_stack, 0
	.set _ZL9mul_mat_fIfLi64ELi3ELi1ELb1EEvPKT_PKfPKiPfiiiiiiiiiiiiiiii.has_recursion, 0
	.set _ZL9mul_mat_fIfLi64ELi3ELi1ELb1EEvPKT_PKfPKiPfiiiiiiiiiiiiiiii.has_indirect_call, 0
	.section	.AMDGPU.csdata,"",@progbits
; Kernel info:
; codeLenInByte = 6624
; TotalNumSgprs: 101
; NumVgprs: 91
; NumAgprs: 16
; TotalNumVgprs: 108
; ScratchSize: 0
; MemoryBound: 0
; FloatMode: 240
; IeeeMode: 1
; LDSByteSize: 256 bytes/workgroup (compile time only)
; SGPRBlocks: 12
; VGPRBlocks: 13
; NumSGPRsForWavesPerEU: 101
; NumVGPRsForWavesPerEU: 108
; AccumOffset: 92
; Occupancy: 4
; WaveLimiterHint : 0
; COMPUTE_PGM_RSRC2:SCRATCH_EN: 0
; COMPUTE_PGM_RSRC2:USER_SGPR: 2
; COMPUTE_PGM_RSRC2:TRAP_HANDLER: 0
; COMPUTE_PGM_RSRC2:TGID_X_EN: 1
; COMPUTE_PGM_RSRC2:TGID_Y_EN: 1
; COMPUTE_PGM_RSRC2:TGID_Z_EN: 1
; COMPUTE_PGM_RSRC2:TIDIG_COMP_CNT: 2
; COMPUTE_PGM_RSRC3_GFX90A:ACCUM_OFFSET: 22
; COMPUTE_PGM_RSRC3_GFX90A:TG_SPLIT: 0
	.section	.text._ZL9mul_mat_fIfLi64ELi3ELi1ELb0EEvPKT_PKfPKiPfiiiiiiiiiiiiiiii,"axG",@progbits,_ZL9mul_mat_fIfLi64ELi3ELi1ELb0EEvPKT_PKfPKiPfiiiiiiiiiiiiiiii,comdat
	.globl	_ZL9mul_mat_fIfLi64ELi3ELi1ELb0EEvPKT_PKfPKiPfiiiiiiiiiiiiiiii ; -- Begin function _ZL9mul_mat_fIfLi64ELi3ELi1ELb0EEvPKT_PKfPKiPfiiiiiiiiiiiiiiii
	.p2align	8
	.type	_ZL9mul_mat_fIfLi64ELi3ELi1ELb0EEvPKT_PKfPKiPfiiiiiiiiiiiiiiii,@function
_ZL9mul_mat_fIfLi64ELi3ELi1ELb0EEvPKT_PKfPKiPfiiiiiiiiiiiiiiii: ; @_ZL9mul_mat_fIfLi64ELi3ELi1ELb0EEvPKT_PKfPKiPfiiiiiiiiiiiiiiii
; %bb.0:
	s_load_dword s5, s[0:1], 0x20
	s_load_dwordx4 s[16:19], s[0:1], 0x2c
	v_bfe_u32 v78, v0, 10, 10
	v_lshlrev_b32_e32 v80, 6, v78
	v_and_b32_e32 v79, 0x3ff, v0
	v_or_b32_e32 v81, v80, v79
	s_waitcnt lgkmcnt(0)
	s_ashr_i32 s19, s4, 31
	v_cmp_le_i32_e32 vcc, s5, v81
	v_and_b32_e32 v4, 15, v79
                                        ; implicit-def: $vgpr82
	s_and_saveexec_b64 s[6:7], vcc
	s_xor_b64 s[6:7], exec, s[6:7]
; %bb.1:
	v_mul_u32_u24_e32 v82, 0x108, v4
                                        ; implicit-def: $vgpr81
                                        ; implicit-def: $vgpr4
; %bb.2:
	s_or_saveexec_b64 s[24:25], s[6:7]
	s_load_dwordx8 s[8:15], s[0:1], 0x40
	s_load_dwordx2 s[6:7], s[0:1], 0x18
	s_lshl_b32 s2, s2, 6
	v_mov_b32_e32 v1, 0
	v_accvgpr_write_b32 a0, 0
	v_accvgpr_write_b32 a1, 0
	;; [unrolled: 1-line block ×16, first 2 shown]
	v_lshlrev_b32_e32 v0, 2, v79
	s_xor_b64 exec, exec, s[24:25]
	s_cbranch_execz .LBB77_6
; %bb.3:
	s_waitcnt lgkmcnt(0)
	s_abs_i32 s26, s8
	v_cvt_f32_u32_e32 v2, s26
	s_abs_i32 s27, s12
	v_cvt_f32_u32_e32 v3, s27
	s_sub_i32 s20, 0, s26
	v_rcp_iflag_f32_e32 v2, v2
	s_abs_i32 s28, s3
	v_rcp_iflag_f32_e32 v3, v3
	s_sub_i32 s21, 0, s27
	v_mul_f32_e32 v2, 0x4f7ffffe, v2
	v_cvt_u32_f32_e32 v2, v2
	v_mul_f32_e32 v3, 0x4f7ffffe, v3
	v_cvt_u32_f32_e32 v3, v3
	s_abs_i32 s29, s4
	v_mul_lo_u32 v5, s20, v2
	v_mul_hi_u32 v5, v2, v5
	v_add_u32_e32 v2, v2, v5
	v_mul_hi_u32 v2, s28, v2
	v_mul_lo_u32 v6, s21, v3
	v_mul_lo_u32 v5, v2, s26
	v_mul_hi_u32 v6, v3, v6
	v_sub_u32_e32 v5, s28, v5
	v_add_u32_e32 v3, v3, v6
	v_add_u32_e32 v6, 1, v2
	v_subrev_u32_e32 v7, s26, v5
	v_cmp_le_u32_e32 vcc, s26, v5
	s_load_dwordx4 s[20:23], s[0:1], 0x0
	s_ashr_i32 s0, s3, 31
	v_cndmask_b32_e32 v2, v2, v6, vcc
	v_cndmask_b32_e32 v5, v5, v7, vcc
	s_ashr_i32 s1, s8, 31
	v_add_u32_e32 v6, 1, v2
	v_cmp_le_u32_e32 vcc, s26, v5
	s_xor_b32 s0, s0, s1
	v_mul_hi_u32 v3, s29, v3
	v_cndmask_b32_e32 v2, v2, v6, vcc
	v_xor_b32_e32 v2, s0, v2
	v_subrev_u32_e32 v5, s0, v2
	v_mul_lo_u32 v2, v3, s27
	v_sub_u32_e32 v2, s29, v2
	v_add_u32_e32 v6, 1, v3
	v_subrev_u32_e32 v7, s27, v2
	v_cmp_le_u32_e32 vcc, s27, v2
	s_ashr_i32 s8, s12, 31
	s_xor_b32 s0, s19, s8
	v_cndmask_b32_e32 v3, v3, v6, vcc
	v_cndmask_b32_e32 v2, v2, v7, vcc
	v_add_u32_e32 v6, 1, v3
	v_cmp_le_u32_e32 vcc, s27, v2
	s_mul_i32 s8, s14, s4
	s_mul_i32 s26, s10, s3
	v_cndmask_b32_e32 v2, v3, v6, vcc
	v_mul_lo_u32 v6, v5, s9
	s_mul_hi_i32 s9, s14, s4
	v_xor_b32_e32 v2, s0, v2
	s_lshl_b64 s[8:9], s[8:9], 2
	v_subrev_u32_e32 v2, s0, v2
	s_mul_i32 s0, s16, s2
	s_waitcnt lgkmcnt(0)
	s_add_u32 s10, s22, s8
	s_addc_u32 s14, s23, s9
	s_ashr_i32 s1, s0, 31
	s_ashr_i32 s27, s26, 31
	v_mul_hi_i32 v3, v2, s13
	v_mul_lo_u32 v2, v2, s13
	s_lshl_b64 s[12:13], s[0:1], 2
	s_lshl_b64 s[26:27], s[26:27], 2
	s_add_u32 s0, s10, s26
	s_addc_u32 s1, s14, s27
	s_movk_i32 s10, 0x1080
	s_ashr_i32 s69, s16, 31
	s_mov_b32 s68, s16
	s_ashr_i32 s71, s17, 31
	s_mov_b32 s70, s17
	v_ashrrev_i32_e32 v7, 31, v6
	v_mad_u32_u24 v5, v78, s10, 0
	v_mul_u32_u24_e32 v82, 0x108, v4
	v_lshrrev_b32_e32 v4, 1, v79
	s_add_i32 s10, s16, s16
	s_add_i32 s14, s17, s17
	s_lshl_b32 s19, s16, 2
	s_lshl_b32 s31, s16, 3
	;; [unrolled: 1-line block ×4, first 2 shown]
	s_lshl_b64 s[72:73], s[68:69], 2
	s_lshl_b64 s[74:75], s[70:71], 2
	v_lshlrev_b64 v[8:9], 2, v[2:3]
	v_lshlrev_b64 v[6:7], 2, v[6:7]
	v_and_b32_e32 v4, 0x1f8, v4
	s_add_u32 s76, s22, s26
	v_lshl_add_u64 v[2:3], s[20:21], 0, v[8:9]
	v_add_u32_e32 v83, v5, v0
	v_add3_u32 v84, v5, v82, v4
	s_addc_u32 s77, s23, s27
	v_lshl_add_u64 v[4:5], s[20:21], 0, v[6:7]
	v_lshlrev_b32_e32 v14, 8, v78
	v_mov_b32_e32 v15, v1
	v_lshl_add_u64 v[2:3], v[2:3], 0, v[6:7]
	v_lshl_add_u64 v[10:11], v[4:5], 0, s[12:13]
	;; [unrolled: 1-line block ×3, first 2 shown]
	s_add_u32 s8, s76, s74
	v_lshl_add_u64 v[12:13], v[10:11], 0, s[72:73]
	s_addc_u32 s9, s77, s75
	v_lshl_add_u64 v[14:15], v[8:9], 0, v[14:15]
	v_lshl_add_u64 v[2:3], v[2:3], 0, s[12:13]
	s_mul_i32 s17, s16, 3
	s_mul_i32 s28, s16, 5
	s_mul_i32 s29, s16, 6
	s_mul_i32 s30, s16, 7
	s_mul_i32 s33, s16, 9
	s_mul_i32 s34, s16, 10
	s_mul_i32 s35, s16, 11
	s_mul_i32 s36, s16, 12
	s_mul_i32 s37, s16, 13
	s_mul_i32 s38, s16, 14
	s_mul_i32 s39, s16, 15
	s_mul_i32 s41, s16, 17
	s_mul_i32 s42, s16, 18
	s_mul_i32 s43, s16, 19
	s_mul_i32 s44, s16, 20
	s_mul_i32 s45, s16, 21
	s_mul_i32 s46, s16, 22
	s_mul_i32 s47, s16, 23
	s_mul_i32 s48, s16, 24
	s_mul_i32 s49, s16, 25
	s_mul_i32 s50, s16, 26
	s_mul_i32 s51, s16, 27
	s_mul_i32 s52, s16, 28
	s_mul_i32 s53, s16, 29
	s_mul_i32 s54, s16, 30
	s_mul_i32 s55, s16, 31
	s_mul_i32 s57, s16, 33
	s_mul_i32 s58, s16, 34
	s_mul_i32 s59, s16, 35
	s_mul_i32 s60, s16, 36
	s_mul_i32 s61, s16, 37
	s_mul_i32 s62, s16, 38
	s_mul_i32 s63, s16, 39
	s_mul_i32 s64, s16, 40
	s_mul_i32 s65, s16, 41
	s_mul_i32 s66, s16, 42
	s_mul_i32 s67, s16, 43
	s_mul_i32 s22, s16, 44
	s_mul_i32 s23, s16, 45
	s_mul_i32 s20, s16, 46
	s_mul_i32 s21, s16, 47
	s_mul_i32 s26, s16, 48
	s_mul_i32 s27, s16, 49
	s_mul_i32 s68, s16, 50
	s_mul_i32 s69, s16, 51
	s_mul_i32 s70, s16, 52
	s_mul_i32 s71, s16, 53
	s_mul_i32 s72, s16, 54
	s_mul_i32 s73, s16, 55
	v_lshl_add_u64 v[4:5], s[8:9], 0, v[6:7]
	s_mul_i32 s74, s16, 56
	s_mul_i32 s75, s16, 57
	v_lshl_add_u64 v[6:7], s[76:77], 0, v[6:7]
	s_mul_i32 s76, s16, 58
	s_mul_i32 s77, s16, 59
	v_accvgpr_write_b32 a15, 0
	v_accvgpr_write_b32 a14, 0
	;; [unrolled: 1-line block ×16, first 2 shown]
	v_lshl_add_u64 v[8:9], v[12:13], 0, v[14:15]
	v_lshl_add_u64 v[10:11], v[10:11], 0, v[14:15]
	s_mul_i32 s78, s16, 60
	s_mul_i32 s79, s16, 61
	;; [unrolled: 1-line block ×4, first 2 shown]
	s_mov_b64 s[8:9], 0
	s_mov_b64 s[12:13], 0x100
.LBB77_4:                               ; =>This Inner Loop Header: Depth=1
	v_add_u32_e32 v46, s10, v81
	v_add_u32_e32 v50, s17, v81
	;; [unrolled: 1-line block ×9, first 2 shown]
	v_lshl_add_u64 v[52:53], v[10:11], 0, v[0:1]
	v_add_u32_e32 v48, s28, v81
	v_add_u32_e32 v44, s30, v81
	;; [unrolled: 1-line block ×9, first 2 shown]
	v_lshl_add_u64 v[90:91], v[6:7], 0, v[0:1]
	v_ashrrev_i32_e32 v47, 31, v46
	v_ashrrev_i32_e32 v51, 31, v50
	;; [unrolled: 1-line block ×9, first 2 shown]
	v_lshl_add_u64 v[54:55], v[8:9], 0, v[0:1]
	v_add_u32_e32 v12, s44, v81
	v_add_u32_e32 v22, s45, v81
	v_lshl_add_u64 v[92:93], v[4:5], 0, v[0:1]
	global_load_dword v87, v[52:53], off
	global_load_dword v88, v[54:55], off
	;; [unrolled: 1-line block ×4, first 2 shown]
	v_lshl_add_u64 v[46:47], v[46:47], 2, v[2:3]
	v_lshl_add_u64 v[90:91], v[50:51], 2, v[2:3]
	v_ashrrev_i32_e32 v49, 31, v48
	v_lshl_add_u64 v[42:43], v[42:43], 2, v[2:3]
	v_ashrrev_i32_e32 v45, 31, v44
	;; [unrolled: 2-line block ×5, first 2 shown]
	v_lshl_add_u64 v[20:21], v[20:21], 2, v[2:3]
	v_lshl_add_u64 v[14:15], v[14:15], 2, v[2:3]
	;; [unrolled: 1-line block ×3, first 2 shown]
	v_ashrrev_i32_e32 v19, 31, v18
	v_ashrrev_i32_e32 v29, 31, v28
	;; [unrolled: 1-line block ×4, first 2 shown]
	v_add_u32_e32 v68, s46, v81
	v_add_u32_e32 v76, s47, v81
	global_load_dword v50, v[46:47], off
	global_load_dword v51, v[90:91], off
	v_lshl_add_u64 v[90:91], v[48:49], 2, v[2:3]
	global_load_dword v48, v[42:43], off
	global_load_dword v49, v[90:91], off
	v_lshl_add_u64 v[44:45], v[44:45], 2, v[2:3]
	global_load_dword v38, v[38:39], off
	s_nop 0
	global_load_dword v39, v[44:45], off
	v_lshl_add_u64 v[40:41], v[40:41], 2, v[2:3]
	global_load_dword v34, v[34:35], off
	s_nop 0
	;; [unrolled: 4-line block ×4, first 2 shown]
	global_load_dword v21, v[32:33], off
	s_nop 0
	global_load_dword v14, v[14:15], off
	s_nop 0
	global_load_dword v15, v[24:25], off
	v_lshl_add_u64 v[18:19], v[18:19], 2, v[2:3]
	v_lshl_add_u64 v[24:25], v[28:29], 2, v[2:3]
	;; [unrolled: 1-line block ×4, first 2 shown]
	v_ashrrev_i32_e32 v13, 31, v12
	v_ashrrev_i32_e32 v23, 31, v22
	v_add_u32_e32 v64, s48, v81
	v_add_u32_e32 v74, s49, v81
	global_load_dword v18, v[18:19], off
	s_nop 0
	global_load_dword v19, v[24:25], off
	s_nop 0
	global_load_dword v24, v[16:17], off
	global_load_dword v25, v[26:27], off
	v_lshl_add_u64 v[12:13], v[12:13], 2, v[2:3]
	v_lshl_add_u64 v[26:27], v[22:23], 2, v[2:3]
	v_ashrrev_i32_e32 v69, 31, v68
	v_ashrrev_i32_e32 v77, 31, v76
	v_add_u32_e32 v62, s50, v81
	v_add_u32_e32 v72, s51, v81
	global_load_dword v22, v[12:13], off
	global_load_dword v23, v[26:27], off
	v_lshl_add_u64 v[26:27], v[68:69], 2, v[2:3]
	v_lshl_add_u64 v[28:29], v[76:77], 2, v[2:3]
	v_ashrrev_i32_e32 v65, 31, v64
	v_ashrrev_i32_e32 v75, 31, v74
	v_add_u32_e32 v60, s52, v81
	v_add_u32_e32 v70, s53, v81
	global_load_dword v26, v[26:27], off
	s_nop 0
	global_load_dword v27, v[28:29], off
	v_lshl_add_u64 v[28:29], v[64:65], 2, v[2:3]
	v_lshl_add_u64 v[32:33], v[74:75], 2, v[2:3]
	v_ashrrev_i32_e32 v63, 31, v62
	v_ashrrev_i32_e32 v73, 31, v72
	v_add_u32_e32 v58, s54, v81
	v_add_u32_e32 v66, s55, v81
	global_load_dword v28, v[28:29], off
	s_nop 0
	global_load_dword v29, v[32:33], off
	v_lshl_add_u64 v[32:33], v[62:63], 2, v[2:3]
	v_lshl_add_u64 v[36:37], v[72:73], 2, v[2:3]
	v_ashrrev_i32_e32 v61, 31, v60
	v_ashrrev_i32_e32 v71, 31, v70
	v_add_u32_e32 v56, s56, v81
	v_add_u32_e32 v54, s57, v81
	;; [unrolled: 1-line block ×3, first 2 shown]
	global_load_dword v32, v[32:33], off
	s_nop 0
	global_load_dword v33, v[36:37], off
	v_lshl_add_u64 v[36:37], v[60:61], 2, v[2:3]
	v_lshl_add_u64 v[40:41], v[70:71], 2, v[2:3]
	v_ashrrev_i32_e32 v59, 31, v58
	v_ashrrev_i32_e32 v67, 31, v66
	v_add_u32_e32 v46, s59, v81
	v_add_u32_e32 v42, s60, v81
	;; [unrolled: 1-line block ×3, first 2 shown]
	global_load_dword v36, v[36:37], off
	s_nop 0
	global_load_dword v37, v[40:41], off
	v_lshl_add_u64 v[40:41], v[58:59], 2, v[2:3]
	v_lshl_add_u64 v[44:45], v[66:67], 2, v[2:3]
	v_ashrrev_i32_e32 v57, 31, v56
	v_ashrrev_i32_e32 v55, 31, v54
	;; [unrolled: 1-line block ×3, first 2 shown]
	v_add_u32_e32 v92, s62, v81
	v_add_u32_e32 v94, s63, v81
	global_load_dword v40, v[40:41], off
	s_nop 0
	global_load_dword v41, v[44:45], off
	v_lshl_add_u64 v[44:45], v[56:57], 2, v[2:3]
	v_lshl_add_u64 v[54:55], v[54:55], 2, v[2:3]
	v_ashrrev_i32_e32 v47, 31, v46
	v_lshl_add_u64 v[52:53], v[52:53], 2, v[2:3]
	v_ashrrev_i32_e32 v43, 31, v42
	v_ashrrev_i32_e32 v91, 31, v90
	v_add_u32_e32 v96, s64, v81
	v_add_u32_e32 v98, s65, v81
	global_load_dword v44, v[44:45], off
	s_nop 0
	global_load_dword v45, v[54:55], off
	v_lshl_add_u64 v[54:55], v[46:47], 2, v[2:3]
	global_load_dword v46, v[52:53], off
	global_load_dword v47, v[54:55], off
	v_lshl_add_u64 v[42:43], v[42:43], 2, v[2:3]
	v_lshl_add_u64 v[52:53], v[90:91], 2, v[2:3]
	v_ashrrev_i32_e32 v93, 31, v92
	v_ashrrev_i32_e32 v95, 31, v94
	v_add_u32_e32 v100, s66, v81
	v_add_u32_e32 v16, s67, v81
	;; [unrolled: 1-line block ×6, first 2 shown]
	global_load_dword v42, v[42:43], off
	s_nop 0
	global_load_dword v43, v[52:53], off
	v_lshl_add_u64 v[52:53], v[92:93], 2, v[2:3]
	v_lshl_add_u64 v[54:55], v[94:95], 2, v[2:3]
	v_ashrrev_i32_e32 v97, 31, v96
	v_ashrrev_i32_e32 v99, 31, v98
	v_add_u32_e32 v62, s21, v81
	v_add_u32_e32 v58, s27, v81
	;; [unrolled: 1-line block ×4, first 2 shown]
	global_load_dword v52, v[52:53], off
	s_nop 0
	global_load_dword v53, v[54:55], off
	v_lshl_add_u64 v[54:55], v[96:97], 2, v[2:3]
	v_lshl_add_u64 v[56:57], v[98:99], 2, v[2:3]
	v_ashrrev_i32_e32 v101, 31, v100
	v_ashrrev_i32_e32 v17, 31, v16
	;; [unrolled: 1-line block ×6, first 2 shown]
	v_add_u32_e32 v72, s70, v81
	v_add_u32_e32 v74, s71, v81
	global_load_dword v54, v[54:55], off
	s_nop 0
	global_load_dword v55, v[56:57], off
	v_lshl_add_u64 v[56:57], v[100:101], 2, v[2:3]
	v_lshl_add_u64 v[16:17], v[16:17], 2, v[2:3]
	;; [unrolled: 1-line block ×4, first 2 shown]
	v_ashrrev_i32_e32 v63, 31, v62
	v_lshl_add_u64 v[64:65], v[64:65], 2, v[2:3]
	v_ashrrev_i32_e32 v59, 31, v58
	v_lshl_add_u64 v[60:61], v[60:61], 2, v[2:3]
	v_ashrrev_i32_e32 v67, 31, v66
	v_ashrrev_i32_e32 v71, 31, v70
	v_add_u32_e32 v76, s72, v81
	global_load_dword v56, v[56:57], off
	s_nop 0
	global_load_dword v57, v[16:17], off
	v_add_u32_e32 v16, s73, v81
	global_load_dword v89, v[12:13], off
	s_nop 0
	global_load_dword v68, v[68:69], off
	v_lshl_add_u64 v[62:63], v[62:63], 2, v[2:3]
	global_load_dword v69, v[64:65], off
	global_load_dword v90, v[62:63], off
	v_lshl_add_u64 v[58:59], v[58:59], 2, v[2:3]
	global_load_dword v91, v[60:61], off
	global_load_dword v92, v[58:59], off
	v_lshl_add_u64 v[60:61], v[66:67], 2, v[2:3]
	v_lshl_add_u64 v[64:65], v[70:71], 2, v[2:3]
	v_ashrrev_i32_e32 v73, 31, v72
	v_ashrrev_i32_e32 v75, 31, v74
	global_load_dword v70, v[60:61], off
	global_load_dword v71, v[64:65], off
	v_lshl_add_u64 v[64:65], v[72:73], 2, v[2:3]
	v_lshl_add_u64 v[66:67], v[74:75], 2, v[2:3]
	v_ashrrev_i32_e32 v77, 31, v76
	v_ashrrev_i32_e32 v17, 31, v16
	v_add_u32_e32 v12, s74, v81
	v_add_u32_e32 v58, s76, v81
	;; [unrolled: 1-line block ×3, first 2 shown]
	global_load_dword v72, v[64:65], off
	global_load_dword v73, v[66:67], off
	v_lshl_add_u64 v[66:67], v[76:77], 2, v[2:3]
	v_lshl_add_u64 v[16:17], v[16:17], 2, v[2:3]
	v_add_u32_e32 v62, s75, v81
	v_add_u32_e32 v64, s78, v81
	global_load_dword v66, v[66:67], off
	s_nop 0
	global_load_dword v67, v[16:17], off
	v_add_u32_e32 v16, s79, v81
	v_ashrrev_i32_e32 v13, 31, v12
	v_ashrrev_i32_e32 v59, 31, v58
	;; [unrolled: 1-line block ×4, first 2 shown]
	v_lshl_add_u64 v[12:13], v[12:13], 2, v[2:3]
	v_lshl_add_u64 v[58:59], v[58:59], 2, v[2:3]
	;; [unrolled: 1-line block ×3, first 2 shown]
	v_ashrrev_i32_e32 v65, 31, v64
	v_ashrrev_i32_e32 v17, 31, v16
	v_lshl_add_u64 v[62:63], v[62:63], 2, v[2:3]
	global_load_dword v74, v[12:13], off
	global_load_dword v75, v[62:63], off
	v_add_u32_e32 v12, s80, v81
	global_load_dword v76, v[58:59], off
	global_load_dword v77, v[60:61], off
	v_lshl_add_u64 v[60:61], v[64:65], 2, v[2:3]
	v_lshl_add_u64 v[16:17], v[16:17], 2, v[2:3]
	v_add_u32_e32 v58, s16, v81
	global_load_dword v93, v[60:61], off
	global_load_dword v94, v[16:17], off
	v_add_u32_e32 v16, s14, v81
	v_ashrrev_i32_e32 v13, 31, v12
	v_ashrrev_i32_e32 v59, 31, v58
	;; [unrolled: 1-line block ×3, first 2 shown]
	v_lshl_add_u64 v[12:13], v[12:13], 2, v[2:3]
	v_lshl_add_u64 v[58:59], v[58:59], 2, v[2:3]
	;; [unrolled: 1-line block ×3, first 2 shown]
	global_load_dword v95, v[12:13], off
	global_load_dword v96, v[58:59], off
	;; [unrolled: 1-line block ×3, first 2 shown]
	s_waitcnt vmcnt(62)
	ds_write_b32 v83, v87
	ds_write_b32 v83, v88 offset:264
	ds_write_b32 v83, v50 offset:528
	s_waitcnt vmcnt(61)
	ds_write_b32 v83, v51 offset:792
	s_waitcnt vmcnt(60)
	ds_write_b32 v83, v48 offset:1056
	s_waitcnt vmcnt(59)
	ds_write_b32 v83, v49 offset:1320
	s_waitcnt vmcnt(58)
	ds_write_b32 v83, v38 offset:1584
	s_waitcnt vmcnt(57)
	ds_write_b32 v83, v39 offset:1848
	s_waitcnt vmcnt(56)
	ds_write_b32 v83, v34 offset:2112
	s_waitcnt vmcnt(55)
	ds_write_b32 v83, v35 offset:2376
	s_waitcnt vmcnt(54)
	ds_write_b32 v83, v30 offset:2640
	s_waitcnt vmcnt(53)
	ds_write_b32 v83, v31 offset:2904
	s_waitcnt vmcnt(52)
	ds_write_b32 v83, v20 offset:3168
	s_waitcnt vmcnt(51)
	ds_write_b32 v83, v21 offset:3432
	s_waitcnt vmcnt(50)
	ds_write_b32 v83, v14 offset:3696
	s_waitcnt vmcnt(49)
	ds_write_b32 v83, v15 offset:3960
	ds_read_b64 v[38:39], v84
	ds_read_b64 v[48:49], v84 offset:32
	ds_read_b64 v[50:51], v84 offset:64
	ds_read_b64 v[34:35], v84 offset:96
	ds_read_b64 v[30:31], v84 offset:128
	ds_read_b64 v[20:21], v84 offset:160
	ds_read_b64 v[16:17], v84 offset:192
	ds_read_b64 v[12:13], v84 offset:224
	s_waitcnt vmcnt(48)
	ds_write_b32 v83, v18
	s_waitcnt vmcnt(47)
	ds_write_b32 v83, v19 offset:264
	s_waitcnt vmcnt(46)
	ds_write_b32 v83, v24 offset:528
	s_waitcnt vmcnt(45)
	ds_write_b32 v83, v25 offset:792
	s_waitcnt vmcnt(44)
	ds_write_b32 v83, v22 offset:1056
	s_waitcnt vmcnt(43)
	ds_write_b32 v83, v23 offset:1320
	s_waitcnt vmcnt(42)
	ds_write_b32 v83, v26 offset:1584
	s_waitcnt vmcnt(41)
	ds_write_b32 v83, v27 offset:1848
	s_waitcnt vmcnt(40)
	ds_write_b32 v83, v28 offset:2112
	s_waitcnt vmcnt(39)
	ds_write_b32 v83, v29 offset:2376
	s_waitcnt vmcnt(38)
	ds_write_b32 v83, v32 offset:2640
	s_waitcnt vmcnt(37)
	ds_write_b32 v83, v33 offset:2904
	s_waitcnt vmcnt(36)
	ds_write_b32 v83, v36 offset:3168
	s_waitcnt vmcnt(35)
	ds_write_b32 v83, v37 offset:3432
	s_waitcnt vmcnt(34)
	ds_write_b32 v83, v40 offset:3696
	s_waitcnt vmcnt(33)
	ds_write_b32 v83, v41 offset:3960
	ds_read_b64 v[40:41], v84
	ds_read_b64 v[58:59], v84 offset:32
	ds_read_b64 v[60:61], v84 offset:64
	ds_read_b64 v[62:63], v84 offset:96
	ds_read_b64 v[64:65], v84 offset:128
	ds_read_b64 v[26:27], v84 offset:160
	ds_read_b64 v[22:23], v84 offset:192
	ds_read_b64 v[14:15], v84 offset:224
	s_waitcnt vmcnt(32)
	ds_write_b32 v83, v44
	s_waitcnt vmcnt(31)
	ds_write_b32 v83, v45 offset:264
	s_waitcnt vmcnt(30)
	;; [unrolled: 40-line block ×3, first 2 shown]
	ds_write_b32 v83, v70 offset:528
	s_waitcnt vmcnt(13)
	ds_write_b32 v83, v71 offset:792
	s_waitcnt vmcnt(12)
	;; [unrolled: 2-line block ×13, first 2 shown]
	ds_write_b32 v83, v96 offset:3960
	ds_read_b64 v[56:57], v84
	ds_read_b64 v[66:67], v84 offset:32
	ds_read_b64 v[68:69], v84 offset:64
	;; [unrolled: 1-line block ×7, first 2 shown]
	ds_write_b32 v83, v85
	ds_write_b32 v83, v86 offset:264
	s_waitcnt vmcnt(0)
	ds_write_b32 v83, v97 offset:528
	ds_write_b32 v83, v1 offset:792
	;; [unrolled: 1-line block ×14, first 2 shown]
	ds_read_b64 v[76:77], v84
	s_waitcnt lgkmcnt(0)
	v_mfma_f32_16x16x4_f32 a[12:15], v38, v76, a[12:15]
	v_add_u32_e32 v81, 64, v81
	v_cmp_le_i32_e32 vcc, s5, v81
	v_lshl_add_u64 v[8:9], v[8:9], 0, s[12:13]
	v_lshl_add_u64 v[10:11], v[10:11], 0, s[12:13]
	;; [unrolled: 1-line block ×3, first 2 shown]
	s_or_b64 s[8:9], vcc, s[8:9]
	v_lshl_add_u64 v[6:7], v[6:7], 0, s[12:13]
	v_mfma_f32_16x16x4_f32 a[8:11], v40, v76, a[8:11]
	v_mfma_f32_16x16x4_f32 a[4:7], v42, v76, a[4:7]
	;; [unrolled: 1-line block ×4, first 2 shown]
	ds_read_b64 v[38:39], v84 offset:32
	v_mfma_f32_16x16x4_f32 a[8:11], v41, v77, a[8:11]
	v_mfma_f32_16x16x4_f32 a[4:7], v43, v77, a[4:7]
	;; [unrolled: 1-line block ×3, first 2 shown]
	s_waitcnt lgkmcnt(0)
	v_mfma_f32_16x16x4_f32 a[12:15], v48, v38, a[12:15]
	v_mfma_f32_16x16x4_f32 a[8:11], v58, v38, a[8:11]
	;; [unrolled: 1-line block ×8, first 2 shown]
	ds_read_b64 v[38:39], v84 offset:64
	s_waitcnt lgkmcnt(0)
	v_mfma_f32_16x16x4_f32 a[12:15], v50, v38, a[12:15]
	v_mfma_f32_16x16x4_f32 a[8:11], v60, v38, a[8:11]
	;; [unrolled: 1-line block ×8, first 2 shown]
	ds_read_b64 v[38:39], v84 offset:96
	s_waitcnt lgkmcnt(0)
	v_mfma_f32_16x16x4_f32 a[12:15], v34, v38, a[12:15]
	v_mfma_f32_16x16x4_f32 a[8:11], v62, v38, a[8:11]
	v_mfma_f32_16x16x4_f32 a[4:7], v52, v38, a[4:7]
	v_mfma_f32_16x16x4_f32 a[0:3], v70, v38, a[0:3]
	v_mfma_f32_16x16x4_f32 a[12:15], v35, v39, a[12:15]
	ds_read_b64 v[34:35], v84 offset:128
	v_mfma_f32_16x16x4_f32 a[8:11], v63, v39, a[8:11]
	v_mfma_f32_16x16x4_f32 a[4:7], v53, v39, a[4:7]
	v_mfma_f32_16x16x4_f32 a[0:3], v71, v39, a[0:3]
	s_waitcnt lgkmcnt(0)
	v_mfma_f32_16x16x4_f32 a[12:15], v30, v34, a[12:15]
	v_mfma_f32_16x16x4_f32 a[8:11], v64, v34, a[8:11]
	v_mfma_f32_16x16x4_f32 a[4:7], v54, v34, a[4:7]
	v_mfma_f32_16x16x4_f32 a[0:3], v72, v34, a[0:3]
	v_mfma_f32_16x16x4_f32 a[12:15], v31, v35, a[12:15]
	ds_read_b64 v[30:31], v84 offset:160
	v_mfma_f32_16x16x4_f32 a[8:11], v65, v35, a[8:11]
	v_mfma_f32_16x16x4_f32 a[4:7], v55, v35, a[4:7]
	v_mfma_f32_16x16x4_f32 a[0:3], v73, v35, a[0:3]
	;; [unrolled: 10-line block ×4, first 2 shown]
	s_waitcnt lgkmcnt(0)
	v_mfma_f32_16x16x4_f32 a[12:15], v12, v16, a[12:15]
	v_mfma_f32_16x16x4_f32 a[8:11], v14, v16, a[8:11]
	;; [unrolled: 1-line block ×8, first 2 shown]
	s_andn2_b64 exec, exec, s[8:9]
	s_cbranch_execnz .LBB77_4
; %bb.5:
	s_or_b64 exec, exec, s[8:9]
.LBB77_6:
	s_or_b64 exec, exec, s[24:25]
	v_lshl_add_u32 v1, v80, 2, 0
	v_and_b32_e32 v2, 0x3f0, v79
	v_add3_u32 v1, v1, v82, v2
	v_accvgpr_read_b32 v2, a13
	v_accvgpr_read_b32 v3, a12
	ds_write2_b32 v1, v3, v2 offset1:1
	v_accvgpr_read_b32 v2, a15
	v_accvgpr_read_b32 v3, a14
	ds_write2_b32 v1, v3, v2 offset0:2 offset1:3
	v_accvgpr_read_b32 v2, a9
	v_accvgpr_read_b32 v3, a8
	ds_write2_b32 v1, v3, v2 offset0:16 offset1:17
	;; [unrolled: 3-line block ×6, first 2 shown]
	v_accvgpr_read_b32 v2, a3
	v_accvgpr_read_b32 v3, a2
	s_waitcnt lgkmcnt(0)
	s_mul_hi_i32 s1, s15, s4
	s_mul_i32 s0, s15, s4
	ds_write2_b32 v1, v3, v2 offset0:50 offset1:51
	v_mul_u32_u24_e32 v1, 0x108, v78
	s_lshl_b64 s[0:1], s[0:1], 2
	v_add3_u32 v6, 0, v0, v1
	s_add_u32 s4, s6, s0
	s_mul_i32 s0, s11, s3
	ds_read2_b32 v[0:1], v6 offset1:66
	s_addc_u32 s5, s7, s1
	s_ashr_i32 s1, s0, 31
	s_lshl_b64 s[0:1], s[0:1], 2
	s_add_u32 s0, s4, s0
	v_mul_lo_u32 v2, v78, s18
	s_addc_u32 s1, s5, s1
	v_add3_u32 v2, s2, v79, v2
	v_mov_b32_e32 v3, 0
	s_waitcnt lgkmcnt(0)
	v_add_f32_e32 v0, 0, v0
	v_lshl_add_u64 v[4:5], v[2:3], 2, s[0:1]
	global_store_dword v[4:5], v0, off
	ds_read_b32 v4, v6 offset:528
	v_add_u32_e32 v2, s18, v2
	v_add_f32_e32 v5, 0, v1
	v_lshl_add_u64 v[0:1], v[2:3], 2, s[0:1]
	v_add_u32_e32 v2, s18, v2
	global_store_dword v[0:1], v5, off
	s_waitcnt lgkmcnt(0)
	v_add_f32_e32 v4, 0, v4
	v_lshl_add_u64 v[0:1], v[2:3], 2, s[0:1]
	global_store_dword v[0:1], v4, off
	s_endpgm
	.section	.rodata,"a",@progbits
	.p2align	6, 0x0
	.amdhsa_kernel _ZL9mul_mat_fIfLi64ELi3ELi1ELb0EEvPKT_PKfPKiPfiiiiiiiiiiiiiiii
		.amdhsa_group_segment_fixed_size 0
		.amdhsa_private_segment_fixed_size 0
		.amdhsa_kernarg_size 96
		.amdhsa_user_sgpr_count 2
		.amdhsa_user_sgpr_dispatch_ptr 0
		.amdhsa_user_sgpr_queue_ptr 0
		.amdhsa_user_sgpr_kernarg_segment_ptr 1
		.amdhsa_user_sgpr_dispatch_id 0
		.amdhsa_user_sgpr_kernarg_preload_length 0
		.amdhsa_user_sgpr_kernarg_preload_offset 0
		.amdhsa_user_sgpr_private_segment_size 0
		.amdhsa_uses_dynamic_stack 0
		.amdhsa_enable_private_segment 0
		.amdhsa_system_sgpr_workgroup_id_x 1
		.amdhsa_system_sgpr_workgroup_id_y 1
		.amdhsa_system_sgpr_workgroup_id_z 1
		.amdhsa_system_sgpr_workgroup_info 0
		.amdhsa_system_vgpr_workitem_id 1
		.amdhsa_next_free_vgpr 120
		.amdhsa_next_free_sgpr 81
		.amdhsa_accum_offset 104
		.amdhsa_reserve_vcc 1
		.amdhsa_float_round_mode_32 0
		.amdhsa_float_round_mode_16_64 0
		.amdhsa_float_denorm_mode_32 3
		.amdhsa_float_denorm_mode_16_64 3
		.amdhsa_dx10_clamp 1
		.amdhsa_ieee_mode 1
		.amdhsa_fp16_overflow 0
		.amdhsa_tg_split 0
		.amdhsa_exception_fp_ieee_invalid_op 0
		.amdhsa_exception_fp_denorm_src 0
		.amdhsa_exception_fp_ieee_div_zero 0
		.amdhsa_exception_fp_ieee_overflow 0
		.amdhsa_exception_fp_ieee_underflow 0
		.amdhsa_exception_fp_ieee_inexact 0
		.amdhsa_exception_int_div_zero 0
	.end_amdhsa_kernel
	.section	.text._ZL9mul_mat_fIfLi64ELi3ELi1ELb0EEvPKT_PKfPKiPfiiiiiiiiiiiiiiii,"axG",@progbits,_ZL9mul_mat_fIfLi64ELi3ELi1ELb0EEvPKT_PKfPKiPfiiiiiiiiiiiiiiii,comdat
.Lfunc_end77:
	.size	_ZL9mul_mat_fIfLi64ELi3ELi1ELb0EEvPKT_PKfPKiPfiiiiiiiiiiiiiiii, .Lfunc_end77-_ZL9mul_mat_fIfLi64ELi3ELi1ELb0EEvPKT_PKfPKiPfiiiiiiiiiiiiiiii
                                        ; -- End function
	.set _ZL9mul_mat_fIfLi64ELi3ELi1ELb0EEvPKT_PKfPKiPfiiiiiiiiiiiiiiii.num_vgpr, 102
	.set _ZL9mul_mat_fIfLi64ELi3ELi1ELb0EEvPKT_PKfPKiPfiiiiiiiiiiiiiiii.num_agpr, 16
	.set _ZL9mul_mat_fIfLi64ELi3ELi1ELb0EEvPKT_PKfPKiPfiiiiiiiiiiiiiiii.numbered_sgpr, 81
	.set _ZL9mul_mat_fIfLi64ELi3ELi1ELb0EEvPKT_PKfPKiPfiiiiiiiiiiiiiiii.num_named_barrier, 0
	.set _ZL9mul_mat_fIfLi64ELi3ELi1ELb0EEvPKT_PKfPKiPfiiiiiiiiiiiiiiii.private_seg_size, 0
	.set _ZL9mul_mat_fIfLi64ELi3ELi1ELb0EEvPKT_PKfPKiPfiiiiiiiiiiiiiiii.uses_vcc, 1
	.set _ZL9mul_mat_fIfLi64ELi3ELi1ELb0EEvPKT_PKfPKiPfiiiiiiiiiiiiiiii.uses_flat_scratch, 0
	.set _ZL9mul_mat_fIfLi64ELi3ELi1ELb0EEvPKT_PKfPKiPfiiiiiiiiiiiiiiii.has_dyn_sized_stack, 0
	.set _ZL9mul_mat_fIfLi64ELi3ELi1ELb0EEvPKT_PKfPKiPfiiiiiiiiiiiiiiii.has_recursion, 0
	.set _ZL9mul_mat_fIfLi64ELi3ELi1ELb0EEvPKT_PKfPKiPfiiiiiiiiiiiiiiii.has_indirect_call, 0
	.section	.AMDGPU.csdata,"",@progbits
; Kernel info:
; codeLenInByte = 5040
; TotalNumSgprs: 87
; NumVgprs: 102
; NumAgprs: 16
; TotalNumVgprs: 120
; ScratchSize: 0
; MemoryBound: 0
; FloatMode: 240
; IeeeMode: 1
; LDSByteSize: 0 bytes/workgroup (compile time only)
; SGPRBlocks: 10
; VGPRBlocks: 14
; NumSGPRsForWavesPerEU: 87
; NumVGPRsForWavesPerEU: 120
; AccumOffset: 104
; Occupancy: 4
; WaveLimiterHint : 0
; COMPUTE_PGM_RSRC2:SCRATCH_EN: 0
; COMPUTE_PGM_RSRC2:USER_SGPR: 2
; COMPUTE_PGM_RSRC2:TRAP_HANDLER: 0
; COMPUTE_PGM_RSRC2:TGID_X_EN: 1
; COMPUTE_PGM_RSRC2:TGID_Y_EN: 1
; COMPUTE_PGM_RSRC2:TGID_Z_EN: 1
; COMPUTE_PGM_RSRC2:TIDIG_COMP_CNT: 1
; COMPUTE_PGM_RSRC3_GFX90A:ACCUM_OFFSET: 25
; COMPUTE_PGM_RSRC3_GFX90A:TG_SPLIT: 0
	.section	.text._ZL13mul_mat_f_idsIfLi64ELi3ELi2EEvPKT_PKfPKiS6_S6_Pfiiiiiiiiiiiiii15HIP_vector_typeIjLj3EES9_,"axG",@progbits,_ZL13mul_mat_f_idsIfLi64ELi3ELi2EEvPKT_PKfPKiS6_S6_Pfiiiiiiiiiiiiii15HIP_vector_typeIjLj3EES9_,comdat
	.globl	_ZL13mul_mat_f_idsIfLi64ELi3ELi2EEvPKT_PKfPKiS6_S6_Pfiiiiiiiiiiiiii15HIP_vector_typeIjLj3EES9_ ; -- Begin function _ZL13mul_mat_f_idsIfLi64ELi3ELi2EEvPKT_PKfPKiS6_S6_Pfiiiiiiiiiiiiii15HIP_vector_typeIjLj3EES9_
	.p2align	8
	.type	_ZL13mul_mat_f_idsIfLi64ELi3ELi2EEvPKT_PKfPKiS6_S6_Pfiiiiiiiiiiiiii15HIP_vector_typeIjLj3EES9_,@function
_ZL13mul_mat_f_idsIfLi64ELi3ELi2EEvPKT_PKfPKiS6_S6_Pfiiiiiiiiiiiiii15HIP_vector_typeIjLj3EES9_: ; @_ZL13mul_mat_f_idsIfLi64ELi3ELi2EEvPKT_PKfPKiS6_S6_Pfiiiiiiiiiiiiii15HIP_vector_typeIjLj3EES9_
; %bb.0:
	s_load_dwordx2 s[6:7], s[0:1], 0x20
	s_mov_b32 s34, s3
	s_ashr_i32 s35, s3, 31
	s_lshl_b64 s[8:9], s[34:35], 2
	s_waitcnt lgkmcnt(0)
	s_add_u32 s6, s6, s8
	s_addc_u32 s7, s7, s9
	s_load_dwordx2 s[26:27], s[6:7], 0x0
	s_waitcnt lgkmcnt(0)
	s_sub_i32 s33, s27, s26
	s_add_i32 s3, s33, 2
	s_mul_hi_i32 s3, s3, 0x55555556
	s_lshr_b32 s5, s3, 31
	s_add_i32 s3, s3, s5
	s_cmp_ge_i32 s4, s3
	s_cbranch_scc1 .LBB78_23
; %bb.1:
	v_bfe_u32 v68, v0, 10, 10
	v_lshlrev_b32_e32 v70, 6, v68
	v_and_b32_e32 v69, 0x3ff, v0
	s_load_dwordx4 s[12:15], s[0:1], 0x30
	s_load_dwordx2 s[20:21], s[0:1], 0x40
	s_load_dwordx4 s[8:11], s[0:1], 0x4c
	s_load_dwordx4 s[16:19], s[0:1], 0x68
	s_load_dwordx2 s[24:25], s[0:1], 0x78
	v_add_u32_e32 v72, v70, v69
	s_ashr_i32 s27, s26, 31
	s_waitcnt lgkmcnt(0)
	v_cmp_le_i32_e32 vcc, s12, v72
	v_and_b32_e32 v71, 15, v69
	s_and_saveexec_b64 s[6:7], vcc
	s_xor_b64 s[6:7], exec, s[6:7]
; %bb.2:
	v_and_b32_e32 v71, 15, v69
                                        ; implicit-def: $vgpr72
; %bb.3:
	s_or_saveexec_b64 s[30:31], s[6:7]
	s_load_dwordx2 s[28:29], s[0:1], 0x18
	s_load_dwordx2 s[6:7], s[0:1], 0x28
                                        ; implicit-def: $vgpr84 : SGPR spill to VGPR lane
	s_lshl_b32 s11, s2, 6
	s_mul_i32 s2, s4, 3
	v_mov_b32_e32 v1, 0
	v_accvgpr_write_b32 a0, 0
	s_waitcnt lgkmcnt(0)
	v_writelane_b32 v84, s6, 0
	v_accvgpr_write_b32 a1, 0
	v_accvgpr_write_b32 a2, 0
	;; [unrolled: 1-line block ×15, first 2 shown]
	v_writelane_b32 v84, s7, 1
	s_xor_b64 exec, exec, s[30:31]
	s_cbranch_execz .LBB78_16
; %bb.4:
	s_load_dwordx4 s[4:7], s[0:1], 0x0
	s_load_dwordx2 s[22:23], s[0:1], 0x10
	s_mul_i32 s0, s8, s34
	s_ashr_i32 s1, s0, 31
	v_writelane_b32 v84, s24, 2
	s_lshl_b64 s[44:45], s[0:1], 2
	s_waitcnt lgkmcnt(0)
	s_add_u32 s0, s4, s44
	v_writelane_b32 v84, s25, 3
	s_mul_i32 s24, s15, s11
	s_addc_u32 s1, s5, s45
	s_ashr_i32 s25, s24, 31
	s_lshl_b64 s[46:47], s[24:25], 2
	s_add_u32 s0, s0, s46
	s_addc_u32 s1, s1, s47
	s_lshl_b64 s[24:25], s[26:27], 2
	s_add_u32 s8, s22, s24
	s_addc_u32 s24, s23, s25
	s_movk_i32 s3, 0x1080
	s_cmp_lt_i32 s2, s33
	v_mad_u32_u24 v0, v68, s3, 0
	s_cselect_b64 s[34:35], -1, 0
	s_ashr_i32 s3, s2, 31
	s_lshl_b64 s[22:23], s[2:3], 2
	s_add_u32 s36, s8, s22
	s_addc_u32 s37, s24, s23
	s_add_i32 s3, s2, 1
	s_cmp_lt_i32 s3, s33
	s_cselect_b64 s[38:39], -1, 0
	s_add_i32 s3, s2, 2
	s_cmp_lt_i32 s3, s33
	s_cselect_b64 s[40:41], -1, 0
	s_ashr_i32 s23, s15, 31
	s_mov_b32 s22, s15
	v_lshrrev_b32_e32 v4, 1, v69
	s_add_i32 s3, s15, s15
	s_lshl_b32 s48, s15, 2
	s_lshl_b32 s52, s15, 3
	;; [unrolled: 1-line block ×4, first 2 shown]
	s_lshl_b64 s[42:43], s[22:23], 2
	v_lshlrev_b32_e32 v2, 2, v69
	v_mul_u32_u24_e32 v3, 0x108, v71
	v_and_b32_e32 v4, 0x1f8, v4
	s_add_u32 s22, s44, s46
	v_add_u32_e32 v73, v0, v2
	v_add3_u32 v74, v0, v3, v4
	s_addc_u32 s23, s45, s47
	v_lshlrev_b32_e32 v0, 8, v68
	v_lshl_add_u64 v[4:5], s[22:23], 0, v[0:1]
	v_mov_b32_e32 v3, v1
	v_lshl_add_u64 v[2:3], v[4:5], 0, v[2:3]
	s_mul_i32 s8, s15, 3
	s_mul_i32 s49, s15, 5
	;; [unrolled: 1-line block ×43, first 2 shown]
	v_accvgpr_write_b32 a15, 0
	v_accvgpr_write_b32 a14, 0
	;; [unrolled: 1-line block ×16, first 2 shown]
	v_lshl_add_u64 v[2:3], s[4:5], 0, v[2:3]
	s_mul_i32 s90, s15, 50
	s_mul_i32 s91, s15, 51
	;; [unrolled: 1-line block ×14, first 2 shown]
	s_mov_b64 s[4:5], 0
	s_branch .LBB78_6
.LBB78_5:                               ;   in Loop: Header=BB78_6 Depth=1
	s_waitcnt vmcnt(0)
	ds_write2_b32 v73, v0, v76 offset1:66
	ds_write2_b32 v73, v75, v1 offset0:132 offset1:198
	v_add_u32_e32 v0, 0x400, v73
	ds_write2_b32 v0, v1, v1 offset0:8 offset1:74
	ds_write2_b32 v0, v1, v1 offset0:140 offset1:206
	v_add_u32_e32 v0, 0x800, v73
	ds_write2_b32 v0, v1, v1 offset0:16 offset1:82
	;; [unrolled: 3-line block ×3, first 2 shown]
	ds_write2_b32 v0, v1, v1 offset0:156 offset1:222
	ds_read2_b64 v[76:79], v74 offset1:4
	v_add_u32_e32 v72, 0x80, v72
	s_waitcnt lgkmcnt(0)
	v_mfma_f32_16x16x4_f32 a[12:15], v10, v76, a[12:15]
	s_mov_b64 vcc, 0x200
	v_lshl_add_u64 v[2:3], v[2:3], 0, vcc
	v_cmp_le_i32_e32 vcc, s12, v72
	s_or_b64 s[4:5], vcc, s[4:5]
	v_mfma_f32_16x16x4_f32 a[8:11], v44, v76, a[8:11]
	v_mfma_f32_16x16x4_f32 a[4:7], v54, v76, a[4:7]
	;; [unrolled: 1-line block ×12, first 2 shown]
	ds_read2_b64 v[8:11], v74 offset0:8 offset1:12
	v_mfma_f32_16x16x4_f32 a[8:11], v41, v79, a[8:11]
	v_mfma_f32_16x16x4_f32 a[4:7], v51, v79, a[4:7]
	;; [unrolled: 1-line block ×3, first 2 shown]
	s_waitcnt lgkmcnt(0)
	v_mfma_f32_16x16x4_f32 a[12:15], v6, v8, a[12:15]
	v_mfma_f32_16x16x4_f32 a[8:11], v36, v8, a[8:11]
	;; [unrolled: 1-line block ×13, first 2 shown]
	ds_read2_b64 v[4:7], v74 offset0:16 offset1:20
	v_mfma_f32_16x16x4_f32 a[8:11], v33, v11, a[8:11]
	v_mfma_f32_16x16x4_f32 a[4:7], v43, v11, a[4:7]
	v_mfma_f32_16x16x4_f32 a[0:3], v61, v11, a[0:3]
	s_waitcnt lgkmcnt(0)
	v_mfma_f32_16x16x4_f32 a[12:15], v20, v4, a[12:15]
	v_mfma_f32_16x16x4_f32 a[8:11], v28, v4, a[8:11]
	;; [unrolled: 1-line block ×16, first 2 shown]
	ds_read2_b64 v[4:7], v74 offset0:24 offset1:28
	s_waitcnt lgkmcnt(0)
	v_mfma_f32_16x16x4_f32 a[12:15], v14, v4, a[12:15]
	v_mfma_f32_16x16x4_f32 a[8:11], v22, v4, a[8:11]
	;; [unrolled: 1-line block ×16, first 2 shown]
	s_andn2_b64 exec, exec, s[4:5]
	s_cbranch_execz .LBB78_15
.LBB78_6:                               ; =>This Inner Loop Header: Depth=1
	v_lshl_add_u64 v[4:5], v[2:3], 0, s[42:43]
	global_load_dword v0, v[2:3], off
	global_load_dword v20, v[4:5], off
	v_add_u32_e32 v4, s3, v72
	v_add_u32_e32 v8, s48, v72
	v_add_u32_e32 v10, s49, v72
	v_add_u32_e32 v16, s52, v72
	v_ashrrev_i32_e32 v5, 31, v4
	v_add_u32_e32 v6, s8, v72
	v_ashrrev_i32_e32 v9, 31, v8
	v_ashrrev_i32_e32 v11, 31, v10
	v_add_u32_e32 v12, s50, v72
	v_add_u32_e32 v14, s51, v72
	v_ashrrev_i32_e32 v17, 31, v16
	v_add_u32_e32 v18, s53, v72
	v_lshl_add_u64 v[4:5], v[4:5], 2, s[0:1]
	v_ashrrev_i32_e32 v7, 31, v6
	v_lshl_add_u64 v[8:9], v[8:9], 2, s[0:1]
	v_lshl_add_u64 v[10:11], v[10:11], 2, s[0:1]
	v_ashrrev_i32_e32 v13, 31, v12
	v_ashrrev_i32_e32 v15, 31, v14
	v_lshl_add_u64 v[16:17], v[16:17], 2, s[0:1]
	v_ashrrev_i32_e32 v19, 31, v18
	v_lshl_add_u64 v[6:7], v[6:7], 2, s[0:1]
	v_lshl_add_u64 v[12:13], v[12:13], 2, s[0:1]
	;; [unrolled: 1-line block ×4, first 2 shown]
	global_load_dword v21, v[4:5], off
	global_load_dword v22, v[6:7], off
	;; [unrolled: 1-line block ×6, first 2 shown]
	s_nop 0
	global_load_dword v16, v[16:17], off
	s_nop 0
	global_load_dword v17, v[18:19], off
	v_add_u32_e32 v4, s54, v72
	v_add_u32_e32 v8, s56, v72
	;; [unrolled: 1-line block ×3, first 2 shown]
	v_ashrrev_i32_e32 v5, 31, v4
	v_add_u32_e32 v6, s55, v72
	v_ashrrev_i32_e32 v9, 31, v8
	v_ashrrev_i32_e32 v11, 31, v10
	v_add_u32_e32 v12, s58, v72
	v_add_u32_e32 v14, s59, v72
	v_lshl_add_u64 v[4:5], v[4:5], 2, s[0:1]
	v_ashrrev_i32_e32 v7, 31, v6
	v_lshl_add_u64 v[8:9], v[8:9], 2, s[0:1]
	v_lshl_add_u64 v[10:11], v[10:11], 2, s[0:1]
	v_ashrrev_i32_e32 v13, 31, v12
	v_ashrrev_i32_e32 v15, 31, v14
	v_lshl_add_u64 v[6:7], v[6:7], 2, s[0:1]
	v_lshl_add_u64 v[12:13], v[12:13], 2, s[0:1]
	v_lshl_add_u64 v[14:15], v[14:15], 2, s[0:1]
	global_load_dword v18, v[4:5], off
	global_load_dword v19, v[6:7], off
	s_nop 0
	global_load_dword v8, v[8:9], off
	s_nop 0
	;; [unrolled: 2-line block ×3, first 2 shown]
	global_load_dword v10, v[12:13], off
	global_load_dword v11, v[14:15], off
	v_add_u32_e32 v4, s60, v72
	v_add_u32_e32 v6, s61, v72
	v_ashrrev_i32_e32 v5, 31, v4
	v_ashrrev_i32_e32 v7, 31, v6
	v_lshl_add_u64 v[4:5], v[4:5], 2, s[0:1]
	v_add_u32_e32 v12, s62, v72
	v_lshl_add_u64 v[6:7], v[6:7], 2, s[0:1]
	global_load_dword v28, v[4:5], off
	global_load_dword v29, v[6:7], off
	v_ashrrev_i32_e32 v13, 31, v12
	v_add_u32_e32 v14, s63, v72
	v_lshl_add_u64 v[12:13], v[12:13], 2, s[0:1]
	v_ashrrev_i32_e32 v15, 31, v14
	v_lshl_add_u64 v[14:15], v[14:15], 2, s[0:1]
	s_andn2_b64 vcc, exec, s[34:35]
	s_waitcnt vmcnt(17)
	ds_write_b32 v73, v0
	s_waitcnt vmcnt(16)
	ds_write_b32 v73, v20 offset:264
	s_waitcnt vmcnt(15)
	ds_write_b32 v73, v21 offset:528
	;; [unrolled: 2-line block ×15, first 2 shown]
	v_add_u32_e32 v16, s64, v72
	v_add_u32_e32 v18, s65, v72
	;; [unrolled: 1-line block ×6, first 2 shown]
	v_ashrrev_i32_e32 v17, 31, v16
	v_ashrrev_i32_e32 v19, 31, v18
	;; [unrolled: 1-line block ×6, first 2 shown]
	ds_read_b64 v[10:11], v74
	ds_read_b64 v[8:9], v74 offset:32
	ds_read_b64 v[6:7], v74 offset:64
	;; [unrolled: 1-line block ×3, first 2 shown]
	v_lshl_add_u64 v[16:17], v[16:17], 2, s[0:1]
	v_lshl_add_u64 v[18:19], v[18:19], 2, s[0:1]
	v_lshl_add_u64 v[20:21], v[20:21], 2, s[0:1]
	v_lshl_add_u64 v[22:23], v[22:23], 2, s[0:1]
	v_lshl_add_u64 v[24:25], v[24:25], 2, s[0:1]
	v_lshl_add_u64 v[26:27], v[26:27], 2, s[0:1]
	global_load_dword v0, v[12:13], off
	global_load_dword v30, v[14:15], off
	global_load_dword v31, v[16:17], off
	global_load_dword v32, v[18:19], off
	global_load_dword v33, v[20:21], off
	global_load_dword v34, v[22:23], off
	global_load_dword v35, v[24:25], off
	global_load_dword v36, v[26:27], off
	v_add_u32_e32 v12, s70, v72
	v_ashrrev_i32_e32 v13, 31, v12
	v_add_u32_e32 v14, s71, v72
	v_add_u32_e32 v16, s72, v72
	v_add_u32_e32 v18, s73, v72
	v_add_u32_e32 v20, s74, v72
	v_add_u32_e32 v22, s75, v72
	v_add_u32_e32 v24, s76, v72
	v_add_u32_e32 v26, s77, v72
	v_lshl_add_u64 v[12:13], v[12:13], 2, s[0:1]
	v_ashrrev_i32_e32 v15, 31, v14
	v_ashrrev_i32_e32 v17, 31, v16
	v_ashrrev_i32_e32 v19, 31, v18
	v_ashrrev_i32_e32 v21, 31, v20
	v_ashrrev_i32_e32 v23, 31, v22
	v_ashrrev_i32_e32 v25, 31, v24
	v_ashrrev_i32_e32 v27, 31, v26
	v_lshl_add_u64 v[14:15], v[14:15], 2, s[0:1]
	v_lshl_add_u64 v[16:17], v[16:17], 2, s[0:1]
	v_lshl_add_u64 v[18:19], v[18:19], 2, s[0:1]
	v_lshl_add_u64 v[20:21], v[20:21], 2, s[0:1]
	v_lshl_add_u64 v[22:23], v[22:23], 2, s[0:1]
	v_lshl_add_u64 v[24:25], v[24:25], 2, s[0:1]
	v_lshl_add_u64 v[26:27], v[26:27], 2, s[0:1]
	global_load_dword v37, v[12:13], off
	global_load_dword v38, v[14:15], off
	global_load_dword v39, v[16:17], off
	global_load_dword v40, v[18:19], off
	global_load_dword v41, v[20:21], off
	global_load_dword v42, v[22:23], off
	global_load_dword v43, v[24:25], off
	global_load_dword v46, v[26:27], off
	v_add_u32_e32 v12, s78, v72
	v_ashrrev_i32_e32 v13, 31, v12
	v_add_u32_e32 v14, s79, v72
	v_add_u32_e32 v16, s80, v72
	v_add_u32_e32 v18, s81, v72
	v_add_u32_e32 v20, s82, v72
	v_add_u32_e32 v22, s83, v72
	v_add_u32_e32 v24, s84, v72
	v_add_u32_e32 v26, s85, v72
	v_lshl_add_u64 v[12:13], v[12:13], 2, s[0:1]
	v_ashrrev_i32_e32 v15, 31, v14
	v_ashrrev_i32_e32 v17, 31, v16
	v_ashrrev_i32_e32 v19, 31, v18
	v_ashrrev_i32_e32 v21, 31, v20
	v_ashrrev_i32_e32 v23, 31, v22
	v_ashrrev_i32_e32 v25, 31, v24
	v_ashrrev_i32_e32 v27, 31, v26
	v_lshl_add_u64 v[14:15], v[14:15], 2, s[0:1]
	v_lshl_add_u64 v[16:17], v[16:17], 2, s[0:1]
	v_lshl_add_u64 v[18:19], v[18:19], 2, s[0:1]
	v_lshl_add_u64 v[20:21], v[20:21], 2, s[0:1]
	v_lshl_add_u64 v[22:23], v[22:23], 2, s[0:1]
	v_lshl_add_u64 v[24:25], v[24:25], 2, s[0:1]
	v_lshl_add_u64 v[26:27], v[26:27], 2, s[0:1]
	global_load_dword v47, v[12:13], off
	global_load_dword v48, v[14:15], off
	global_load_dword v49, v[16:17], off
	global_load_dword v50, v[18:19], off
	global_load_dword v51, v[20:21], off
	global_load_dword v52, v[22:23], off
	global_load_dword v53, v[24:25], off
	global_load_dword v54, v[26:27], off
	v_add_u32_e32 v12, s44, v72
	v_ashrrev_i32_e32 v13, 31, v12
	v_add_u32_e32 v14, s45, v72
	v_add_u32_e32 v16, s46, v72
	v_add_u32_e32 v18, s47, v72
	v_add_u32_e32 v20, s86, v72
	v_add_u32_e32 v22, s87, v72
	v_add_u32_e32 v24, s88, v72
	v_add_u32_e32 v26, s89, v72
	v_lshl_add_u64 v[12:13], v[12:13], 2, s[0:1]
	v_ashrrev_i32_e32 v15, 31, v14
	v_ashrrev_i32_e32 v17, 31, v16
	v_ashrrev_i32_e32 v19, 31, v18
	v_ashrrev_i32_e32 v21, 31, v20
	v_ashrrev_i32_e32 v23, 31, v22
	v_ashrrev_i32_e32 v25, 31, v24
	v_ashrrev_i32_e32 v27, 31, v26
	v_lshl_add_u64 v[14:15], v[14:15], 2, s[0:1]
	v_lshl_add_u64 v[16:17], v[16:17], 2, s[0:1]
	v_lshl_add_u64 v[18:19], v[18:19], 2, s[0:1]
	v_lshl_add_u64 v[20:21], v[20:21], 2, s[0:1]
	v_lshl_add_u64 v[22:23], v[22:23], 2, s[0:1]
	v_lshl_add_u64 v[24:25], v[24:25], 2, s[0:1]
	v_lshl_add_u64 v[26:27], v[26:27], 2, s[0:1]
	global_load_dword v55, v[12:13], off
	global_load_dword v56, v[14:15], off
	global_load_dword v57, v[16:17], off
	global_load_dword v58, v[18:19], off
	global_load_dword v59, v[20:21], off
	global_load_dword v60, v[22:23], off
	global_load_dword v61, v[24:25], off
	global_load_dword v62, v[26:27], off
	v_add_u32_e32 v12, s90, v72
	v_ashrrev_i32_e32 v13, 31, v12
	v_add_u32_e32 v14, s91, v72
	v_add_u32_e32 v16, s92, v72
	v_add_u32_e32 v18, s93, v72
	v_add_u32_e32 v20, s94, v72
	v_add_u32_e32 v22, s95, v72
	v_add_u32_e32 v24, s96, v72
	v_add_u32_e32 v26, s97, v72
	v_lshl_add_u64 v[12:13], v[12:13], 2, s[0:1]
	v_ashrrev_i32_e32 v15, 31, v14
	v_ashrrev_i32_e32 v17, 31, v16
	v_ashrrev_i32_e32 v19, 31, v18
	v_ashrrev_i32_e32 v21, 31, v20
	v_ashrrev_i32_e32 v23, 31, v22
	v_ashrrev_i32_e32 v25, 31, v24
	v_ashrrev_i32_e32 v27, 31, v26
	v_lshl_add_u64 v[14:15], v[14:15], 2, s[0:1]
	v_lshl_add_u64 v[16:17], v[16:17], 2, s[0:1]
	v_lshl_add_u64 v[18:19], v[18:19], 2, s[0:1]
	;; [unrolled: 1-line block ×6, first 2 shown]
	global_load_dword v63, v[12:13], off
	global_load_dword v64, v[14:15], off
	;; [unrolled: 1-line block ×8, first 2 shown]
	v_add_u32_e32 v12, s98, v72
	v_ashrrev_i32_e32 v13, 31, v12
	v_add_u32_e32 v14, s99, v72
	v_add_u32_e32 v16, s24, v72
	;; [unrolled: 1-line block ×5, first 2 shown]
	v_lshl_add_u64 v[12:13], v[12:13], 2, s[0:1]
	v_ashrrev_i32_e32 v15, 31, v14
	v_ashrrev_i32_e32 v17, 31, v16
	;; [unrolled: 1-line block ×5, first 2 shown]
	v_lshl_add_u64 v[14:15], v[14:15], 2, s[0:1]
	v_lshl_add_u64 v[16:17], v[16:17], 2, s[0:1]
	;; [unrolled: 1-line block ×5, first 2 shown]
	global_load_dword v78, v[12:13], off
	global_load_dword v79, v[14:15], off
	;; [unrolled: 1-line block ×6, first 2 shown]
	ds_read_b64 v[20:21], v74 offset:128
	ds_read_b64 v[16:17], v74 offset:160
	ds_read_b64 v[14:15], v74 offset:192
	ds_read_b64 v[12:13], v74 offset:224
	s_waitcnt vmcnt(47)
	ds_write_b32 v73, v28
	s_waitcnt vmcnt(46)
	ds_write_b32 v73, v29 offset:264
	s_waitcnt vmcnt(45)
	ds_write_b32 v73, v0 offset:528
	s_waitcnt vmcnt(44)
	ds_write_b32 v73, v30 offset:792
	s_waitcnt vmcnt(43)
	ds_write_b32 v73, v31 offset:1056
	s_waitcnt vmcnt(42)
	ds_write_b32 v73, v32 offset:1320
	s_waitcnt vmcnt(41)
	ds_write_b32 v73, v33 offset:1584
	s_waitcnt vmcnt(40)
	ds_write_b32 v73, v34 offset:1848
	s_waitcnt vmcnt(39)
	ds_write_b32 v73, v35 offset:2112
	s_waitcnt vmcnt(38)
	ds_write_b32 v73, v36 offset:2376
	s_waitcnt vmcnt(37)
	ds_write_b32 v73, v37 offset:2640
	s_waitcnt vmcnt(36)
	ds_write_b32 v73, v38 offset:2904
	s_waitcnt vmcnt(35)
	ds_write_b32 v73, v39 offset:3168
	s_waitcnt vmcnt(34)
	ds_write_b32 v73, v40 offset:3432
	s_waitcnt vmcnt(33)
	ds_write_b32 v73, v41 offset:3696
	s_waitcnt vmcnt(32)
	ds_write_b32 v73, v42 offset:3960
	ds_read_b64 v[44:45], v74
	ds_read_b64 v[40:41], v74 offset:32
	ds_read_b64 v[36:37], v74 offset:64
	ds_read_b64 v[32:33], v74 offset:96
	ds_read_b64 v[28:29], v74 offset:128
	ds_read_b64 v[24:25], v74 offset:160
	ds_read_b64 v[22:23], v74 offset:192
	ds_read_b64 v[18:19], v74 offset:224
	s_waitcnt vmcnt(31)
	ds_write_b32 v73, v43
	s_waitcnt vmcnt(30)
	ds_write_b32 v73, v46 offset:264
	s_waitcnt vmcnt(29)
	ds_write_b32 v73, v47 offset:528
	s_waitcnt vmcnt(28)
	ds_write_b32 v73, v48 offset:792
	s_waitcnt vmcnt(27)
	ds_write_b32 v73, v49 offset:1056
	s_waitcnt vmcnt(26)
	ds_write_b32 v73, v50 offset:1320
	s_waitcnt vmcnt(25)
	ds_write_b32 v73, v51 offset:1584
	s_waitcnt vmcnt(24)
	ds_write_b32 v73, v52 offset:1848
	s_waitcnt vmcnt(23)
	ds_write_b32 v73, v53 offset:2112
	s_waitcnt vmcnt(22)
	ds_write_b32 v73, v54 offset:2376
	s_waitcnt vmcnt(21)
	ds_write_b32 v73, v55 offset:2640
	s_waitcnt vmcnt(20)
	ds_write_b32 v73, v56 offset:2904
	s_waitcnt vmcnt(19)
	ds_write_b32 v73, v57 offset:3168
	s_waitcnt vmcnt(18)
	ds_write_b32 v73, v58 offset:3432
	s_waitcnt vmcnt(17)
	ds_write_b32 v73, v59 offset:3696
	s_waitcnt vmcnt(16)
	ds_write_b32 v73, v60 offset:3960
	ds_read_b64 v[54:55], v74
	ds_read_b64 v[50:51], v74 offset:32
	ds_read_b64 v[48:49], v74 offset:64
	ds_read_b64 v[42:43], v74 offset:96
	;; [unrolled: 40-line block ×3, first 2 shown]
	ds_read_b64 v[58:59], v74 offset:128
	ds_read_b64 v[56:57], v74 offset:160
	;; [unrolled: 1-line block ×4, first 2 shown]
	v_mov_b32_e32 v0, 0
	s_cbranch_vccnz .LBB78_9
; %bb.7:                                ;   in Loop: Header=BB78_6 Depth=1
	s_load_dword s23, s[36:37], 0x0
	v_mov_b32_e32 v0, 0
	s_waitcnt lgkmcnt(0)
	s_mul_hi_u32 vcc_lo, s23, s16
	s_add_i32 vcc_lo, s23, vcc_lo
	s_lshr_b32 vcc_lo, vcc_lo, s17
	s_cmp_ge_i32 vcc_lo, s13
	s_cbranch_scc1 .LBB78_9
; %bb.8:                                ;   in Loop: Header=BB78_6 Depth=1
	s_mul_i32 vcc_hi, vcc_lo, s18
	s_sub_i32 s23, s23, vcc_hi
	s_mul_i32 s23, s23, s9
	s_mul_i32 vcc_lo, vcc_lo, s20
	s_add_i32 vcc_lo, vcc_lo, s23
	v_add_u32_e32 v76, vcc_lo, v72
	v_ashrrev_i32_e32 v77, 31, v76
	v_lshl_add_u64 v[76:77], v[76:77], 2, s[6:7]
	global_load_dword v0, v[76:77], off
.LBB78_9:                               ;   in Loop: Header=BB78_6 Depth=1
	v_mov_b32_e32 v75, 0
	s_andn2_b64 vcc, exec, s[38:39]
	v_mov_b32_e32 v76, 0
	s_cbranch_vccnz .LBB78_12
; %bb.10:                               ;   in Loop: Header=BB78_6 Depth=1
	s_load_dword s23, s[36:37], 0x4
	v_mov_b32_e32 v76, 0
	s_waitcnt lgkmcnt(0)
	s_mul_hi_u32 vcc_lo, s23, s16
	s_add_i32 vcc_lo, s23, vcc_lo
	s_lshr_b32 vcc_lo, vcc_lo, s17
	s_cmp_ge_i32 vcc_lo, s13
	s_cbranch_scc1 .LBB78_12
; %bb.11:                               ;   in Loop: Header=BB78_6 Depth=1
	s_mul_i32 vcc_hi, vcc_lo, s18
	s_sub_i32 s23, s23, vcc_hi
	s_mul_i32 s23, s23, s9
	s_mul_i32 vcc_lo, vcc_lo, s20
	s_add_i32 vcc_lo, vcc_lo, s23
	v_add_u32_e32 v76, vcc_lo, v72
	v_ashrrev_i32_e32 v77, 31, v76
	v_lshl_add_u64 v[76:77], v[76:77], 2, s[6:7]
	global_load_dword v76, v[76:77], off
.LBB78_12:                              ;   in Loop: Header=BB78_6 Depth=1
	s_andn2_b64 vcc, exec, s[40:41]
	s_cbranch_vccnz .LBB78_5
; %bb.13:                               ;   in Loop: Header=BB78_6 Depth=1
	s_load_dword s23, s[36:37], 0x8
	v_mov_b32_e32 v75, 0
	s_waitcnt lgkmcnt(0)
	s_mul_hi_u32 vcc_lo, s23, s16
	s_add_i32 vcc_lo, s23, vcc_lo
	s_lshr_b32 vcc_lo, vcc_lo, s17
	s_cmp_ge_i32 vcc_lo, s13
	s_cbranch_scc1 .LBB78_5
; %bb.14:                               ;   in Loop: Header=BB78_6 Depth=1
	s_mul_i32 vcc_hi, vcc_lo, s18
	s_sub_i32 s23, s23, vcc_hi
	s_mul_i32 s23, s23, s9
	s_mul_i32 vcc_lo, vcc_lo, s20
	s_add_i32 vcc_lo, vcc_lo, s23
	v_add_u32_e32 v78, vcc_lo, v72
	v_ashrrev_i32_e32 v79, 31, v78
	v_lshl_add_u64 v[78:79], v[78:79], 2, s[6:7]
	global_load_dword v75, v[78:79], off
	s_branch .LBB78_5
.LBB78_15:
	s_or_b64 exec, exec, s[4:5]
	v_readlane_b32 s24, v84, 2
	v_readlane_b32 s25, v84, 3
.LBB78_16:
	s_or_b64 exec, exec, s[30:31]
	v_lshl_add_u32 v0, v70, 2, 0
	v_mul_u32_u24_e32 v1, 0x208, v71
	v_and_b32_e32 v2, 0x3f0, v69
	v_add3_u32 v0, v0, v1, v2
	v_accvgpr_read_b32 v1, a13
	v_accvgpr_read_b32 v2, a12
	s_barrier
	ds_write2_b32 v0, v2, v1 offset1:1
	v_accvgpr_read_b32 v1, a15
	v_accvgpr_read_b32 v2, a14
	ds_write2_b32 v0, v2, v1 offset0:2 offset1:3
	v_accvgpr_read_b32 v1, a9
	v_accvgpr_read_b32 v2, a8
	ds_write2_b32 v0, v2, v1 offset0:16 offset1:17
	;; [unrolled: 3-line block ×3, first 2 shown]
	v_accvgpr_read_b32 v1, a5
	v_accvgpr_read_b32 v2, a4
	s_lshl_b64 s[0:1], s[26:27], 2
	ds_write2_b32 v0, v2, v1 offset0:32 offset1:33
	v_accvgpr_read_b32 v1, a7
	v_accvgpr_read_b32 v2, a6
	s_add_u32 s4, s28, s0
	ds_write2_b32 v0, v2, v1 offset0:34 offset1:35
	v_accvgpr_read_b32 v1, a1
	v_accvgpr_read_b32 v2, a0
	s_addc_u32 s5, s29, s1
	ds_write2_b32 v0, v2, v1 offset0:48 offset1:49
	v_accvgpr_read_b32 v1, a3
	v_accvgpr_read_b32 v2, a2
	ds_write2_b32 v0, v2, v1 offset0:50 offset1:51
	s_cmp_gt_i32 s14, 0
	v_add_u32_e32 v0, s2, v68
	s_cselect_b64 s[6:7], -1, 0
	v_cmp_gt_i32_e64 s[0:1], s33, v0
	v_cmp_gt_u32_e32 vcc, 3, v68
	s_and_b64 s[0:1], s[6:7], s[0:1]
	v_lshl_add_u32 v3, v69, 2, 0
	v_add_u32_e32 v2, s11, v69
	s_and_b64 s[8:9], vcc, s[0:1]
	s_waitcnt lgkmcnt(0)
	s_barrier
	s_and_saveexec_b64 s[0:1], s[8:9]
	s_cbranch_execz .LBB78_19
; %bb.17:
	v_ashrrev_i32_e32 v1, 31, v0
	v_lshl_add_u64 v[0:1], v[0:1], 2, s[4:5]
	global_load_dword v0, v[0:1], off
	s_waitcnt vmcnt(0)
	v_mul_hi_u32 v1, v0, s19
	v_add_u32_e32 v1, v0, v1
	v_lshrrev_b32_e32 v1, s24, v1
	v_cmp_gt_i32_e32 vcc, s13, v1
	s_and_b64 exec, exec, vcc
	s_cbranch_execz .LBB78_19
; %bb.18:
	s_movk_i32 s3, 0x208
	v_mad_u32_u24 v4, v68, s3, v3
	ds_read2st64_b32 v[4:5], v4 offset1:1
	v_mul_lo_u32 v6, v1, s25
	v_sub_u32_e32 v0, v0, v6
	v_mul_lo_u32 v1, v1, s21
	v_mul_lo_u32 v0, v0, s10
	v_readlane_b32 s8, v84, 0
	s_waitcnt lgkmcnt(0)
	v_add_f32_e32 v4, 0, v4
	v_add3_u32 v0, v2, v1, v0
	v_mov_b32_e32 v1, 0
	v_readlane_b32 s9, v84, 1
	v_add_f32_e32 v4, v4, v5
	s_nop 0
	v_lshl_add_u64 v[0:1], v[0:1], 2, s[8:9]
	global_store_dword v[0:1], v4, off
.LBB78_19:
	s_or_b64 exec, exec, s[0:1]
	v_cmp_eq_u32_e32 vcc, 0, v68
	s_and_saveexec_b64 s[0:1], vcc
	s_cbranch_execz .LBB78_23
; %bb.20:
	s_add_i32 s0, s2, 2
	s_cmp_ge_i32 s0, s33
	s_cselect_b64 s[0:1], -1, 0
	s_xor_b64 s[6:7], s[6:7], -1
	s_or_b64 s[0:1], s[6:7], s[0:1]
	s_and_b64 vcc, exec, s[0:1]
	s_cbranch_vccnz .LBB78_23
; %bb.21:
	s_ashr_i32 s3, s2, 31
	s_lshl_b64 s[0:1], s[2:3], 2
	s_add_u32 s0, s4, s0
	s_addc_u32 s1, s5, s1
	s_load_dword s0, s[0:1], 0x8
	s_waitcnt lgkmcnt(0)
	s_mul_hi_u32 s1, s0, s19
	s_add_i32 s1, s0, s1
	s_lshr_b32 s1, s1, s24
	s_cmp_ge_i32 s1, s13
	s_cbranch_scc1 .LBB78_23
; %bb.22:
	v_add_u32_e32 v0, 16, v3
	ds_read2st64_b32 v[0:1], v0 offset0:4 offset1:5
	s_mul_i32 s2, s1, s25
	s_sub_i32 s0, s0, s2
	s_mul_i32 s1, s1, s21
	s_mul_i32 s0, s0, s10
	s_waitcnt lgkmcnt(0)
	v_add_f32_e32 v0, 0, v0
	s_add_i32 s0, s0, s1
	v_add_f32_e32 v3, v0, v1
	v_add_u32_e32 v0, s0, v2
	v_readlane_b32 s0, v84, 0
	v_mov_b32_e32 v1, 0
	v_readlane_b32 s1, v84, 1
	s_nop 1
	v_lshl_add_u64 v[0:1], v[0:1], 2, s[0:1]
	global_store_dword v[0:1], v3, off
.LBB78_23:
	s_endpgm
	.section	.rodata,"a",@progbits
	.p2align	6, 0x0
	.amdhsa_kernel _ZL13mul_mat_f_idsIfLi64ELi3ELi2EEvPKT_PKfPKiS6_S6_Pfiiiiiiiiiiiiii15HIP_vector_typeIjLj3EES9_
		.amdhsa_group_segment_fixed_size 0
		.amdhsa_private_segment_fixed_size 0
		.amdhsa_kernarg_size 128
		.amdhsa_user_sgpr_count 2
		.amdhsa_user_sgpr_dispatch_ptr 0
		.amdhsa_user_sgpr_queue_ptr 0
		.amdhsa_user_sgpr_kernarg_segment_ptr 1
		.amdhsa_user_sgpr_dispatch_id 0
		.amdhsa_user_sgpr_kernarg_preload_length 0
		.amdhsa_user_sgpr_kernarg_preload_offset 0
		.amdhsa_user_sgpr_private_segment_size 0
		.amdhsa_uses_dynamic_stack 0
		.amdhsa_enable_private_segment 0
		.amdhsa_system_sgpr_workgroup_id_x 1
		.amdhsa_system_sgpr_workgroup_id_y 1
		.amdhsa_system_sgpr_workgroup_id_z 1
		.amdhsa_system_sgpr_workgroup_info 0
		.amdhsa_system_vgpr_workitem_id 1
		.amdhsa_next_free_vgpr 104
		.amdhsa_next_free_sgpr 100
		.amdhsa_accum_offset 88
		.amdhsa_reserve_vcc 1
		.amdhsa_float_round_mode_32 0
		.amdhsa_float_round_mode_16_64 0
		.amdhsa_float_denorm_mode_32 3
		.amdhsa_float_denorm_mode_16_64 3
		.amdhsa_dx10_clamp 1
		.amdhsa_ieee_mode 1
		.amdhsa_fp16_overflow 0
		.amdhsa_tg_split 0
		.amdhsa_exception_fp_ieee_invalid_op 0
		.amdhsa_exception_fp_denorm_src 0
		.amdhsa_exception_fp_ieee_div_zero 0
		.amdhsa_exception_fp_ieee_overflow 0
		.amdhsa_exception_fp_ieee_underflow 0
		.amdhsa_exception_fp_ieee_inexact 0
		.amdhsa_exception_int_div_zero 0
	.end_amdhsa_kernel
	.section	.text._ZL13mul_mat_f_idsIfLi64ELi3ELi2EEvPKT_PKfPKiS6_S6_Pfiiiiiiiiiiiiii15HIP_vector_typeIjLj3EES9_,"axG",@progbits,_ZL13mul_mat_f_idsIfLi64ELi3ELi2EEvPKT_PKfPKiS6_S6_Pfiiiiiiiiiiiiii15HIP_vector_typeIjLj3EES9_,comdat
.Lfunc_end78:
	.size	_ZL13mul_mat_f_idsIfLi64ELi3ELi2EEvPKT_PKfPKiS6_S6_Pfiiiiiiiiiiiiii15HIP_vector_typeIjLj3EES9_, .Lfunc_end78-_ZL13mul_mat_f_idsIfLi64ELi3ELi2EEvPKT_PKfPKiS6_S6_Pfiiiiiiiiiiiiii15HIP_vector_typeIjLj3EES9_
                                        ; -- End function
	.set _ZL13mul_mat_f_idsIfLi64ELi3ELi2EEvPKT_PKfPKiS6_S6_Pfiiiiiiiiiiiiii15HIP_vector_typeIjLj3EES9_.num_vgpr, 85
	.set _ZL13mul_mat_f_idsIfLi64ELi3ELi2EEvPKT_PKfPKiS6_S6_Pfiiiiiiiiiiiiii15HIP_vector_typeIjLj3EES9_.num_agpr, 16
	.set _ZL13mul_mat_f_idsIfLi64ELi3ELi2EEvPKT_PKfPKiS6_S6_Pfiiiiiiiiiiiiii15HIP_vector_typeIjLj3EES9_.numbered_sgpr, 100
	.set _ZL13mul_mat_f_idsIfLi64ELi3ELi2EEvPKT_PKfPKiS6_S6_Pfiiiiiiiiiiiiii15HIP_vector_typeIjLj3EES9_.num_named_barrier, 0
	.set _ZL13mul_mat_f_idsIfLi64ELi3ELi2EEvPKT_PKfPKiS6_S6_Pfiiiiiiiiiiiiii15HIP_vector_typeIjLj3EES9_.private_seg_size, 0
	.set _ZL13mul_mat_f_idsIfLi64ELi3ELi2EEvPKT_PKfPKiS6_S6_Pfiiiiiiiiiiiiii15HIP_vector_typeIjLj3EES9_.uses_vcc, 1
	.set _ZL13mul_mat_f_idsIfLi64ELi3ELi2EEvPKT_PKfPKiS6_S6_Pfiiiiiiiiiiiiii15HIP_vector_typeIjLj3EES9_.uses_flat_scratch, 0
	.set _ZL13mul_mat_f_idsIfLi64ELi3ELi2EEvPKT_PKfPKiS6_S6_Pfiiiiiiiiiiiiii15HIP_vector_typeIjLj3EES9_.has_dyn_sized_stack, 0
	.set _ZL13mul_mat_f_idsIfLi64ELi3ELi2EEvPKT_PKfPKiS6_S6_Pfiiiiiiiiiiiiii15HIP_vector_typeIjLj3EES9_.has_recursion, 0
	.set _ZL13mul_mat_f_idsIfLi64ELi3ELi2EEvPKT_PKfPKiS6_S6_Pfiiiiiiiiiiiiii15HIP_vector_typeIjLj3EES9_.has_indirect_call, 0
	.section	.AMDGPU.csdata,"",@progbits
; Kernel info:
; codeLenInByte = 5172
; TotalNumSgprs: 106
; NumVgprs: 85
; NumAgprs: 16
; TotalNumVgprs: 104
; ScratchSize: 0
; MemoryBound: 0
; FloatMode: 240
; IeeeMode: 1
; LDSByteSize: 0 bytes/workgroup (compile time only)
; SGPRBlocks: 13
; VGPRBlocks: 12
; NumSGPRsForWavesPerEU: 106
; NumVGPRsForWavesPerEU: 104
; AccumOffset: 88
; Occupancy: 4
; WaveLimiterHint : 1
; COMPUTE_PGM_RSRC2:SCRATCH_EN: 0
; COMPUTE_PGM_RSRC2:USER_SGPR: 2
; COMPUTE_PGM_RSRC2:TRAP_HANDLER: 0
; COMPUTE_PGM_RSRC2:TGID_X_EN: 1
; COMPUTE_PGM_RSRC2:TGID_Y_EN: 1
; COMPUTE_PGM_RSRC2:TGID_Z_EN: 1
; COMPUTE_PGM_RSRC2:TIDIG_COMP_CNT: 1
; COMPUTE_PGM_RSRC3_GFX90A:ACCUM_OFFSET: 21
; COMPUTE_PGM_RSRC3_GFX90A:TG_SPLIT: 0
	.section	.text._ZL9mul_mat_fIfLi64ELi3ELi2ELb1EEvPKT_PKfPKiPfiiiiiiiiiiiiiiii,"axG",@progbits,_ZL9mul_mat_fIfLi64ELi3ELi2ELb1EEvPKT_PKfPKiPfiiiiiiiiiiiiiiii,comdat
	.globl	_ZL9mul_mat_fIfLi64ELi3ELi2ELb1EEvPKT_PKfPKiPfiiiiiiiiiiiiiiii ; -- Begin function _ZL9mul_mat_fIfLi64ELi3ELi2ELb1EEvPKT_PKfPKiPfiiiiiiiiiiiiiiii
	.p2align	8
	.type	_ZL9mul_mat_fIfLi64ELi3ELi2ELb1EEvPKT_PKfPKiPfiiiiiiiiiiiiiiii,@function
_ZL9mul_mat_fIfLi64ELi3ELi2ELb1EEvPKT_PKfPKiPfiiiiiiiiiiiiiiii: ; @_ZL9mul_mat_fIfLi64ELi3ELi2ELb1EEvPKT_PKfPKiPfiiiiiiiiiiiiiiii
; %bb.0:
	s_load_dwordx8 s[16:23], s[0:1], 0x20
	s_load_dwordx2 s[8:9], s[0:1], 0x10
	s_waitcnt lgkmcnt(0)
	s_add_i32 s5, s17, 2
	s_mul_hi_i32 s5, s5, 0x55555556
	s_lshr_b32 s6, s5, 31
	s_add_i32 s5, s5, s6
	v_cvt_f32_u32_e32 v1, s5
	s_load_dwordx4 s[24:27], s[0:1], 0x44
	s_load_dword s6, s[0:1], 0x64
	s_add_u32 s34, s0, 0x60
	s_addc_u32 s35, s1, 0
	v_rcp_iflag_f32_e32 v1, v1
	s_sub_i32 s7, 0, s5
	s_waitcnt lgkmcnt(0)
	s_abs_i32 s33, s27
	v_mul_f32_e32 v1, 0x4f7ffffe, v1
	v_cvt_u32_f32_e32 v1, v1
	v_mul_lo_u32 v2, s7, v1
	v_mul_hi_u32 v2, v1, v2
	v_add_u32_e32 v1, v1, v2
	v_mul_hi_u32 v1, s6, v1
	v_mul_lo_u32 v2, v1, s5
	v_sub_u32_e32 v2, s6, v2
	v_add_u32_e32 v3, 1, v1
	v_subrev_u32_e32 v4, s5, v2
	v_cmp_le_u32_e32 vcc, s5, v2
	s_nop 1
	v_cndmask_b32_e32 v1, v1, v3, vcc
	v_cndmask_b32_e32 v2, v2, v4, vcc
	v_add_u32_e32 v3, 1, v1
	v_cmp_le_u32_e32 vcc, s5, v2
	s_sub_i32 s5, 0, s33
	s_nop 0
	v_cndmask_b32_e32 v1, v1, v3, vcc
	v_cvt_f32_u32_e32 v2, v1
	v_cvt_f32_u32_e32 v3, s33
	v_rcp_iflag_f32_e32 v2, v2
	v_rcp_iflag_f32_e32 v3, v3
	v_mul_f32_e32 v2, 0x4f7ffffe, v2
	v_cvt_u32_f32_e32 v2, v2
	v_mul_f32_e32 v3, 0x4f7ffffe, v3
	v_cvt_u32_f32_e32 v11, v3
	v_sub_u32_e32 v3, 0, v1
	v_mul_lo_u32 v3, v3, v2
	v_mul_hi_u32 v3, v2, v3
	v_add_u32_e32 v2, v2, v3
	v_mul_hi_u32 v4, s3, v2
	v_and_b32_e32 v2, 0x3ff, v0
	v_bfe_u32 v3, v0, 10, 10
	v_cmp_eq_u32_e32 vcc, 0, v2
	s_and_saveexec_b64 s[6:7], vcc
; %bb.1:
	v_mov_b32_e32 v5, 0x100
	v_lshl_add_u32 v5, v3, 2, v5
	v_mov_b32_e32 v6, -1
	ds_write_b32 v5, v6
; %bb.2:
	s_or_b64 exec, exec, s[6:7]
	v_mul_lo_u32 v5, v4, v1
	v_sub_u32_e32 v5, s3, v5
	v_add_u32_e32 v6, 1, v4
	v_sub_u32_e32 v7, v5, v1
	v_cmp_ge_u32_e64 s[6:7], v5, v1
	v_mul_lo_u32 v12, s5, v11
	s_nop 0
	v_cndmask_b32_e64 v4, v4, v6, s[6:7]
	v_cndmask_b32_e64 v5, v5, v7, s[6:7]
	v_add_u32_e32 v6, 1, v4
	v_cmp_ge_u32_e64 s[6:7], v5, v1
	s_nop 1
	v_cndmask_b32_e64 v4, v4, v6, s[6:7]
	v_mul_lo_u32 v74, v4, 3
	v_mul_lo_u32 v1, v4, v1
	v_mul_hi_i32 v5, v74, s23
	v_mul_lo_u32 v4, v74, s23
	v_sub_u32_e32 v10, s3, v1
	v_lshlrev_b64 v[4:5], 2, v[4:5]
	v_add_u32_e32 v1, v3, v74
	v_lshl_add_u64 v[4:5], s[8:9], 0, v[4:5]
	v_cmp_gt_i32_e64 s[6:7], s18, v2
	v_cmp_gt_i32_e64 s[10:11], s17, v1
	v_mov_b32_e32 v1, 0
	s_and_saveexec_b64 s[14:15], s[10:11]
	s_cbranch_execz .LBB79_10
; %bb.3:
	v_mov_b32_e32 v1, 0
	s_and_saveexec_b64 s[28:29], s[6:7]
	s_cbranch_execz .LBB79_9
; %bb.4:
	v_mul_lo_u32 v6, v3, s23
	v_ashrrev_i32_e32 v7, 31, v6
	v_mov_b32_e32 v1, 0x100
	v_lshl_add_u64 v[6:7], v[6:7], 2, v[4:5]
	v_lshl_add_u32 v13, v3, 2, v1
	v_mul_lo_u32 v8, v2, s22
	s_lshl_b32 s3, s22, 6
	v_mov_b32_e32 v1, 0
	s_mov_b64 s[30:31], 0
	v_mov_b32_e32 v14, v2
	s_branch .LBB79_6
.LBB79_5:                               ;   in Loop: Header=BB79_6 Depth=1
	s_or_b64 exec, exec, s[36:37]
	v_add_u32_e32 v14, 64, v14
	v_cmp_le_i32_e64 s[12:13], s18, v14
	s_xor_b64 s[8:9], s[8:9], -1
	s_or_b64 s[8:9], s[8:9], s[12:13]
	s_and_b64 s[8:9], exec, s[8:9]
	s_or_b64 s[30:31], s[8:9], s[30:31]
	v_add_u32_e32 v8, s3, v8
	s_andn2_b64 exec, exec, s[30:31]
	s_cbranch_execz .LBB79_8
.LBB79_6:                               ; =>This Inner Loop Header: Depth=1
	v_ashrrev_i32_e32 v9, 31, v8
	v_lshl_add_u64 v[16:17], v[8:9], 2, v[6:7]
	global_load_dword v9, v[16:17], off
	s_waitcnt vmcnt(0)
	v_cmp_ne_u32_e64 s[8:9], v9, v10
	v_cmp_eq_u32_e64 s[12:13], v9, v10
	s_and_saveexec_b64 s[36:37], s[12:13]
	s_cbranch_execz .LBB79_5
; %bb.7:                                ;   in Loop: Header=BB79_6 Depth=1
	v_mov_b32_e32 v1, 1
	ds_write_b32 v13, v14
	s_branch .LBB79_5
.LBB79_8:
	s_or_b64 exec, exec, s[30:31]
.LBB79_9:
	s_or_b64 exec, exec, s[28:29]
.LBB79_10:
	s_or_b64 exec, exec, s[14:15]
	v_mul_hi_u32 v6, v11, v12
	s_and_saveexec_b64 s[8:9], vcc
; %bb.11:
	v_mov_b32_e32 v7, 0x100
	v_lshl_add_u32 v7, v3, 2, v7
	v_mov_b32_e32 v8, -1
	ds_write_b32 v7, v8 offset:8
; %bb.12:
	s_or_b64 exec, exec, s[8:9]
	s_load_dwordx4 s[28:31], s[0:1], 0x54
	v_add_u32_e32 v8, v11, v6
	v_add_u32_e32 v6, 2, v3
	;; [unrolled: 1-line block ×3, first 2 shown]
	s_abs_i32 s3, s4
	v_cmp_gt_i32_e64 s[12:13], s17, v7
	s_and_saveexec_b64 s[8:9], s[12:13]
	s_cbranch_execz .LBB79_20
; %bb.13:
	s_and_saveexec_b64 s[14:15], s[6:7]
	s_cbranch_execz .LBB79_19
; %bb.14:
	v_mul_lo_u32 v6, v6, s23
	v_ashrrev_i32_e32 v7, 31, v6
	v_lshl_add_u64 v[4:5], v[6:7], 2, v[4:5]
	v_mov_b32_e32 v6, 0x100
	v_lshl_add_u32 v9, v3, 2, v6
	v_mul_lo_u32 v6, v2, s22
	s_lshl_b32 s5, s22, 6
	s_mov_b64 s[22:23], 0
	v_mov_b32_e32 v11, v2
	s_branch .LBB79_16
.LBB79_15:                              ;   in Loop: Header=BB79_16 Depth=1
	s_or_b64 exec, exec, s[36:37]
	v_add_u32_e32 v11, 64, v11
	v_cmp_le_i32_e64 s[6:7], s18, v11
	s_xor_b64 s[36:37], vcc, -1
	s_or_b64 s[6:7], s[36:37], s[6:7]
	s_and_b64 s[6:7], exec, s[6:7]
	s_or_b64 s[22:23], s[6:7], s[22:23]
	v_add_u32_e32 v6, s5, v6
	s_andn2_b64 exec, exec, s[22:23]
	s_cbranch_execz .LBB79_18
.LBB79_16:                              ; =>This Inner Loop Header: Depth=1
	v_ashrrev_i32_e32 v7, 31, v6
	v_lshl_add_u64 v[12:13], v[6:7], 2, v[4:5]
	global_load_dword v7, v[12:13], off
	s_waitcnt vmcnt(0)
	v_cmp_ne_u32_e32 vcc, v7, v10
	v_cmp_eq_u32_e64 s[6:7], v7, v10
	s_and_saveexec_b64 s[36:37], s[6:7]
	s_cbranch_execz .LBB79_15
; %bb.17:                               ;   in Loop: Header=BB79_16 Depth=1
	v_mov_b32_e32 v1, 1
	ds_write_b32 v9, v11 offset:8
	s_branch .LBB79_15
.LBB79_18:
	s_or_b64 exec, exec, s[22:23]
.LBB79_19:
	s_or_b64 exec, exec, s[14:15]
.LBB79_20:
	s_or_b64 exec, exec, s[8:9]
	s_load_dwordx2 s[6:7], s[34:35], 0xc
	s_load_dwordx2 s[8:9], s[0:1], 0x8
	s_load_dwordx2 s[14:15], s[0:1], 0x18
	v_or_b32_dpp v1, v1, v1 row_shl:1 row_mask:0xf bank_mask:0xf bound_ctrl:1
	v_mul_hi_u32 v4, s3, v8
	s_waitcnt lgkmcnt(0)
	s_and_b32 s5, s7, 0xffff
	s_lshr_b32 s7, s6, 16
	s_and_b32 s6, s6, 0xffff
	v_or_b32_dpp v1, v1, v1 row_shl:2 row_mask:0xf bank_mask:0xf bound_ctrl:1
	s_mul_i32 s18, s7, s6
	s_bfe_i32 s18, s18, 0x180000
	v_or_b32_dpp v1, v1, v1 row_shl:4 row_mask:0xf bank_mask:0xf bound_ctrl:1
	s_mul_i32 s5, s18, s5
	s_add_i32 s18, s5, 63
	v_or_b32_dpp v1, v1, v1 row_shl:8 row_mask:0xf bank_mask:0xf bound_ctrl:1
	s_bitcmp1_b32 exec_hi, 0
	s_nop 0
	v_mov_b32_dpp v5, v1 wave_shl:1 row_mask:0xf bank_mask:0xf bound_ctrl:1
	s_nop 1
	v_or_b32_dpp v1, v5, v1 row_mirror row_mask:0xf bank_mask:0xf bound_ctrl:1
	s_nop 0
	v_readlane_b32 s5, v1, 32
	s_cselect_b32 s5, s5, 0
	v_readlane_b32 s22, v1, 0
	s_or_b32 s5, s5, s22
	s_andn2_b32 s18, s18, 63
	s_cmp_lg_u32 s18, 64
	v_mov_b32_e32 v1, s5
	s_cbranch_scc0 .LBB79_27
; %bb.21:
	v_bfe_u32 v0, v0, 20, 10
	v_mbcnt_lo_u32_b32 v1, -1, 0
	v_mad_u32_u24 v0, v0, s7, v3
	v_mbcnt_hi_u32_b32 v5, -1, v1
	v_mad_u64_u32 v[0:1], s[6:7], v0, s6, v[2:3]
	v_lshrrev_b32_e32 v1, 6, v0
	v_or_b32_e32 v1, v5, v1
	v_cmp_eq_u32_e32 vcc, 0, v1
	s_and_saveexec_b64 s[6:7], vcc
; %bb.22:
	v_mov_b32_e32 v1, 0
	v_mov_b32_e32 v6, s5
	ds_write_b32 v1, v6
; %bb.23:
	s_or_b64 exec, exec, s[6:7]
	v_cmp_eq_u32_e32 vcc, 0, v5
	v_cmp_lt_u32_e64 s[6:7], 63, v0
	s_and_b64 s[22:23], s[6:7], vcc
	s_waitcnt lgkmcnt(0)
	s_barrier
	s_and_saveexec_b64 s[6:7], s[22:23]
	s_cbranch_execz .LBB79_26
; %bb.24:
	v_mbcnt_lo_u32_b32 v0, exec_lo, 0
	v_mbcnt_hi_u32_b32 v0, exec_hi, v0
	v_cmp_eq_u32_e32 vcc, 0, v0
	s_and_b64 exec, exec, vcc
; %bb.25:
	v_mov_b32_e32 v0, 0
	v_mov_b32_e32 v1, s5
	ds_or_b32 v0, v1
.LBB79_26:
	s_or_b64 exec, exec, s[6:7]
	v_mov_b32_e32 v0, 0
	s_waitcnt lgkmcnt(0)
	s_barrier
	ds_read_b32 v1, v0
	s_waitcnt lgkmcnt(0)
	s_barrier
.LBB79_27:
	s_load_dwordx2 s[0:1], s[0:1], 0x0
	v_cmp_ne_u32_e32 vcc, 0, v1
	s_ashr_i32 s18, s4, 31
	s_ashr_i32 s27, s27, 31
	s_cbranch_vccz .LBB79_53
; %bb.28:
	v_lshlrev_b32_e32 v75, 6, v3
	v_add_u32_e32 v77, v75, v2
	v_cmp_le_i32_e32 vcc, s16, v77
	v_and_b32_e32 v76, 15, v2
	s_and_saveexec_b64 s[6:7], vcc
	s_xor_b64 s[6:7], exec, s[6:7]
; %bb.29:
	v_and_b32_e32 v76, 15, v2
                                        ; implicit-def: $vgpr77
                                        ; implicit-def: $vgpr4
                                        ; implicit-def: $vgpr10
; %bb.30:
	s_or_saveexec_b64 s[22:23], s[6:7]
	s_lshl_b32 s5, s2, 6
	v_mov_b32_e32 v1, 0
	v_accvgpr_write_b32 a0, 0
	v_accvgpr_write_b32 a1, 0
	;; [unrolled: 1-line block ×16, first 2 shown]
	s_xor_b64 exec, exec, s[22:23]
	s_cbranch_execz .LBB79_46
; %bb.31:
	v_mul_lo_u32 v0, v4, s33
	v_sub_u32_e32 v0, s3, v0
	v_add_u32_e32 v5, 1, v4
	v_subrev_u32_e32 v6, s33, v0
	v_cmp_le_u32_e32 vcc, s33, v0
	s_xor_b32 s2, s18, s27
	s_movk_i32 s6, 0x1080
	v_cndmask_b32_e32 v4, v4, v5, vcc
	v_cndmask_b32_e32 v0, v0, v6, vcc
	v_add_u32_e32 v5, 1, v4
	v_cmp_le_u32_e32 vcc, s33, v0
	v_mov_b32_e32 v78, 0x100
	v_mul_lo_u32 v6, v10, s24
	v_cndmask_b32_e32 v0, v4, v5, vcc
	v_xor_b32_e32 v0, s2, v0
	v_subrev_u32_e32 v0, s2, v0
	s_mul_i32 s2, s19, s5
	v_mul_hi_i32 v5, v0, s28
	v_mul_lo_u32 v4, v0, s28
	s_ashr_i32 s3, s2, 31
	v_mad_u32_u24 v0, v3, s6, v78
	s_mul_hi_i32 s7, s29, s4
	s_mul_i32 s6, s29, s4
	v_ashrrev_i32_e32 v7, 31, v6
	v_lshlrev_b64 v[8:9], 2, v[4:5]
	s_lshl_b64 s[2:3], s[2:3], 2
	s_lshl_b64 s[6:7], s[6:7], 2
	s_waitcnt lgkmcnt(0)
	v_lshl_add_u64 v[4:5], s[0:1], 0, v[8:9]
	v_lshlrev_b64 v[10:11], 2, v[6:7]
	v_mul_hi_i32 v7, v74, s20
	v_mul_lo_u32 v6, v74, s20
	s_add_u32 s6, s8, s6
	v_lshrrev_b32_e32 v13, 1, v2
	v_lshl_add_u64 v[8:9], v[8:9], 0, s[2:3]
	s_addc_u32 s7, s9, s7
	v_lshlrev_b64 v[6:7], 2, v[6:7]
	v_mul_u32_u24_e32 v12, 0x108, v76
	v_and_b32_e32 v13, 0x1f8, v13
	v_lshl_add_u64 v[8:9], v[8:9], 0, v[10:11]
	v_lshl_add_u64 v[4:5], v[4:5], 0, v[10:11]
	;; [unrolled: 1-line block ×3, first 2 shown]
	v_lshl_add_u32 v79, v2, 2, v0
	v_add3_u32 v80, v0, v12, v13
	v_add_u32_e32 v12, 1, v74
	v_add_u32_e32 v13, 2, v74
	s_ashr_i32 s7, s19, 31
	s_mov_b32 s6, s19
	v_lshl_add_u64 v[8:9], s[0:1], 0, v[8:9]
	v_lshlrev_b32_e32 v0, 2, v77
	v_lshl_add_u64 v[4:5], v[4:5], 0, s[2:3]
	s_lshl_b32 s24, s20, 1
	s_add_i32 s27, s19, s19
	s_mul_i32 s31, s19, 3
	s_lshl_b32 s33, s19, 2
	s_mul_i32 s34, s19, 5
	s_mul_i32 s35, s19, 6
	;; [unrolled: 1-line block ×3, first 2 shown]
	s_lshl_b32 s37, s19, 3
	s_mul_i32 s38, s19, 9
	s_mul_i32 s39, s19, 10
	;; [unrolled: 1-line block ×7, first 2 shown]
	s_lshl_b32 s45, s19, 4
	s_mul_i32 s46, s19, 17
	s_mul_i32 s47, s19, 18
	;; [unrolled: 1-line block ×15, first 2 shown]
	s_lshl_b32 s61, s19, 5
	s_mul_i32 s62, s19, 33
	s_mul_i32 s63, s19, 34
	;; [unrolled: 1-line block ×22, first 2 shown]
	v_cmp_gt_i32_e64 s[0:1], s17, v74
	s_mul_i32 s84, s19, 55
	s_mul_i32 s85, s19, 56
	s_lshl_b64 s[2:3], s[6:7], 2
	v_accvgpr_write_b32 a15, 0
	v_accvgpr_write_b32 a14, 0
	;; [unrolled: 1-line block ×16, first 2 shown]
	v_lshl_add_u64 v[8:9], v[8:9], 0, v[0:1]
	s_mul_i32 s86, s19, 57
	s_mul_i32 s87, s19, 58
	;; [unrolled: 1-line block ×7, first 2 shown]
	v_cmp_gt_i32_e64 s[6:7], s17, v12
	v_cmp_gt_i32_e64 s[8:9], s17, v13
	s_mov_b64 s[18:19], 0
	s_mov_b64 s[28:29], 0x200
	s_branch .LBB79_34
.LBB79_32:                              ;   in Loop: Header=BB79_34 Depth=1
	v_mul_lo_u32 v0, v0, s25
	v_add_u32_e32 v0, s24, v0
	v_add_u32_e32 v82, v0, v77
	v_ashrrev_i32_e32 v83, 31, v82
	v_lshl_add_u64 v[82:83], v[82:83], 2, v[6:7]
	global_load_dword v0, v[82:83], off
.LBB79_33:                              ;   in Loop: Header=BB79_34 Depth=1
	s_waitcnt vmcnt(0)
	ds_write2_b32 v79, v0, v1 offset0:148 offset1:214
	v_add_u32_e32 v0, 0x400, v79
	ds_write2_b32 v0, v1, v1 offset0:24 offset1:90
	ds_write2_b32 v0, v1, v1 offset0:156 offset1:222
	v_add_u32_e32 v0, 0x800, v79
	ds_write2_b32 v0, v1, v1 offset0:32 offset1:98
	;; [unrolled: 3-line block ×3, first 2 shown]
	ds_write2_b32 v0, v1, v1 offset0:172 offset1:238
	ds_read2_b64 v[82:85], v80 offset0:8 offset1:12
	v_add_u32_e32 v77, 0x80, v77
	s_waitcnt lgkmcnt(0)
	v_mfma_f32_16x16x4_f32 a[12:15], v38, v82, a[12:15]
	v_cmp_le_i32_e32 vcc, s16, v77
	v_lshl_add_u64 v[8:9], v[8:9], 0, s[28:29]
	s_or_b64 s[18:19], vcc, s[18:19]
	v_mfma_f32_16x16x4_f32 a[8:11], v50, v82, a[8:11]
	v_mfma_f32_16x16x4_f32 a[4:7], v60, v82, a[4:7]
	v_mfma_f32_16x16x4_f32 a[0:3], v72, v82, a[0:3]
	v_mfma_f32_16x16x4_f32 a[12:15], v39, v83, a[12:15]
	v_mfma_f32_16x16x4_f32 a[8:11], v51, v83, a[8:11]
	v_mfma_f32_16x16x4_f32 a[4:7], v61, v83, a[4:7]
	v_mfma_f32_16x16x4_f32 a[0:3], v73, v83, a[0:3]
	v_mfma_f32_16x16x4_f32 a[12:15], v32, v84, a[12:15]
	v_mfma_f32_16x16x4_f32 a[8:11], v46, v84, a[8:11]
	v_mfma_f32_16x16x4_f32 a[4:7], v56, v84, a[4:7]
	v_mfma_f32_16x16x4_f32 a[0:3], v70, v84, a[0:3]
	v_mfma_f32_16x16x4_f32 a[12:15], v33, v85, a[12:15]
	v_mfma_f32_16x16x4_f32 a[8:11], v47, v85, a[8:11]
	v_mfma_f32_16x16x4_f32 a[4:7], v57, v85, a[4:7]
	v_mfma_f32_16x16x4_f32 a[0:3], v71, v85, a[0:3]
	ds_read2_b64 v[70:73], v80 offset0:16 offset1:20
	s_waitcnt lgkmcnt(0)
	v_mfma_f32_16x16x4_f32 a[12:15], v26, v70, a[12:15]
	v_mfma_f32_16x16x4_f32 a[8:11], v42, v70, a[8:11]
	;; [unrolled: 1-line block ×14, first 2 shown]
	ds_read2_b64 v[36:39], v80 offset0:24 offset1:28
	v_mfma_f32_16x16x4_f32 a[4:7], v49, v73, a[4:7]
	v_mfma_f32_16x16x4_f32 a[0:3], v67, v73, a[0:3]
	s_waitcnt lgkmcnt(0)
	v_mfma_f32_16x16x4_f32 a[12:15], v18, v36, a[12:15]
	v_mfma_f32_16x16x4_f32 a[8:11], v30, v36, a[8:11]
	;; [unrolled: 1-line block ×14, first 2 shown]
	ds_read2_b64 v[22:25], v80 offset0:32 offset1:36
	v_mfma_f32_16x16x4_f32 a[4:7], v41, v39, a[4:7]
	v_mfma_f32_16x16x4_f32 a[0:3], v63, v39, a[0:3]
	s_waitcnt lgkmcnt(0)
	v_mfma_f32_16x16x4_f32 a[12:15], v12, v22, a[12:15]
	v_mfma_f32_16x16x4_f32 a[8:11], v20, v22, a[8:11]
	v_mfma_f32_16x16x4_f32 a[4:7], v34, v22, a[4:7]
	v_mfma_f32_16x16x4_f32 a[0:3], v58, v22, a[0:3]
	v_mfma_f32_16x16x4_f32 a[12:15], v13, v23, a[12:15]
	v_mfma_f32_16x16x4_f32 a[8:11], v21, v23, a[8:11]
	v_mfma_f32_16x16x4_f32 a[4:7], v35, v23, a[4:7]
	v_mfma_f32_16x16x4_f32 a[0:3], v59, v23, a[0:3]
	v_mfma_f32_16x16x4_f32 a[12:15], v10, v24, a[12:15]
	v_mfma_f32_16x16x4_f32 a[8:11], v16, v24, a[8:11]
	v_mfma_f32_16x16x4_f32 a[4:7], v28, v24, a[4:7]
	v_mfma_f32_16x16x4_f32 a[0:3], v54, v24, a[0:3]
	v_mfma_f32_16x16x4_f32 a[12:15], v11, v25, a[12:15]
	v_mfma_f32_16x16x4_f32 a[8:11], v17, v25, a[8:11]
	v_mfma_f32_16x16x4_f32 a[4:7], v29, v25, a[4:7]
	v_mfma_f32_16x16x4_f32 a[0:3], v55, v25, a[0:3]
	s_andn2_b64 exec, exec, s[18:19]
	s_cbranch_execz .LBB79_45
.LBB79_34:                              ; =>This Inner Loop Header: Depth=1
	v_lshl_add_u64 v[10:11], v[8:9], 0, s[2:3]
	global_load_dword v0, v[8:9], off
	global_load_dword v26, v[10:11], off
	v_add_u32_e32 v10, s27, v77
	v_add_u32_e32 v14, s33, v77
	;; [unrolled: 1-line block ×5, first 2 shown]
	v_ashrrev_i32_e32 v11, 31, v10
	v_add_u32_e32 v12, s31, v77
	v_ashrrev_i32_e32 v15, 31, v14
	v_ashrrev_i32_e32 v17, 31, v16
	;; [unrolled: 1-line block ×3, first 2 shown]
	v_add_u32_e32 v20, s36, v77
	v_ashrrev_i32_e32 v23, 31, v22
	v_add_u32_e32 v24, s38, v77
	v_lshl_add_u64 v[10:11], v[10:11], 2, v[4:5]
	v_ashrrev_i32_e32 v13, 31, v12
	v_lshl_add_u64 v[14:15], v[14:15], 2, v[4:5]
	v_lshl_add_u64 v[16:17], v[16:17], 2, v[4:5]
	;; [unrolled: 1-line block ×3, first 2 shown]
	v_ashrrev_i32_e32 v21, 31, v20
	v_lshl_add_u64 v[22:23], v[22:23], 2, v[4:5]
	v_ashrrev_i32_e32 v25, 31, v24
	v_lshl_add_u64 v[12:13], v[12:13], 2, v[4:5]
	v_lshl_add_u64 v[20:21], v[20:21], 2, v[4:5]
	v_lshl_add_u64 v[24:25], v[24:25], 2, v[4:5]
	global_load_dword v27, v[10:11], off
	global_load_dword v28, v[12:13], off
	global_load_dword v29, v[14:15], off
	global_load_dword v30, v[16:17], off
	global_load_dword v31, v[18:19], off
	global_load_dword v32, v[20:21], off
	s_nop 0
	global_load_dword v22, v[22:23], off
	s_nop 0
	global_load_dword v23, v[24:25], off
	v_add_u32_e32 v10, s39, v77
	v_add_u32_e32 v14, s41, v77
	;; [unrolled: 1-line block ×4, first 2 shown]
	v_ashrrev_i32_e32 v11, 31, v10
	v_add_u32_e32 v12, s40, v77
	v_ashrrev_i32_e32 v15, 31, v14
	v_ashrrev_i32_e32 v17, 31, v16
	;; [unrolled: 1-line block ×3, first 2 shown]
	v_add_u32_e32 v20, s44, v77
	v_lshl_add_u64 v[10:11], v[10:11], 2, v[4:5]
	v_ashrrev_i32_e32 v13, 31, v12
	v_lshl_add_u64 v[14:15], v[14:15], 2, v[4:5]
	v_lshl_add_u64 v[16:17], v[16:17], 2, v[4:5]
	v_lshl_add_u64 v[18:19], v[18:19], 2, v[4:5]
	v_ashrrev_i32_e32 v21, 31, v20
	v_lshl_add_u64 v[12:13], v[12:13], 2, v[4:5]
	v_lshl_add_u64 v[20:21], v[20:21], 2, v[4:5]
	global_load_dword v24, v[10:11], off
	global_load_dword v25, v[12:13], off
	s_nop 0
	global_load_dword v15, v[14:15], off
	s_nop 0
	;; [unrolled: 2-line block ×4, first 2 shown]
	global_load_dword v18, v[20:21], off
	v_add_u32_e32 v10, s45, v77
	v_add_u32_e32 v12, s46, v77
	v_ashrrev_i32_e32 v11, 31, v10
	v_add_u32_e32 v14, s47, v77
	v_ashrrev_i32_e32 v13, 31, v12
	v_lshl_add_u64 v[10:11], v[10:11], 2, v[4:5]
	v_lshl_add_u64 v[12:13], v[12:13], 2, v[4:5]
	global_load_dword v34, v[10:11], off
	global_load_dword v35, v[12:13], off
	v_add_u32_e32 v12, s48, v77
	v_add_u32_e32 v20, s52, v77
	v_ashrrev_i32_e32 v13, 31, v12
	v_ashrrev_i32_e32 v21, 31, v20
	v_lshl_add_u64 v[12:13], v[12:13], 2, v[4:5]
	v_lshl_add_u64 v[20:21], v[20:21], 2, v[4:5]
	s_andn2_b64 vcc, exec, s[0:1]
	s_waitcnt vmcnt(17)
	ds_write_b32 v79, v0 offset:64
	s_waitcnt vmcnt(16)
	ds_write_b32 v79, v26 offset:328
	;; [unrolled: 2-line block ×16, first 2 shown]
	v_ashrrev_i32_e32 v15, 31, v14
	v_lshl_add_u64 v[10:11], v[14:15], 2, v[4:5]
	v_add_u32_e32 v14, s49, v77
	v_add_u32_e32 v16, s50, v77
	;; [unrolled: 1-line block ×5, first 2 shown]
	v_ashrrev_i32_e32 v15, 31, v14
	v_ashrrev_i32_e32 v17, 31, v16
	;; [unrolled: 1-line block ×5, first 2 shown]
	v_lshl_add_u64 v[14:15], v[14:15], 2, v[4:5]
	v_lshl_add_u64 v[16:17], v[16:17], 2, v[4:5]
	v_lshl_add_u64 v[18:19], v[18:19], 2, v[4:5]
	v_lshl_add_u64 v[22:23], v[22:23], 2, v[4:5]
	v_lshl_add_u64 v[24:25], v[24:25], 2, v[4:5]
	global_load_dword v0, v[10:11], off
	global_load_dword v28, v[12:13], off
	global_load_dword v29, v[14:15], off
	global_load_dword v30, v[16:17], off
	global_load_dword v31, v[18:19], off
	global_load_dword v36, v[20:21], off
	global_load_dword v37, v[22:23], off
	global_load_dword v40, v[24:25], off
	v_add_u32_e32 v10, s55, v77
	v_ashrrev_i32_e32 v11, 31, v10
	v_add_u32_e32 v12, s56, v77
	v_add_u32_e32 v14, s57, v77
	v_add_u32_e32 v16, s58, v77
	v_add_u32_e32 v18, s59, v77
	v_add_u32_e32 v20, s60, v77
	v_add_u32_e32 v22, s61, v77
	v_add_u32_e32 v24, s62, v77
	v_lshl_add_u64 v[10:11], v[10:11], 2, v[4:5]
	v_ashrrev_i32_e32 v13, 31, v12
	v_ashrrev_i32_e32 v15, 31, v14
	v_ashrrev_i32_e32 v17, 31, v16
	v_ashrrev_i32_e32 v19, 31, v18
	v_ashrrev_i32_e32 v21, 31, v20
	v_ashrrev_i32_e32 v23, 31, v22
	v_ashrrev_i32_e32 v25, 31, v24
	v_lshl_add_u64 v[12:13], v[12:13], 2, v[4:5]
	v_lshl_add_u64 v[14:15], v[14:15], 2, v[4:5]
	v_lshl_add_u64 v[16:17], v[16:17], 2, v[4:5]
	v_lshl_add_u64 v[18:19], v[18:19], 2, v[4:5]
	v_lshl_add_u64 v[20:21], v[20:21], 2, v[4:5]
	v_lshl_add_u64 v[22:23], v[22:23], 2, v[4:5]
	v_lshl_add_u64 v[24:25], v[24:25], 2, v[4:5]
	global_load_dword v41, v[10:11], off
	global_load_dword v42, v[12:13], off
	global_load_dword v43, v[14:15], off
	global_load_dword v44, v[16:17], off
	global_load_dword v45, v[18:19], off
	global_load_dword v46, v[20:21], off
	global_load_dword v48, v[22:23], off
	global_load_dword v49, v[24:25], off
	v_add_u32_e32 v10, s63, v77
	v_ashrrev_i32_e32 v11, 31, v10
	v_add_u32_e32 v12, s64, v77
	v_add_u32_e32 v14, s65, v77
	v_add_u32_e32 v16, s66, v77
	v_add_u32_e32 v18, s67, v77
	v_add_u32_e32 v20, s68, v77
	v_add_u32_e32 v22, s69, v77
	v_add_u32_e32 v24, s70, v77
	v_lshl_add_u64 v[10:11], v[10:11], 2, v[4:5]
	v_ashrrev_i32_e32 v13, 31, v12
	v_ashrrev_i32_e32 v15, 31, v14
	v_ashrrev_i32_e32 v17, 31, v16
	v_ashrrev_i32_e32 v19, 31, v18
	v_ashrrev_i32_e32 v21, 31, v20
	v_ashrrev_i32_e32 v23, 31, v22
	v_ashrrev_i32_e32 v25, 31, v24
	v_lshl_add_u64 v[12:13], v[12:13], 2, v[4:5]
	v_lshl_add_u64 v[14:15], v[14:15], 2, v[4:5]
	;; [unrolled: 32-line block ×4, first 2 shown]
	v_lshl_add_u64 v[16:17], v[16:17], 2, v[4:5]
	v_lshl_add_u64 v[18:19], v[18:19], 2, v[4:5]
	;; [unrolled: 1-line block ×5, first 2 shown]
	global_load_dword v68, v[10:11], off
	global_load_dword v69, v[12:13], off
	;; [unrolled: 1-line block ×8, first 2 shown]
	v_add_u32_e32 v10, s87, v77
	v_ashrrev_i32_e32 v11, 31, v10
	v_add_u32_e32 v12, s88, v77
	v_lshl_add_u64 v[10:11], v[10:11], 2, v[4:5]
	v_ashrrev_i32_e32 v13, 31, v12
	v_lshl_add_u64 v[12:13], v[12:13], 2, v[4:5]
	global_load_dword v83, v[10:11], off
	global_load_dword v84, v[12:13], off
	v_add_u32_e32 v10, s89, v77
	v_ashrrev_i32_e32 v11, 31, v10
	v_add_u32_e32 v12, s90, v77
	v_add_u32_e32 v14, s91, v77
	;; [unrolled: 1-line block ×3, first 2 shown]
	v_lshl_add_u64 v[10:11], v[10:11], 2, v[4:5]
	v_ashrrev_i32_e32 v13, 31, v12
	v_ashrrev_i32_e32 v15, 31, v14
	;; [unrolled: 1-line block ×3, first 2 shown]
	v_lshl_add_u64 v[12:13], v[12:13], 2, v[4:5]
	v_lshl_add_u64 v[14:15], v[14:15], 2, v[4:5]
	;; [unrolled: 1-line block ×3, first 2 shown]
	global_load_dword v85, v[10:11], off
	global_load_dword v86, v[12:13], off
	;; [unrolled: 1-line block ×4, first 2 shown]
	ds_read_b64 v[38:39], v80 offset:64
	ds_read_b64 v[32:33], v80 offset:96
	ds_read_b64 v[26:27], v80 offset:128
	ds_read_b64 v[22:23], v80 offset:160
	ds_read_b64 v[18:19], v80 offset:192
	ds_read_b64 v[14:15], v80 offset:224
	ds_read_b64 v[12:13], v80 offset:256
	ds_read_b64 v[10:11], v80 offset:288
	s_waitcnt vmcnt(47)
	ds_write_b32 v79, v34 offset:64
	s_waitcnt vmcnt(46)
	ds_write_b32 v79, v35 offset:328
	s_waitcnt vmcnt(45)
	ds_write_b32 v79, v0 offset:592
	s_waitcnt vmcnt(44)
	ds_write_b32 v79, v28 offset:856
	s_waitcnt vmcnt(43)
	ds_write_b32 v79, v29 offset:1120
	s_waitcnt vmcnt(42)
	ds_write_b32 v79, v30 offset:1384
	s_waitcnt vmcnt(41)
	ds_write_b32 v79, v31 offset:1648
	s_waitcnt vmcnt(40)
	ds_write_b32 v79, v36 offset:1912
	s_waitcnt vmcnt(39)
	ds_write_b32 v79, v37 offset:2176
	s_waitcnt vmcnt(38)
	ds_write_b32 v79, v40 offset:2440
	s_waitcnt vmcnt(37)
	ds_write_b32 v79, v41 offset:2704
	s_waitcnt vmcnt(36)
	ds_write_b32 v79, v42 offset:2968
	s_waitcnt vmcnt(35)
	ds_write_b32 v79, v43 offset:3232
	s_waitcnt vmcnt(34)
	ds_write_b32 v79, v44 offset:3496
	s_waitcnt vmcnt(33)
	ds_write_b32 v79, v45 offset:3760
	s_waitcnt vmcnt(32)
	ds_write_b32 v79, v46 offset:4024
	ds_read_b64 v[50:51], v80 offset:64
	ds_read_b64 v[46:47], v80 offset:96
	ds_read_b64 v[42:43], v80 offset:128
	ds_read_b64 v[36:37], v80 offset:160
	ds_read_b64 v[30:31], v80 offset:192
	ds_read_b64 v[24:25], v80 offset:224
	ds_read_b64 v[20:21], v80 offset:256
	ds_read_b64 v[16:17], v80 offset:288
	s_waitcnt vmcnt(31)
	ds_write_b32 v79, v48 offset:64
	s_waitcnt vmcnt(30)
	ds_write_b32 v79, v49 offset:328
	s_waitcnt vmcnt(29)
	ds_write_b32 v79, v52 offset:592
	s_waitcnt vmcnt(28)
	ds_write_b32 v79, v53 offset:856
	s_waitcnt vmcnt(27)
	ds_write_b32 v79, v54 offset:1120
	s_waitcnt vmcnt(26)
	ds_write_b32 v79, v55 offset:1384
	s_waitcnt vmcnt(25)
	ds_write_b32 v79, v56 offset:1648
	s_waitcnt vmcnt(24)
	ds_write_b32 v79, v57 offset:1912
	s_waitcnt vmcnt(23)
	ds_write_b32 v79, v58 offset:2176
	s_waitcnt vmcnt(22)
	ds_write_b32 v79, v59 offset:2440
	s_waitcnt vmcnt(21)
	ds_write_b32 v79, v60 offset:2704
	s_waitcnt vmcnt(20)
	ds_write_b32 v79, v61 offset:2968
	s_waitcnt vmcnt(19)
	ds_write_b32 v79, v62 offset:3232
	s_waitcnt vmcnt(18)
	ds_write_b32 v79, v63 offset:3496
	s_waitcnt vmcnt(17)
	ds_write_b32 v79, v64 offset:3760
	s_waitcnt vmcnt(16)
	ds_write_b32 v79, v65 offset:4024
	;; [unrolled: 40-line block ×3, first 2 shown]
	ds_read_b64 v[72:73], v80 offset:64
	ds_read_b64 v[70:71], v80 offset:96
	;; [unrolled: 1-line block ×8, first 2 shown]
	v_mov_b32_e32 v0, 0
	s_cbranch_vccnz .LBB79_38
; %bb.35:                               ;   in Loop: Header=BB79_34 Depth=1
	ds_read_b32 v0, v78
	s_waitcnt lgkmcnt(0)
	v_cmp_gt_i32_e32 vcc, 0, v0
	s_cbranch_vccnz .LBB79_37
; %bb.36:                               ;   in Loop: Header=BB79_34 Depth=1
	v_mul_lo_u32 v0, v0, s25
	v_add_u32_e32 v82, v77, v0
	v_ashrrev_i32_e32 v83, 31, v82
	v_lshl_add_u64 v[82:83], v[82:83], 2, v[6:7]
	global_load_dword v0, v[82:83], off
	s_branch .LBB79_38
.LBB79_37:                              ;   in Loop: Header=BB79_34 Depth=1
	v_mov_b32_e32 v0, 0
.LBB79_38:                              ;   in Loop: Header=BB79_34 Depth=1
	s_waitcnt vmcnt(0)
	ds_write_b32 v79, v0 offset:64
	v_mov_b32_e32 v0, 0
	s_andn2_b64 vcc, exec, s[6:7]
	v_mov_b32_e32 v81, 0
	s_cbranch_vccnz .LBB79_41
; %bb.39:                               ;   in Loop: Header=BB79_34 Depth=1
	ds_read_b32 v81, v78 offset:4
	s_waitcnt lgkmcnt(0)
	v_cmp_gt_i32_e32 vcc, 0, v81
	s_cbranch_vccnz .LBB79_44
; %bb.40:                               ;   in Loop: Header=BB79_34 Depth=1
	v_mul_lo_u32 v81, v81, s25
	v_add_u32_e32 v81, s20, v81
	v_add_u32_e32 v82, v81, v77
	v_ashrrev_i32_e32 v83, 31, v82
	v_lshl_add_u64 v[82:83], v[82:83], 2, v[6:7]
	global_load_dword v81, v[82:83], off
.LBB79_41:                              ;   in Loop: Header=BB79_34 Depth=1
	s_andn2_b64 vcc, exec, s[8:9]
	s_waitcnt vmcnt(0)
	ds_write_b32 v79, v81 offset:328
	s_cbranch_vccnz .LBB79_33
.LBB79_42:                              ;   in Loop: Header=BB79_34 Depth=1
	ds_read_b32 v0, v78 offset:8
	s_waitcnt lgkmcnt(0)
	v_cmp_gt_i32_e32 vcc, 0, v0
	s_cbranch_vccz .LBB79_32
; %bb.43:                               ;   in Loop: Header=BB79_34 Depth=1
	v_mov_b32_e32 v0, 0
	s_branch .LBB79_33
.LBB79_44:                              ;   in Loop: Header=BB79_34 Depth=1
	v_mov_b32_e32 v81, 0
	s_andn2_b64 vcc, exec, s[8:9]
	ds_write_b32 v79, v81 offset:328
	s_cbranch_vccnz .LBB79_33
	s_branch .LBB79_42
.LBB79_45:
	s_or_b64 exec, exec, s[18:19]
.LBB79_46:
	s_or_b64 exec, exec, s[22:23]
	v_mov_b32_e32 v1, 0x100
	v_lshl_add_u32 v0, v75, 2, v1
	v_mul_u32_u24_e32 v4, 0x208, v76
	v_and_b32_e32 v5, 0x3f0, v2
	v_add3_u32 v4, v0, v4, v5
	v_accvgpr_read_b32 v5, a13
	v_accvgpr_read_b32 v6, a12
	s_waitcnt lgkmcnt(0)
	s_barrier
	ds_write2_b32 v4, v6, v5 offset0:16 offset1:17
	v_accvgpr_read_b32 v5, a15
	v_accvgpr_read_b32 v6, a14
	ds_write2_b32 v4, v6, v5 offset0:18 offset1:19
	v_accvgpr_read_b32 v5, a9
	v_accvgpr_read_b32 v6, a8
	;; [unrolled: 3-line block ×7, first 2 shown]
	s_movk_i32 s0, 0x208
	ds_write2_b32 v4, v6, v5 offset0:66 offset1:67
	v_lshl_add_u32 v6, v2, 2, v1
	v_mad_u32_u24 v1, v3, s0, v6
	s_waitcnt lgkmcnt(0)
	s_barrier
	ds_read2_b32 v[4:5], v1 offset0:16 offset1:80
	v_cmp_gt_u32_e32 vcc, 3, v3
	v_mov_b32_e32 v7, -1
	s_and_saveexec_b64 s[0:1], vcc
; %bb.47:
	s_movk_i32 s2, 0xff04
	v_mad_i32_i24 v0, v3, s2, v0
	ds_read_b32 v7, v0
; %bb.48:
	s_or_b64 exec, exec, s[0:1]
	s_mul_hi_i32 s1, s30, s4
	s_mul_i32 s0, s30, s4
	s_lshl_b64 s[0:1], s[0:1], 2
	v_mul_hi_i32 v1, v74, s21
	v_mul_lo_u32 v0, v74, s21
	s_add_u32 s0, s14, s0
	s_addc_u32 s1, s15, s1
	v_lshlrev_b64 v[0:1], 2, v[0:1]
	s_waitcnt lgkmcnt(0)
	v_cmp_lt_i32_e32 vcc, -1, v7
	v_add_u32_e32 v2, s5, v2
	v_lshl_add_u64 v[0:1], s[0:1], 0, v[0:1]
	s_and_b64 s[2:3], vcc, s[10:11]
	s_and_saveexec_b64 s[0:1], s[2:3]
	s_cbranch_execz .LBB79_50
; %bb.49:
	v_add_f32_e32 v4, 0, v4
	v_add_f32_e32 v8, v4, v5
	v_mul_lo_u32 v4, v7, s26
	v_mul_lo_u32 v5, v3, s21
	v_add3_u32 v4, v2, v5, v4
	v_mov_b32_e32 v5, 0
	v_lshl_add_u64 v[4:5], v[4:5], 2, v[0:1]
	global_store_dword v[4:5], v8, off
.LBB79_50:
	s_or_b64 exec, exec, s[0:1]
	v_cmp_eq_u32_e32 vcc, 0, v3
	s_and_saveexec_b64 s[0:1], vcc
	s_cbranch_execz .LBB79_53
; %bb.51:
	v_mov_b32_e32 v3, 0x100
	ds_read_b32 v3, v3 offset:8
	s_waitcnt lgkmcnt(0)
	v_readfirstlane_b32 s0, v3
	s_cmp_gt_i32 s0, -1
	s_cselect_b64 s[0:1], -1, 0
	s_and_b64 s[0:1], s[0:1], s[12:13]
	s_and_b64 exec, exec, s[0:1]
	s_cbranch_execz .LBB79_53
; %bb.52:
	v_add_u32_e32 v4, 0x50, v6
	ds_read2st64_b32 v[4:5], v4 offset0:4 offset1:5
	v_mul_lo_u32 v3, v3, s26
	s_lshl_b32 s0, s21, 1
	v_add_u32_e32 v3, s0, v3
	v_add_u32_e32 v2, v3, v2
	s_waitcnt lgkmcnt(0)
	v_add_f32_e32 v3, 0, v4
	v_add_f32_e32 v4, v3, v5
	v_mov_b32_e32 v3, 0
	v_lshl_add_u64 v[0:1], v[2:3], 2, v[0:1]
	global_store_dword v[0:1], v4, off
.LBB79_53:
	s_endpgm
	.section	.rodata,"a",@progbits
	.p2align	6, 0x0
	.amdhsa_kernel _ZL9mul_mat_fIfLi64ELi3ELi2ELb1EEvPKT_PKfPKiPfiiiiiiiiiiiiiiii
		.amdhsa_group_segment_fixed_size 256
		.amdhsa_private_segment_fixed_size 0
		.amdhsa_kernarg_size 352
		.amdhsa_user_sgpr_count 2
		.amdhsa_user_sgpr_dispatch_ptr 0
		.amdhsa_user_sgpr_queue_ptr 0
		.amdhsa_user_sgpr_kernarg_segment_ptr 1
		.amdhsa_user_sgpr_dispatch_id 0
		.amdhsa_user_sgpr_kernarg_preload_length 0
		.amdhsa_user_sgpr_kernarg_preload_offset 0
		.amdhsa_user_sgpr_private_segment_size 0
		.amdhsa_uses_dynamic_stack 0
		.amdhsa_enable_private_segment 0
		.amdhsa_system_sgpr_workgroup_id_x 1
		.amdhsa_system_sgpr_workgroup_id_y 1
		.amdhsa_system_sgpr_workgroup_id_z 1
		.amdhsa_system_sgpr_workgroup_info 0
		.amdhsa_system_vgpr_workitem_id 2
		.amdhsa_next_free_vgpr 108
		.amdhsa_next_free_sgpr 93
		.amdhsa_accum_offset 92
		.amdhsa_reserve_vcc 1
		.amdhsa_float_round_mode_32 0
		.amdhsa_float_round_mode_16_64 0
		.amdhsa_float_denorm_mode_32 3
		.amdhsa_float_denorm_mode_16_64 3
		.amdhsa_dx10_clamp 1
		.amdhsa_ieee_mode 1
		.amdhsa_fp16_overflow 0
		.amdhsa_tg_split 0
		.amdhsa_exception_fp_ieee_invalid_op 0
		.amdhsa_exception_fp_denorm_src 0
		.amdhsa_exception_fp_ieee_div_zero 0
		.amdhsa_exception_fp_ieee_overflow 0
		.amdhsa_exception_fp_ieee_underflow 0
		.amdhsa_exception_fp_ieee_inexact 0
		.amdhsa_exception_int_div_zero 0
	.end_amdhsa_kernel
	.section	.text._ZL9mul_mat_fIfLi64ELi3ELi2ELb1EEvPKT_PKfPKiPfiiiiiiiiiiiiiiii,"axG",@progbits,_ZL9mul_mat_fIfLi64ELi3ELi2ELb1EEvPKT_PKfPKiPfiiiiiiiiiiiiiiii,comdat
.Lfunc_end79:
	.size	_ZL9mul_mat_fIfLi64ELi3ELi2ELb1EEvPKT_PKfPKiPfiiiiiiiiiiiiiiii, .Lfunc_end79-_ZL9mul_mat_fIfLi64ELi3ELi2ELb1EEvPKT_PKfPKiPfiiiiiiiiiiiiiiii
                                        ; -- End function
	.set _ZL9mul_mat_fIfLi64ELi3ELi2ELb1EEvPKT_PKfPKiPfiiiiiiiiiiiiiiii.num_vgpr, 89
	.set _ZL9mul_mat_fIfLi64ELi3ELi2ELb1EEvPKT_PKfPKiPfiiiiiiiiiiiiiiii.num_agpr, 16
	.set _ZL9mul_mat_fIfLi64ELi3ELi2ELb1EEvPKT_PKfPKiPfiiiiiiiiiiiiiiii.numbered_sgpr, 93
	.set _ZL9mul_mat_fIfLi64ELi3ELi2ELb1EEvPKT_PKfPKiPfiiiiiiiiiiiiiiii.num_named_barrier, 0
	.set _ZL9mul_mat_fIfLi64ELi3ELi2ELb1EEvPKT_PKfPKiPfiiiiiiiiiiiiiiii.private_seg_size, 0
	.set _ZL9mul_mat_fIfLi64ELi3ELi2ELb1EEvPKT_PKfPKiPfiiiiiiiiiiiiiiii.uses_vcc, 1
	.set _ZL9mul_mat_fIfLi64ELi3ELi2ELb1EEvPKT_PKfPKiPfiiiiiiiiiiiiiiii.uses_flat_scratch, 0
	.set _ZL9mul_mat_fIfLi64ELi3ELi2ELb1EEvPKT_PKfPKiPfiiiiiiiiiiiiiiii.has_dyn_sized_stack, 0
	.set _ZL9mul_mat_fIfLi64ELi3ELi2ELb1EEvPKT_PKfPKiPfiiiiiiiiiiiiiiii.has_recursion, 0
	.set _ZL9mul_mat_fIfLi64ELi3ELi2ELb1EEvPKT_PKfPKiPfiiiiiiiiiiiiiiii.has_indirect_call, 0
	.section	.AMDGPU.csdata,"",@progbits
; Kernel info:
; codeLenInByte = 6304
; TotalNumSgprs: 99
; NumVgprs: 89
; NumAgprs: 16
; TotalNumVgprs: 108
; ScratchSize: 0
; MemoryBound: 0
; FloatMode: 240
; IeeeMode: 1
; LDSByteSize: 256 bytes/workgroup (compile time only)
; SGPRBlocks: 12
; VGPRBlocks: 13
; NumSGPRsForWavesPerEU: 99
; NumVGPRsForWavesPerEU: 108
; AccumOffset: 92
; Occupancy: 4
; WaveLimiterHint : 0
; COMPUTE_PGM_RSRC2:SCRATCH_EN: 0
; COMPUTE_PGM_RSRC2:USER_SGPR: 2
; COMPUTE_PGM_RSRC2:TRAP_HANDLER: 0
; COMPUTE_PGM_RSRC2:TGID_X_EN: 1
; COMPUTE_PGM_RSRC2:TGID_Y_EN: 1
; COMPUTE_PGM_RSRC2:TGID_Z_EN: 1
; COMPUTE_PGM_RSRC2:TIDIG_COMP_CNT: 2
; COMPUTE_PGM_RSRC3_GFX90A:ACCUM_OFFSET: 22
; COMPUTE_PGM_RSRC3_GFX90A:TG_SPLIT: 0
	.section	.text._ZL9mul_mat_fIfLi64ELi3ELi2ELb0EEvPKT_PKfPKiPfiiiiiiiiiiiiiiii,"axG",@progbits,_ZL9mul_mat_fIfLi64ELi3ELi2ELb0EEvPKT_PKfPKiPfiiiiiiiiiiiiiiii,comdat
	.globl	_ZL9mul_mat_fIfLi64ELi3ELi2ELb0EEvPKT_PKfPKiPfiiiiiiiiiiiiiiii ; -- Begin function _ZL9mul_mat_fIfLi64ELi3ELi2ELb0EEvPKT_PKfPKiPfiiiiiiiiiiiiiiii
	.p2align	8
	.type	_ZL9mul_mat_fIfLi64ELi3ELi2ELb0EEvPKT_PKfPKiPfiiiiiiiiiiiiiiii,@function
_ZL9mul_mat_fIfLi64ELi3ELi2ELb0EEvPKT_PKfPKiPfiiiiiiiiiiiiiiii: ; @_ZL9mul_mat_fIfLi64ELi3ELi2ELb0EEvPKT_PKfPKiPfiiiiiiiiiiiiiiii
; %bb.0:
	s_load_dword s5, s[0:1], 0x20
	s_load_dwordx4 s[16:19], s[0:1], 0x2c
	v_bfe_u32 v78, v0, 10, 10
	v_lshlrev_b32_e32 v80, 6, v78
	v_and_b32_e32 v79, 0x3ff, v0
	v_add_u32_e32 v82, v80, v79
	s_waitcnt lgkmcnt(0)
	s_ashr_i32 s19, s4, 31
	v_cmp_le_i32_e32 vcc, s5, v82
	v_and_b32_e32 v81, 15, v79
	s_and_saveexec_b64 s[6:7], vcc
	s_xor_b64 s[6:7], exec, s[6:7]
; %bb.1:
	v_and_b32_e32 v81, 15, v79
                                        ; implicit-def: $vgpr82
; %bb.2:
	s_or_saveexec_b64 s[24:25], s[6:7]
	s_load_dwordx8 s[8:15], s[0:1], 0x40
	s_load_dwordx2 s[6:7], s[0:1], 0x18
	s_lshl_b32 s2, s2, 6
	v_mov_b32_e32 v1, 0
	v_accvgpr_write_b32 a0, 0
	v_accvgpr_write_b32 a1, 0
	;; [unrolled: 1-line block ×16, first 2 shown]
	s_xor_b64 exec, exec, s[24:25]
	s_cbranch_execz .LBB80_6
; %bb.3:
	s_waitcnt lgkmcnt(0)
	s_abs_i32 s26, s8
	v_cvt_f32_u32_e32 v0, s26
	s_abs_i32 s27, s12
	v_cvt_f32_u32_e32 v2, s27
	s_sub_i32 s20, 0, s26
	v_rcp_iflag_f32_e32 v0, v0
	s_abs_i32 s28, s3
	v_rcp_iflag_f32_e32 v2, v2
	s_sub_i32 s21, 0, s27
	v_mul_f32_e32 v0, 0x4f7ffffe, v0
	v_cvt_u32_f32_e32 v0, v0
	v_mul_f32_e32 v2, 0x4f7ffffe, v2
	v_cvt_u32_f32_e32 v2, v2
	s_abs_i32 s29, s4
	v_mul_lo_u32 v3, s20, v0
	v_mul_hi_u32 v3, v0, v3
	v_add_u32_e32 v0, v0, v3
	v_mul_hi_u32 v0, s28, v0
	v_mul_lo_u32 v4, s21, v2
	v_mul_lo_u32 v3, v0, s26
	v_mul_hi_u32 v4, v2, v4
	v_sub_u32_e32 v3, s28, v3
	v_add_u32_e32 v2, v2, v4
	v_subrev_u32_e32 v5, s26, v3
	v_cmp_le_u32_e32 vcc, s26, v3
	v_mul_hi_u32 v2, s29, v2
	v_add_u32_e32 v4, 1, v0
	v_cndmask_b32_e32 v3, v3, v5, vcc
	v_cndmask_b32_e32 v0, v0, v4, vcc
	v_cmp_le_u32_e32 vcc, s26, v3
	v_mul_lo_u32 v3, v2, s27
	s_load_dwordx4 s[20:23], s[0:1], 0x0
	s_ashr_i32 s0, s3, 31
	s_ashr_i32 s1, s8, 31
	v_add_u32_e32 v4, 1, v0
	v_sub_u32_e32 v3, s29, v3
	s_xor_b32 s0, s0, s1
	v_cndmask_b32_e32 v0, v0, v4, vcc
	v_add_u32_e32 v4, 1, v2
	v_subrev_u32_e32 v5, s27, v3
	v_cmp_le_u32_e32 vcc, s27, v3
	v_xor_b32_e32 v0, s0, v0
	s_ashr_i32 s8, s12, 31
	v_cndmask_b32_e32 v2, v2, v4, vcc
	v_cndmask_b32_e32 v3, v3, v5, vcc
	v_subrev_u32_e32 v0, s0, v0
	v_add_u32_e32 v4, 1, v2
	v_cmp_le_u32_e32 vcc, s27, v3
	s_xor_b32 s0, s19, s8
	s_mul_i32 s8, s14, s4
	v_cndmask_b32_e32 v2, v2, v4, vcc
	v_mul_lo_u32 v4, v0, s9
	s_mul_hi_i32 s9, s14, s4
	v_xor_b32_e32 v2, s0, v2
	s_lshl_b64 s[8:9], s[8:9], 2
	v_subrev_u32_e32 v2, s0, v2
	s_mul_i32 s0, s16, s2
	s_mul_i32 s26, s10, s3
	s_waitcnt lgkmcnt(0)
	s_add_u32 s10, s22, s8
	s_addc_u32 s14, s23, s9
	s_ashr_i32 s1, s0, 31
	s_ashr_i32 s27, s26, 31
	v_mul_hi_i32 v3, v2, s13
	v_mul_lo_u32 v2, v2, s13
	s_lshl_b64 s[12:13], s[0:1], 2
	s_lshl_b64 s[26:27], s[26:27], 2
	s_add_u32 s0, s10, s26
	s_addc_u32 s1, s14, s27
	s_movk_i32 s10, 0x1080
	s_ashr_i32 s69, s16, 31
	s_mov_b32 s68, s16
	s_ashr_i32 s71, s17, 31
	s_mov_b32 s70, s17
	v_ashrrev_i32_e32 v5, 31, v4
	v_lshlrev_b64 v[8:9], 2, v[2:3]
	v_mad_u32_u24 v6, v78, s10, 0
	s_add_i32 s10, s16, s16
	s_add_i32 s14, s17, s17
	s_lshl_b32 s19, s16, 2
	s_lshl_b32 s31, s16, 3
	;; [unrolled: 1-line block ×4, first 2 shown]
	s_lshl_b64 s[72:73], s[68:69], 2
	s_lshl_b64 s[74:75], s[70:71], 2
	v_lshl_add_u64 v[2:3], s[20:21], 0, v[8:9]
	v_lshlrev_b64 v[4:5], 2, v[4:5]
	v_lshrrev_b32_e32 v10, 1, v79
	s_add_u32 s76, s22, s26
	v_lshl_add_u64 v[2:3], v[2:3], 0, v[4:5]
	v_lshlrev_b32_e32 v0, 2, v79
	v_mul_u32_u24_e32 v7, 0x108, v81
	v_and_b32_e32 v10, 0x1f8, v10
	s_addc_u32 s77, s23, s27
	v_lshl_add_u64 v[4:5], s[20:21], 0, v[4:5]
	v_lshlrev_b32_e32 v14, 8, v78
	v_mov_b32_e32 v15, v1
	v_add_u32_e32 v83, v6, v0
	v_add3_u32 v84, v6, v7, v10
	v_lshl_add_u64 v[10:11], v[4:5], 0, s[12:13]
	v_lshl_add_u64 v[6:7], s[8:9], 0, v[14:15]
	s_add_u32 s8, s76, s74
	v_lshl_add_u64 v[12:13], v[10:11], 0, s[72:73]
	s_addc_u32 s9, s77, s75
	v_lshl_add_u64 v[14:15], v[8:9], 0, v[14:15]
	v_lshl_add_u64 v[2:3], v[2:3], 0, s[12:13]
	s_mul_i32 s17, s16, 3
	s_mul_i32 s28, s16, 5
	;; [unrolled: 1-line block ×49, first 2 shown]
	v_lshl_add_u64 v[4:5], s[8:9], 0, v[6:7]
	s_mul_i32 s74, s16, 56
	s_mul_i32 s75, s16, 57
	v_lshl_add_u64 v[6:7], s[76:77], 0, v[6:7]
	s_mul_i32 s76, s16, 58
	s_mul_i32 s77, s16, 59
	v_accvgpr_write_b32 a15, 0
	v_accvgpr_write_b32 a14, 0
	;; [unrolled: 1-line block ×16, first 2 shown]
	v_lshl_add_u64 v[8:9], v[12:13], 0, v[14:15]
	v_lshl_add_u64 v[10:11], v[10:11], 0, v[14:15]
	s_mul_i32 s78, s16, 60
	s_mul_i32 s79, s16, 61
	;; [unrolled: 1-line block ×4, first 2 shown]
	s_mov_b64 s[8:9], 0
	s_mov_b64 s[12:13], 0x200
.LBB80_4:                               ; =>This Inner Loop Header: Depth=1
	v_add_u32_e32 v46, s10, v82
	v_add_u32_e32 v50, s17, v82
	;; [unrolled: 1-line block ×9, first 2 shown]
	v_lshl_add_u64 v[52:53], v[10:11], 0, v[0:1]
	v_add_u32_e32 v48, s28, v82
	v_add_u32_e32 v44, s30, v82
	;; [unrolled: 1-line block ×9, first 2 shown]
	v_lshl_add_u64 v[90:91], v[6:7], 0, v[0:1]
	v_ashrrev_i32_e32 v47, 31, v46
	v_ashrrev_i32_e32 v51, 31, v50
	;; [unrolled: 1-line block ×9, first 2 shown]
	v_lshl_add_u64 v[54:55], v[8:9], 0, v[0:1]
	v_add_u32_e32 v12, s44, v82
	v_add_u32_e32 v22, s45, v82
	v_lshl_add_u64 v[92:93], v[4:5], 0, v[0:1]
	global_load_dword v87, v[52:53], off
	global_load_dword v88, v[54:55], off
	;; [unrolled: 1-line block ×4, first 2 shown]
	v_lshl_add_u64 v[46:47], v[46:47], 2, v[2:3]
	v_lshl_add_u64 v[90:91], v[50:51], 2, v[2:3]
	v_ashrrev_i32_e32 v49, 31, v48
	v_lshl_add_u64 v[42:43], v[42:43], 2, v[2:3]
	v_ashrrev_i32_e32 v45, 31, v44
	;; [unrolled: 2-line block ×5, first 2 shown]
	v_lshl_add_u64 v[20:21], v[20:21], 2, v[2:3]
	v_lshl_add_u64 v[14:15], v[14:15], 2, v[2:3]
	;; [unrolled: 1-line block ×3, first 2 shown]
	v_ashrrev_i32_e32 v19, 31, v18
	v_ashrrev_i32_e32 v29, 31, v28
	;; [unrolled: 1-line block ×4, first 2 shown]
	v_add_u32_e32 v68, s46, v82
	v_add_u32_e32 v76, s47, v82
	global_load_dword v50, v[46:47], off
	global_load_dword v51, v[90:91], off
	v_lshl_add_u64 v[90:91], v[48:49], 2, v[2:3]
	global_load_dword v48, v[42:43], off
	global_load_dword v49, v[90:91], off
	v_lshl_add_u64 v[44:45], v[44:45], 2, v[2:3]
	global_load_dword v38, v[38:39], off
	s_nop 0
	global_load_dword v39, v[44:45], off
	v_lshl_add_u64 v[40:41], v[40:41], 2, v[2:3]
	global_load_dword v34, v[34:35], off
	s_nop 0
	;; [unrolled: 4-line block ×4, first 2 shown]
	global_load_dword v21, v[32:33], off
	s_nop 0
	global_load_dword v14, v[14:15], off
	s_nop 0
	global_load_dword v15, v[24:25], off
	v_lshl_add_u64 v[18:19], v[18:19], 2, v[2:3]
	v_lshl_add_u64 v[24:25], v[28:29], 2, v[2:3]
	;; [unrolled: 1-line block ×4, first 2 shown]
	v_ashrrev_i32_e32 v13, 31, v12
	v_ashrrev_i32_e32 v23, 31, v22
	v_add_u32_e32 v64, s48, v82
	v_add_u32_e32 v74, s49, v82
	global_load_dword v18, v[18:19], off
	s_nop 0
	global_load_dword v19, v[24:25], off
	s_nop 0
	global_load_dword v24, v[16:17], off
	global_load_dword v25, v[26:27], off
	v_lshl_add_u64 v[12:13], v[12:13], 2, v[2:3]
	v_lshl_add_u64 v[26:27], v[22:23], 2, v[2:3]
	v_ashrrev_i32_e32 v69, 31, v68
	v_ashrrev_i32_e32 v77, 31, v76
	v_add_u32_e32 v62, s50, v82
	v_add_u32_e32 v72, s51, v82
	global_load_dword v22, v[12:13], off
	global_load_dword v23, v[26:27], off
	v_lshl_add_u64 v[26:27], v[68:69], 2, v[2:3]
	v_lshl_add_u64 v[28:29], v[76:77], 2, v[2:3]
	v_ashrrev_i32_e32 v65, 31, v64
	v_ashrrev_i32_e32 v75, 31, v74
	v_add_u32_e32 v60, s52, v82
	v_add_u32_e32 v70, s53, v82
	global_load_dword v26, v[26:27], off
	s_nop 0
	global_load_dword v27, v[28:29], off
	v_lshl_add_u64 v[28:29], v[64:65], 2, v[2:3]
	v_lshl_add_u64 v[32:33], v[74:75], 2, v[2:3]
	v_ashrrev_i32_e32 v63, 31, v62
	v_ashrrev_i32_e32 v73, 31, v72
	v_add_u32_e32 v58, s54, v82
	v_add_u32_e32 v66, s55, v82
	global_load_dword v28, v[28:29], off
	s_nop 0
	global_load_dword v29, v[32:33], off
	v_lshl_add_u64 v[32:33], v[62:63], 2, v[2:3]
	v_lshl_add_u64 v[36:37], v[72:73], 2, v[2:3]
	v_ashrrev_i32_e32 v61, 31, v60
	v_ashrrev_i32_e32 v71, 31, v70
	v_add_u32_e32 v56, s56, v82
	v_add_u32_e32 v54, s57, v82
	;; [unrolled: 1-line block ×3, first 2 shown]
	global_load_dword v32, v[32:33], off
	s_nop 0
	global_load_dword v33, v[36:37], off
	v_lshl_add_u64 v[36:37], v[60:61], 2, v[2:3]
	v_lshl_add_u64 v[40:41], v[70:71], 2, v[2:3]
	v_ashrrev_i32_e32 v59, 31, v58
	v_ashrrev_i32_e32 v67, 31, v66
	v_add_u32_e32 v46, s59, v82
	v_add_u32_e32 v42, s60, v82
	;; [unrolled: 1-line block ×3, first 2 shown]
	global_load_dword v36, v[36:37], off
	s_nop 0
	global_load_dword v37, v[40:41], off
	v_lshl_add_u64 v[40:41], v[58:59], 2, v[2:3]
	v_lshl_add_u64 v[44:45], v[66:67], 2, v[2:3]
	v_ashrrev_i32_e32 v57, 31, v56
	v_ashrrev_i32_e32 v55, 31, v54
	v_ashrrev_i32_e32 v53, 31, v52
	v_add_u32_e32 v92, s62, v82
	v_add_u32_e32 v94, s63, v82
	global_load_dword v40, v[40:41], off
	s_nop 0
	global_load_dword v41, v[44:45], off
	v_lshl_add_u64 v[44:45], v[56:57], 2, v[2:3]
	v_lshl_add_u64 v[54:55], v[54:55], 2, v[2:3]
	v_ashrrev_i32_e32 v47, 31, v46
	v_lshl_add_u64 v[52:53], v[52:53], 2, v[2:3]
	v_ashrrev_i32_e32 v43, 31, v42
	v_ashrrev_i32_e32 v91, 31, v90
	v_add_u32_e32 v96, s64, v82
	v_add_u32_e32 v98, s65, v82
	global_load_dword v44, v[44:45], off
	s_nop 0
	global_load_dword v45, v[54:55], off
	v_lshl_add_u64 v[54:55], v[46:47], 2, v[2:3]
	global_load_dword v46, v[52:53], off
	global_load_dword v47, v[54:55], off
	v_lshl_add_u64 v[42:43], v[42:43], 2, v[2:3]
	v_lshl_add_u64 v[52:53], v[90:91], 2, v[2:3]
	v_ashrrev_i32_e32 v93, 31, v92
	v_ashrrev_i32_e32 v95, 31, v94
	v_add_u32_e32 v100, s66, v82
	v_add_u32_e32 v16, s67, v82
	;; [unrolled: 1-line block ×6, first 2 shown]
	global_load_dword v42, v[42:43], off
	s_nop 0
	global_load_dword v43, v[52:53], off
	v_lshl_add_u64 v[52:53], v[92:93], 2, v[2:3]
	v_lshl_add_u64 v[54:55], v[94:95], 2, v[2:3]
	v_ashrrev_i32_e32 v97, 31, v96
	v_ashrrev_i32_e32 v99, 31, v98
	v_add_u32_e32 v62, s21, v82
	v_add_u32_e32 v58, s27, v82
	;; [unrolled: 1-line block ×4, first 2 shown]
	global_load_dword v52, v[52:53], off
	s_nop 0
	global_load_dword v53, v[54:55], off
	v_lshl_add_u64 v[54:55], v[96:97], 2, v[2:3]
	v_lshl_add_u64 v[56:57], v[98:99], 2, v[2:3]
	v_ashrrev_i32_e32 v101, 31, v100
	v_ashrrev_i32_e32 v17, 31, v16
	;; [unrolled: 1-line block ×6, first 2 shown]
	v_add_u32_e32 v72, s70, v82
	v_add_u32_e32 v74, s71, v82
	global_load_dword v54, v[54:55], off
	s_nop 0
	global_load_dword v55, v[56:57], off
	v_lshl_add_u64 v[56:57], v[100:101], 2, v[2:3]
	v_lshl_add_u64 v[16:17], v[16:17], 2, v[2:3]
	;; [unrolled: 1-line block ×4, first 2 shown]
	v_ashrrev_i32_e32 v63, 31, v62
	v_lshl_add_u64 v[64:65], v[64:65], 2, v[2:3]
	v_ashrrev_i32_e32 v59, 31, v58
	v_lshl_add_u64 v[60:61], v[60:61], 2, v[2:3]
	v_ashrrev_i32_e32 v67, 31, v66
	v_ashrrev_i32_e32 v71, 31, v70
	v_add_u32_e32 v76, s72, v82
	global_load_dword v56, v[56:57], off
	s_nop 0
	global_load_dword v57, v[16:17], off
	v_add_u32_e32 v16, s73, v82
	global_load_dword v89, v[12:13], off
	s_nop 0
	global_load_dword v68, v[68:69], off
	v_lshl_add_u64 v[62:63], v[62:63], 2, v[2:3]
	global_load_dword v69, v[64:65], off
	global_load_dword v90, v[62:63], off
	v_lshl_add_u64 v[58:59], v[58:59], 2, v[2:3]
	global_load_dword v91, v[60:61], off
	global_load_dword v92, v[58:59], off
	v_lshl_add_u64 v[60:61], v[66:67], 2, v[2:3]
	v_lshl_add_u64 v[64:65], v[70:71], 2, v[2:3]
	v_ashrrev_i32_e32 v73, 31, v72
	v_ashrrev_i32_e32 v75, 31, v74
	global_load_dword v70, v[60:61], off
	global_load_dword v71, v[64:65], off
	v_lshl_add_u64 v[64:65], v[72:73], 2, v[2:3]
	v_lshl_add_u64 v[66:67], v[74:75], 2, v[2:3]
	v_ashrrev_i32_e32 v77, 31, v76
	v_ashrrev_i32_e32 v17, 31, v16
	v_add_u32_e32 v12, s74, v82
	v_add_u32_e32 v58, s76, v82
	;; [unrolled: 1-line block ×3, first 2 shown]
	global_load_dword v72, v[64:65], off
	global_load_dword v73, v[66:67], off
	v_lshl_add_u64 v[66:67], v[76:77], 2, v[2:3]
	v_lshl_add_u64 v[16:17], v[16:17], 2, v[2:3]
	v_add_u32_e32 v62, s75, v82
	v_add_u32_e32 v64, s78, v82
	global_load_dword v66, v[66:67], off
	s_nop 0
	global_load_dword v67, v[16:17], off
	v_add_u32_e32 v16, s79, v82
	v_ashrrev_i32_e32 v13, 31, v12
	v_ashrrev_i32_e32 v59, 31, v58
	;; [unrolled: 1-line block ×4, first 2 shown]
	v_lshl_add_u64 v[12:13], v[12:13], 2, v[2:3]
	v_lshl_add_u64 v[58:59], v[58:59], 2, v[2:3]
	;; [unrolled: 1-line block ×3, first 2 shown]
	v_ashrrev_i32_e32 v65, 31, v64
	v_ashrrev_i32_e32 v17, 31, v16
	v_lshl_add_u64 v[62:63], v[62:63], 2, v[2:3]
	global_load_dword v74, v[12:13], off
	global_load_dword v75, v[62:63], off
	v_add_u32_e32 v12, s80, v82
	global_load_dword v76, v[58:59], off
	global_load_dword v77, v[60:61], off
	v_lshl_add_u64 v[60:61], v[64:65], 2, v[2:3]
	v_lshl_add_u64 v[16:17], v[16:17], 2, v[2:3]
	v_add_u32_e32 v58, s16, v82
	global_load_dword v93, v[60:61], off
	global_load_dword v94, v[16:17], off
	v_add_u32_e32 v16, s14, v82
	v_ashrrev_i32_e32 v13, 31, v12
	v_ashrrev_i32_e32 v59, 31, v58
	;; [unrolled: 1-line block ×3, first 2 shown]
	v_lshl_add_u64 v[12:13], v[12:13], 2, v[2:3]
	v_lshl_add_u64 v[58:59], v[58:59], 2, v[2:3]
	;; [unrolled: 1-line block ×3, first 2 shown]
	global_load_dword v95, v[12:13], off
	global_load_dword v96, v[58:59], off
	global_load_dword v97, v[16:17], off
	s_waitcnt vmcnt(62)
	ds_write_b32 v83, v87
	ds_write_b32 v83, v88 offset:264
	ds_write_b32 v83, v50 offset:528
	s_waitcnt vmcnt(61)
	ds_write_b32 v83, v51 offset:792
	s_waitcnt vmcnt(60)
	ds_write_b32 v83, v48 offset:1056
	s_waitcnt vmcnt(59)
	ds_write_b32 v83, v49 offset:1320
	s_waitcnt vmcnt(58)
	ds_write_b32 v83, v38 offset:1584
	s_waitcnt vmcnt(57)
	ds_write_b32 v83, v39 offset:1848
	s_waitcnt vmcnt(56)
	ds_write_b32 v83, v34 offset:2112
	s_waitcnt vmcnt(55)
	ds_write_b32 v83, v35 offset:2376
	s_waitcnt vmcnt(54)
	ds_write_b32 v83, v30 offset:2640
	s_waitcnt vmcnt(53)
	ds_write_b32 v83, v31 offset:2904
	s_waitcnt vmcnt(52)
	ds_write_b32 v83, v20 offset:3168
	s_waitcnt vmcnt(51)
	ds_write_b32 v83, v21 offset:3432
	s_waitcnt vmcnt(50)
	ds_write_b32 v83, v14 offset:3696
	s_waitcnt vmcnt(49)
	ds_write_b32 v83, v15 offset:3960
	ds_read_b64 v[38:39], v84
	ds_read_b64 v[48:49], v84 offset:32
	ds_read_b64 v[50:51], v84 offset:64
	ds_read_b64 v[34:35], v84 offset:96
	ds_read_b64 v[30:31], v84 offset:128
	ds_read_b64 v[20:21], v84 offset:160
	ds_read_b64 v[16:17], v84 offset:192
	ds_read_b64 v[12:13], v84 offset:224
	s_waitcnt vmcnt(48)
	ds_write_b32 v83, v18
	s_waitcnt vmcnt(47)
	ds_write_b32 v83, v19 offset:264
	s_waitcnt vmcnt(46)
	ds_write_b32 v83, v24 offset:528
	s_waitcnt vmcnt(45)
	ds_write_b32 v83, v25 offset:792
	s_waitcnt vmcnt(44)
	ds_write_b32 v83, v22 offset:1056
	s_waitcnt vmcnt(43)
	ds_write_b32 v83, v23 offset:1320
	s_waitcnt vmcnt(42)
	ds_write_b32 v83, v26 offset:1584
	s_waitcnt vmcnt(41)
	ds_write_b32 v83, v27 offset:1848
	s_waitcnt vmcnt(40)
	ds_write_b32 v83, v28 offset:2112
	s_waitcnt vmcnt(39)
	ds_write_b32 v83, v29 offset:2376
	s_waitcnt vmcnt(38)
	ds_write_b32 v83, v32 offset:2640
	s_waitcnt vmcnt(37)
	ds_write_b32 v83, v33 offset:2904
	s_waitcnt vmcnt(36)
	ds_write_b32 v83, v36 offset:3168
	s_waitcnt vmcnt(35)
	ds_write_b32 v83, v37 offset:3432
	s_waitcnt vmcnt(34)
	ds_write_b32 v83, v40 offset:3696
	s_waitcnt vmcnt(33)
	ds_write_b32 v83, v41 offset:3960
	ds_read_b64 v[40:41], v84
	ds_read_b64 v[58:59], v84 offset:32
	ds_read_b64 v[60:61], v84 offset:64
	ds_read_b64 v[62:63], v84 offset:96
	ds_read_b64 v[64:65], v84 offset:128
	ds_read_b64 v[26:27], v84 offset:160
	ds_read_b64 v[22:23], v84 offset:192
	ds_read_b64 v[14:15], v84 offset:224
	s_waitcnt vmcnt(32)
	ds_write_b32 v83, v44
	s_waitcnt vmcnt(31)
	ds_write_b32 v83, v45 offset:264
	s_waitcnt vmcnt(30)
	;; [unrolled: 40-line block ×3, first 2 shown]
	ds_write_b32 v83, v70 offset:528
	s_waitcnt vmcnt(13)
	ds_write_b32 v83, v71 offset:792
	s_waitcnt vmcnt(12)
	;; [unrolled: 2-line block ×13, first 2 shown]
	ds_write_b32 v83, v96 offset:3960
	ds_read_b64 v[56:57], v84
	ds_read_b64 v[66:67], v84 offset:32
	ds_read_b64 v[68:69], v84 offset:64
	ds_read_b64 v[70:71], v84 offset:96
	ds_read_b64 v[72:73], v84 offset:128
	ds_read_b64 v[74:75], v84 offset:160
	ds_read_b64 v[36:37], v84 offset:192
	ds_read_b64 v[24:25], v84 offset:224
	ds_write_b32 v83, v85
	ds_write_b32 v83, v86 offset:264
	s_waitcnt vmcnt(0)
	ds_write_b32 v83, v97 offset:528
	ds_write_b32 v83, v1 offset:792
	;; [unrolled: 1-line block ×14, first 2 shown]
	ds_read_b64 v[76:77], v84
	s_waitcnt lgkmcnt(0)
	v_mfma_f32_16x16x4_f32 a[12:15], v38, v76, a[12:15]
	v_add_u32_e32 v82, 0x80, v82
	v_cmp_le_i32_e32 vcc, s5, v82
	v_lshl_add_u64 v[8:9], v[8:9], 0, s[12:13]
	v_lshl_add_u64 v[10:11], v[10:11], 0, s[12:13]
	;; [unrolled: 1-line block ×3, first 2 shown]
	s_or_b64 s[8:9], vcc, s[8:9]
	v_lshl_add_u64 v[6:7], v[6:7], 0, s[12:13]
	v_mfma_f32_16x16x4_f32 a[8:11], v40, v76, a[8:11]
	v_mfma_f32_16x16x4_f32 a[4:7], v42, v76, a[4:7]
	;; [unrolled: 1-line block ×4, first 2 shown]
	ds_read_b64 v[38:39], v84 offset:32
	v_mfma_f32_16x16x4_f32 a[8:11], v41, v77, a[8:11]
	v_mfma_f32_16x16x4_f32 a[4:7], v43, v77, a[4:7]
	;; [unrolled: 1-line block ×3, first 2 shown]
	s_waitcnt lgkmcnt(0)
	v_mfma_f32_16x16x4_f32 a[12:15], v48, v38, a[12:15]
	v_mfma_f32_16x16x4_f32 a[8:11], v58, v38, a[8:11]
	;; [unrolled: 1-line block ×8, first 2 shown]
	ds_read_b64 v[38:39], v84 offset:64
	s_waitcnt lgkmcnt(0)
	v_mfma_f32_16x16x4_f32 a[12:15], v50, v38, a[12:15]
	v_mfma_f32_16x16x4_f32 a[8:11], v60, v38, a[8:11]
	v_mfma_f32_16x16x4_f32 a[4:7], v46, v38, a[4:7]
	v_mfma_f32_16x16x4_f32 a[0:3], v68, v38, a[0:3]
	v_mfma_f32_16x16x4_f32 a[12:15], v51, v39, a[12:15]
	v_mfma_f32_16x16x4_f32 a[8:11], v61, v39, a[8:11]
	v_mfma_f32_16x16x4_f32 a[4:7], v47, v39, a[4:7]
	v_mfma_f32_16x16x4_f32 a[0:3], v69, v39, a[0:3]
	ds_read_b64 v[38:39], v84 offset:96
	s_waitcnt lgkmcnt(0)
	v_mfma_f32_16x16x4_f32 a[12:15], v34, v38, a[12:15]
	v_mfma_f32_16x16x4_f32 a[8:11], v62, v38, a[8:11]
	v_mfma_f32_16x16x4_f32 a[4:7], v52, v38, a[4:7]
	v_mfma_f32_16x16x4_f32 a[0:3], v70, v38, a[0:3]
	v_mfma_f32_16x16x4_f32 a[12:15], v35, v39, a[12:15]
	ds_read_b64 v[34:35], v84 offset:128
	v_mfma_f32_16x16x4_f32 a[8:11], v63, v39, a[8:11]
	v_mfma_f32_16x16x4_f32 a[4:7], v53, v39, a[4:7]
	v_mfma_f32_16x16x4_f32 a[0:3], v71, v39, a[0:3]
	s_waitcnt lgkmcnt(0)
	v_mfma_f32_16x16x4_f32 a[12:15], v30, v34, a[12:15]
	v_mfma_f32_16x16x4_f32 a[8:11], v64, v34, a[8:11]
	v_mfma_f32_16x16x4_f32 a[4:7], v54, v34, a[4:7]
	v_mfma_f32_16x16x4_f32 a[0:3], v72, v34, a[0:3]
	v_mfma_f32_16x16x4_f32 a[12:15], v31, v35, a[12:15]
	ds_read_b64 v[30:31], v84 offset:160
	v_mfma_f32_16x16x4_f32 a[8:11], v65, v35, a[8:11]
	v_mfma_f32_16x16x4_f32 a[4:7], v55, v35, a[4:7]
	v_mfma_f32_16x16x4_f32 a[0:3], v73, v35, a[0:3]
	;; [unrolled: 10-line block ×4, first 2 shown]
	s_waitcnt lgkmcnt(0)
	v_mfma_f32_16x16x4_f32 a[12:15], v12, v16, a[12:15]
	v_mfma_f32_16x16x4_f32 a[8:11], v14, v16, a[8:11]
	;; [unrolled: 1-line block ×8, first 2 shown]
	s_andn2_b64 exec, exec, s[8:9]
	s_cbranch_execnz .LBB80_4
; %bb.5:
	s_or_b64 exec, exec, s[8:9]
.LBB80_6:
	s_or_b64 exec, exec, s[24:25]
	v_lshl_add_u32 v0, v80, 2, 0
	v_mul_u32_u24_e32 v1, 0x208, v81
	v_and_b32_e32 v2, 0x3f0, v79
	v_add3_u32 v0, v0, v1, v2
	v_accvgpr_read_b32 v1, a13
	v_accvgpr_read_b32 v2, a12
	s_waitcnt lgkmcnt(0)
	s_barrier
	ds_write2_b32 v0, v2, v1 offset1:1
	v_accvgpr_read_b32 v1, a15
	v_accvgpr_read_b32 v2, a14
	ds_write2_b32 v0, v2, v1 offset0:2 offset1:3
	v_accvgpr_read_b32 v1, a9
	v_accvgpr_read_b32 v2, a8
	ds_write2_b32 v0, v2, v1 offset0:16 offset1:17
	;; [unrolled: 3-line block ×3, first 2 shown]
	v_accvgpr_read_b32 v1, a5
	v_accvgpr_read_b32 v2, a4
	s_mul_hi_i32 s1, s15, s4
	s_mul_i32 s0, s15, s4
	ds_write2_b32 v0, v2, v1 offset0:32 offset1:33
	v_accvgpr_read_b32 v1, a7
	v_accvgpr_read_b32 v2, a6
	s_lshl_b64 s[0:1], s[0:1], 2
	ds_write2_b32 v0, v2, v1 offset0:34 offset1:35
	v_accvgpr_read_b32 v1, a1
	v_accvgpr_read_b32 v2, a0
	s_mul_i32 s4, s11, s3
	s_add_u32 s3, s6, s0
	s_movk_i32 s0, 0x208
	ds_write2_b32 v0, v2, v1 offset0:48 offset1:49
	v_accvgpr_read_b32 v1, a3
	v_accvgpr_read_b32 v2, a2
	v_lshl_add_u32 v3, v79, 2, 0
	ds_write2_b32 v0, v2, v1 offset0:50 offset1:51
	v_mad_u32_u24 v0, v78, s0, v3
	s_waitcnt lgkmcnt(0)
	s_barrier
	ds_read2st64_b32 v[0:1], v0 offset1:1
	s_addc_u32 s6, s7, s1
	s_ashr_i32 s5, s4, 31
	s_lshl_b64 s[0:1], s[4:5], 2
	v_add_u32_e32 v2, s2, v79
	s_waitcnt lgkmcnt(0)
	v_add_f32_e32 v0, 0, v0
	s_add_u32 s0, s3, s0
	v_add_f32_e32 v6, v0, v1
	v_mad_u64_u32 v[0:1], s[2:3], v78, s18, v[2:3]
	s_addc_u32 s1, s6, s1
	v_mov_b32_e32 v1, 0
	v_lshl_add_u64 v[4:5], v[0:1], 2, s[0:1]
	v_cmp_eq_u32_e32 vcc, 0, v78
	global_store_dword v[4:5], v6, off
	s_and_saveexec_b64 s[2:3], vcc
	s_cbranch_execz .LBB80_8
; %bb.7:
	v_add_u32_e32 v0, 16, v3
	ds_read2st64_b32 v[4:5], v0 offset0:4 offset1:5
	v_lshl_add_u32 v0, s18, 1, v2
	v_lshl_add_u64 v[0:1], v[0:1], 2, s[0:1]
	s_waitcnt lgkmcnt(0)
	v_add_f32_e32 v2, 0, v4
	v_add_f32_e32 v2, v2, v5
	global_store_dword v[0:1], v2, off
.LBB80_8:
	s_endpgm
	.section	.rodata,"a",@progbits
	.p2align	6, 0x0
	.amdhsa_kernel _ZL9mul_mat_fIfLi64ELi3ELi2ELb0EEvPKT_PKfPKiPfiiiiiiiiiiiiiiii
		.amdhsa_group_segment_fixed_size 0
		.amdhsa_private_segment_fixed_size 0
		.amdhsa_kernarg_size 96
		.amdhsa_user_sgpr_count 2
		.amdhsa_user_sgpr_dispatch_ptr 0
		.amdhsa_user_sgpr_queue_ptr 0
		.amdhsa_user_sgpr_kernarg_segment_ptr 1
		.amdhsa_user_sgpr_dispatch_id 0
		.amdhsa_user_sgpr_kernarg_preload_length 0
		.amdhsa_user_sgpr_kernarg_preload_offset 0
		.amdhsa_user_sgpr_private_segment_size 0
		.amdhsa_uses_dynamic_stack 0
		.amdhsa_enable_private_segment 0
		.amdhsa_system_sgpr_workgroup_id_x 1
		.amdhsa_system_sgpr_workgroup_id_y 1
		.amdhsa_system_sgpr_workgroup_id_z 1
		.amdhsa_system_sgpr_workgroup_info 0
		.amdhsa_system_vgpr_workitem_id 1
		.amdhsa_next_free_vgpr 120
		.amdhsa_next_free_sgpr 81
		.amdhsa_accum_offset 104
		.amdhsa_reserve_vcc 1
		.amdhsa_float_round_mode_32 0
		.amdhsa_float_round_mode_16_64 0
		.amdhsa_float_denorm_mode_32 3
		.amdhsa_float_denorm_mode_16_64 3
		.amdhsa_dx10_clamp 1
		.amdhsa_ieee_mode 1
		.amdhsa_fp16_overflow 0
		.amdhsa_tg_split 0
		.amdhsa_exception_fp_ieee_invalid_op 0
		.amdhsa_exception_fp_denorm_src 0
		.amdhsa_exception_fp_ieee_div_zero 0
		.amdhsa_exception_fp_ieee_overflow 0
		.amdhsa_exception_fp_ieee_underflow 0
		.amdhsa_exception_fp_ieee_inexact 0
		.amdhsa_exception_int_div_zero 0
	.end_amdhsa_kernel
	.section	.text._ZL9mul_mat_fIfLi64ELi3ELi2ELb0EEvPKT_PKfPKiPfiiiiiiiiiiiiiiii,"axG",@progbits,_ZL9mul_mat_fIfLi64ELi3ELi2ELb0EEvPKT_PKfPKiPfiiiiiiiiiiiiiiii,comdat
.Lfunc_end80:
	.size	_ZL9mul_mat_fIfLi64ELi3ELi2ELb0EEvPKT_PKfPKiPfiiiiiiiiiiiiiiii, .Lfunc_end80-_ZL9mul_mat_fIfLi64ELi3ELi2ELb0EEvPKT_PKfPKiPfiiiiiiiiiiiiiiii
                                        ; -- End function
	.set _ZL9mul_mat_fIfLi64ELi3ELi2ELb0EEvPKT_PKfPKiPfiiiiiiiiiiiiiiii.num_vgpr, 102
	.set _ZL9mul_mat_fIfLi64ELi3ELi2ELb0EEvPKT_PKfPKiPfiiiiiiiiiiiiiiii.num_agpr, 16
	.set _ZL9mul_mat_fIfLi64ELi3ELi2ELb0EEvPKT_PKfPKiPfiiiiiiiiiiiiiiii.numbered_sgpr, 81
	.set _ZL9mul_mat_fIfLi64ELi3ELi2ELb0EEvPKT_PKfPKiPfiiiiiiiiiiiiiiii.num_named_barrier, 0
	.set _ZL9mul_mat_fIfLi64ELi3ELi2ELb0EEvPKT_PKfPKiPfiiiiiiiiiiiiiiii.private_seg_size, 0
	.set _ZL9mul_mat_fIfLi64ELi3ELi2ELb0EEvPKT_PKfPKiPfiiiiiiiiiiiiiiii.uses_vcc, 1
	.set _ZL9mul_mat_fIfLi64ELi3ELi2ELb0EEvPKT_PKfPKiPfiiiiiiiiiiiiiiii.uses_flat_scratch, 0
	.set _ZL9mul_mat_fIfLi64ELi3ELi2ELb0EEvPKT_PKfPKiPfiiiiiiiiiiiiiiii.has_dyn_sized_stack, 0
	.set _ZL9mul_mat_fIfLi64ELi3ELi2ELb0EEvPKT_PKfPKiPfiiiiiiiiiiiiiiii.has_recursion, 0
	.set _ZL9mul_mat_fIfLi64ELi3ELi2ELb0EEvPKT_PKfPKiPfiiiiiiiiiiiiiiii.has_indirect_call, 0
	.section	.AMDGPU.csdata,"",@progbits
; Kernel info:
; codeLenInByte = 5064
; TotalNumSgprs: 87
; NumVgprs: 102
; NumAgprs: 16
; TotalNumVgprs: 120
; ScratchSize: 0
; MemoryBound: 0
; FloatMode: 240
; IeeeMode: 1
; LDSByteSize: 0 bytes/workgroup (compile time only)
; SGPRBlocks: 10
; VGPRBlocks: 14
; NumSGPRsForWavesPerEU: 87
; NumVGPRsForWavesPerEU: 120
; AccumOffset: 104
; Occupancy: 4
; WaveLimiterHint : 0
; COMPUTE_PGM_RSRC2:SCRATCH_EN: 0
; COMPUTE_PGM_RSRC2:USER_SGPR: 2
; COMPUTE_PGM_RSRC2:TRAP_HANDLER: 0
; COMPUTE_PGM_RSRC2:TGID_X_EN: 1
; COMPUTE_PGM_RSRC2:TGID_Y_EN: 1
; COMPUTE_PGM_RSRC2:TGID_Z_EN: 1
; COMPUTE_PGM_RSRC2:TIDIG_COMP_CNT: 1
; COMPUTE_PGM_RSRC3_GFX90A:ACCUM_OFFSET: 25
; COMPUTE_PGM_RSRC3_GFX90A:TG_SPLIT: 0
	.section	.text._ZL13mul_mat_f_idsIfLi64ELi3ELi3EEvPKT_PKfPKiS6_S6_Pfiiiiiiiiiiiiii15HIP_vector_typeIjLj3EES9_,"axG",@progbits,_ZL13mul_mat_f_idsIfLi64ELi3ELi3EEvPKT_PKfPKiS6_S6_Pfiiiiiiiiiiiiii15HIP_vector_typeIjLj3EES9_,comdat
	.globl	_ZL13mul_mat_f_idsIfLi64ELi3ELi3EEvPKT_PKfPKiS6_S6_Pfiiiiiiiiiiiiii15HIP_vector_typeIjLj3EES9_ ; -- Begin function _ZL13mul_mat_f_idsIfLi64ELi3ELi3EEvPKT_PKfPKiS6_S6_Pfiiiiiiiiiiiiii15HIP_vector_typeIjLj3EES9_
	.p2align	8
	.type	_ZL13mul_mat_f_idsIfLi64ELi3ELi3EEvPKT_PKfPKiS6_S6_Pfiiiiiiiiiiiiii15HIP_vector_typeIjLj3EES9_,@function
_ZL13mul_mat_f_idsIfLi64ELi3ELi3EEvPKT_PKfPKiS6_S6_Pfiiiiiiiiiiiiii15HIP_vector_typeIjLj3EES9_: ; @_ZL13mul_mat_f_idsIfLi64ELi3ELi3EEvPKT_PKfPKiS6_S6_Pfiiiiiiiiiiiiii15HIP_vector_typeIjLj3EES9_
; %bb.0:
	s_load_dwordx2 s[6:7], s[0:1], 0x20
	s_mov_b32 s34, s3
	s_ashr_i32 s35, s3, 31
	s_lshl_b64 s[8:9], s[34:35], 2
	s_waitcnt lgkmcnt(0)
	s_add_u32 s6, s6, s8
	s_addc_u32 s7, s7, s9
	s_load_dwordx2 s[24:25], s[6:7], 0x0
	s_waitcnt lgkmcnt(0)
	s_sub_i32 s33, s25, s24
	s_add_i32 s3, s33, 2
	s_mul_hi_i32 s3, s3, 0x55555556
	s_lshr_b32 s5, s3, 31
	s_add_i32 s3, s3, s5
	s_cmp_ge_i32 s4, s3
	s_cbranch_scc1 .LBB81_19
; %bb.1:
	v_bfe_u32 v69, v0, 10, 10
	v_lshlrev_b32_e32 v70, 6, v69
	v_and_b32_e32 v68, 0x3ff, v0
	s_load_dwordx4 s[12:15], s[0:1], 0x30
	s_load_dwordx2 s[20:21], s[0:1], 0x40
	s_load_dwordx4 s[8:11], s[0:1], 0x4c
	s_load_dwordx4 s[16:19], s[0:1], 0x68
	s_load_dwordx2 s[26:27], s[0:1], 0x78
	v_add_u32_e32 v72, v70, v68
	s_ashr_i32 s25, s24, 31
	s_waitcnt lgkmcnt(0)
	v_cmp_le_i32_e32 vcc, s12, v72
	v_and_b32_e32 v71, 15, v68
	s_and_saveexec_b64 s[6:7], vcc
	s_xor_b64 s[6:7], exec, s[6:7]
; %bb.2:
	v_and_b32_e32 v71, 15, v68
                                        ; implicit-def: $vgpr72
; %bb.3:
	s_or_saveexec_b64 s[30:31], s[6:7]
	s_load_dwordx2 s[28:29], s[0:1], 0x18
	s_load_dwordx2 s[6:7], s[0:1], 0x28
                                        ; implicit-def: $vgpr84 : SGPR spill to VGPR lane
	s_lshl_b32 s11, s2, 6
	s_mul_i32 s2, s4, 3
	v_mov_b32_e32 v1, 0
	v_accvgpr_write_b32 a0, 0
	s_waitcnt lgkmcnt(0)
	v_writelane_b32 v84, s6, 0
	v_accvgpr_write_b32 a1, 0
	v_accvgpr_write_b32 a2, 0
	v_accvgpr_write_b32 a3, 0
	v_accvgpr_write_b32 a4, 0
	v_accvgpr_write_b32 a5, 0
	v_accvgpr_write_b32 a6, 0
	v_accvgpr_write_b32 a7, 0
	v_accvgpr_write_b32 a8, 0
	v_accvgpr_write_b32 a9, 0
	v_accvgpr_write_b32 a10, 0
	v_accvgpr_write_b32 a11, 0
	v_accvgpr_write_b32 a12, 0
	v_accvgpr_write_b32 a13, 0
	v_accvgpr_write_b32 a14, 0
	v_accvgpr_write_b32 a15, 0
	v_writelane_b32 v84, s7, 1
	s_xor_b64 exec, exec, s[30:31]
	s_cbranch_execz .LBB81_16
; %bb.4:
	s_load_dwordx4 s[4:7], s[0:1], 0x0
	s_load_dwordx2 s[22:23], s[0:1], 0x10
	s_mul_i32 s0, s8, s34
	s_ashr_i32 s1, s0, 31
	v_writelane_b32 v84, s26, 2
	s_lshl_b64 s[44:45], s[0:1], 2
	s_waitcnt lgkmcnt(0)
	s_add_u32 s0, s4, s44
	v_writelane_b32 v84, s27, 3
	s_mul_i32 s26, s15, s11
	s_addc_u32 s1, s5, s45
	s_ashr_i32 s27, s26, 31
	s_lshl_b64 s[46:47], s[26:27], 2
	s_add_u32 s0, s0, s46
	s_addc_u32 s1, s1, s47
	s_lshl_b64 s[26:27], s[24:25], 2
	s_add_u32 s8, s22, s26
	s_addc_u32 s26, s23, s27
	s_movk_i32 s3, 0x1080
	s_cmp_lt_i32 s2, s33
	v_mad_u32_u24 v0, v69, s3, 0
	s_cselect_b64 s[34:35], -1, 0
	s_ashr_i32 s3, s2, 31
	s_lshl_b64 s[22:23], s[2:3], 2
	s_add_u32 s36, s8, s22
	s_addc_u32 s37, s26, s23
	s_add_i32 s3, s2, 1
	s_cmp_lt_i32 s3, s33
	s_cselect_b64 s[38:39], -1, 0
	s_add_i32 s3, s2, 2
	s_cmp_lt_i32 s3, s33
	s_cselect_b64 s[40:41], -1, 0
	s_ashr_i32 s23, s15, 31
	s_mov_b32 s22, s15
	v_lshrrev_b32_e32 v4, 1, v68
	s_add_i32 s3, s15, s15
	s_lshl_b32 s48, s15, 2
	s_lshl_b32 s52, s15, 3
	;; [unrolled: 1-line block ×4, first 2 shown]
	s_lshl_b64 s[42:43], s[22:23], 2
	v_lshlrev_b32_e32 v2, 2, v68
	v_mul_u32_u24_e32 v3, 0x108, v71
	v_and_b32_e32 v4, 0x1f8, v4
	s_add_u32 s22, s44, s46
	v_add_u32_e32 v73, v0, v2
	v_add3_u32 v74, v0, v3, v4
	s_addc_u32 s23, s45, s47
	v_lshlrev_b32_e32 v0, 8, v69
	v_lshl_add_u64 v[4:5], s[22:23], 0, v[0:1]
	v_mov_b32_e32 v3, v1
	v_lshl_add_u64 v[2:3], v[4:5], 0, v[2:3]
	s_mul_i32 s8, s15, 3
	s_mul_i32 s49, s15, 5
	;; [unrolled: 1-line block ×43, first 2 shown]
	v_accvgpr_write_b32 a15, 0
	v_accvgpr_write_b32 a14, 0
	;; [unrolled: 1-line block ×16, first 2 shown]
	v_lshl_add_u64 v[2:3], s[4:5], 0, v[2:3]
	s_mul_i32 s90, s15, 50
	s_mul_i32 s91, s15, 51
	s_mul_i32 s92, s15, 52
	s_mul_i32 s93, s15, 53
	s_mul_i32 s94, s15, 54
	s_mul_i32 s95, s15, 55
	s_mul_i32 s96, s15, 56
	s_mul_i32 s97, s15, 57
	s_mul_i32 s98, s15, 58
	s_mul_i32 s99, s15, 59
	s_mul_i32 s26, s15, 60
	s_mul_i32 s27, s15, 61
	s_mul_i32 s22, s15, 62
	s_mul_i32 s15, s15, 63
	s_mov_b64 s[4:5], 0
	s_branch .LBB81_6
.LBB81_5:                               ;   in Loop: Header=BB81_6 Depth=1
	s_waitcnt vmcnt(0)
	ds_write2_b32 v73, v0, v76 offset1:66
	ds_write2_b32 v73, v75, v1 offset0:132 offset1:198
	v_add_u32_e32 v0, 0x400, v73
	ds_write2_b32 v0, v1, v1 offset0:8 offset1:74
	ds_write2_b32 v0, v1, v1 offset0:140 offset1:206
	v_add_u32_e32 v0, 0x800, v73
	ds_write2_b32 v0, v1, v1 offset0:16 offset1:82
	ds_write2_b32 v0, v1, v1 offset0:148 offset1:214
	v_add_u32_e32 v0, 0xc00, v73
	ds_write2_b32 v0, v1, v1 offset0:24 offset1:90
	ds_write2_b32 v0, v1, v1 offset0:156 offset1:222
	ds_read2_b64 v[76:79], v74 offset1:4
	v_add_u32_e32 v72, 0xc0, v72
	s_waitcnt lgkmcnt(0)
	v_mfma_f32_16x16x4_f32 a[12:15], v10, v76, a[12:15]
	s_mov_b64 vcc, 0x300
	v_lshl_add_u64 v[2:3], v[2:3], 0, vcc
	v_cmp_le_i32_e32 vcc, s12, v72
	s_or_b64 s[4:5], vcc, s[4:5]
	v_mfma_f32_16x16x4_f32 a[8:11], v44, v76, a[8:11]
	v_mfma_f32_16x16x4_f32 a[4:7], v54, v76, a[4:7]
	;; [unrolled: 1-line block ×12, first 2 shown]
	ds_read2_b64 v[8:11], v74 offset0:8 offset1:12
	v_mfma_f32_16x16x4_f32 a[8:11], v41, v79, a[8:11]
	v_mfma_f32_16x16x4_f32 a[4:7], v51, v79, a[4:7]
	;; [unrolled: 1-line block ×3, first 2 shown]
	s_waitcnt lgkmcnt(0)
	v_mfma_f32_16x16x4_f32 a[12:15], v6, v8, a[12:15]
	v_mfma_f32_16x16x4_f32 a[8:11], v36, v8, a[8:11]
	v_mfma_f32_16x16x4_f32 a[4:7], v48, v8, a[4:7]
	v_mfma_f32_16x16x4_f32 a[0:3], v62, v8, a[0:3]
	v_mfma_f32_16x16x4_f32 a[12:15], v7, v9, a[12:15]
	v_mfma_f32_16x16x4_f32 a[8:11], v37, v9, a[8:11]
	v_mfma_f32_16x16x4_f32 a[4:7], v49, v9, a[4:7]
	v_mfma_f32_16x16x4_f32 a[0:3], v63, v9, a[0:3]
	v_mfma_f32_16x16x4_f32 a[12:15], v4, v10, a[12:15]
	v_mfma_f32_16x16x4_f32 a[8:11], v32, v10, a[8:11]
	v_mfma_f32_16x16x4_f32 a[4:7], v42, v10, a[4:7]
	v_mfma_f32_16x16x4_f32 a[0:3], v60, v10, a[0:3]
	v_mfma_f32_16x16x4_f32 a[12:15], v5, v11, a[12:15]
	ds_read2_b64 v[4:7], v74 offset0:16 offset1:20
	v_mfma_f32_16x16x4_f32 a[8:11], v33, v11, a[8:11]
	v_mfma_f32_16x16x4_f32 a[4:7], v43, v11, a[4:7]
	;; [unrolled: 1-line block ×3, first 2 shown]
	s_waitcnt lgkmcnt(0)
	v_mfma_f32_16x16x4_f32 a[12:15], v20, v4, a[12:15]
	v_mfma_f32_16x16x4_f32 a[8:11], v28, v4, a[8:11]
	v_mfma_f32_16x16x4_f32 a[4:7], v38, v4, a[4:7]
	v_mfma_f32_16x16x4_f32 a[0:3], v58, v4, a[0:3]
	v_mfma_f32_16x16x4_f32 a[12:15], v21, v5, a[12:15]
	v_mfma_f32_16x16x4_f32 a[8:11], v29, v5, a[8:11]
	v_mfma_f32_16x16x4_f32 a[4:7], v39, v5, a[4:7]
	v_mfma_f32_16x16x4_f32 a[0:3], v59, v5, a[0:3]
	v_mfma_f32_16x16x4_f32 a[12:15], v16, v6, a[12:15]
	v_mfma_f32_16x16x4_f32 a[8:11], v24, v6, a[8:11]
	v_mfma_f32_16x16x4_f32 a[4:7], v34, v6, a[4:7]
	v_mfma_f32_16x16x4_f32 a[0:3], v56, v6, a[0:3]
	v_mfma_f32_16x16x4_f32 a[12:15], v17, v7, a[12:15]
	v_mfma_f32_16x16x4_f32 a[8:11], v25, v7, a[8:11]
	v_mfma_f32_16x16x4_f32 a[4:7], v35, v7, a[4:7]
	v_mfma_f32_16x16x4_f32 a[0:3], v57, v7, a[0:3]
	ds_read2_b64 v[4:7], v74 offset0:24 offset1:28
	s_waitcnt lgkmcnt(0)
	v_mfma_f32_16x16x4_f32 a[12:15], v14, v4, a[12:15]
	v_mfma_f32_16x16x4_f32 a[8:11], v22, v4, a[8:11]
	;; [unrolled: 1-line block ×16, first 2 shown]
	s_andn2_b64 exec, exec, s[4:5]
	s_cbranch_execz .LBB81_15
.LBB81_6:                               ; =>This Inner Loop Header: Depth=1
	v_lshl_add_u64 v[4:5], v[2:3], 0, s[42:43]
	global_load_dword v0, v[2:3], off
	global_load_dword v20, v[4:5], off
	v_add_u32_e32 v4, s3, v72
	v_add_u32_e32 v8, s48, v72
	;; [unrolled: 1-line block ×4, first 2 shown]
	v_ashrrev_i32_e32 v5, 31, v4
	v_add_u32_e32 v6, s8, v72
	v_ashrrev_i32_e32 v9, 31, v8
	v_ashrrev_i32_e32 v11, 31, v10
	v_add_u32_e32 v12, s50, v72
	v_add_u32_e32 v14, s51, v72
	v_ashrrev_i32_e32 v17, 31, v16
	v_add_u32_e32 v18, s53, v72
	v_lshl_add_u64 v[4:5], v[4:5], 2, s[0:1]
	v_ashrrev_i32_e32 v7, 31, v6
	v_lshl_add_u64 v[8:9], v[8:9], 2, s[0:1]
	v_lshl_add_u64 v[10:11], v[10:11], 2, s[0:1]
	v_ashrrev_i32_e32 v13, 31, v12
	v_ashrrev_i32_e32 v15, 31, v14
	v_lshl_add_u64 v[16:17], v[16:17], 2, s[0:1]
	v_ashrrev_i32_e32 v19, 31, v18
	v_lshl_add_u64 v[6:7], v[6:7], 2, s[0:1]
	v_lshl_add_u64 v[12:13], v[12:13], 2, s[0:1]
	;; [unrolled: 1-line block ×4, first 2 shown]
	global_load_dword v21, v[4:5], off
	global_load_dword v22, v[6:7], off
	;; [unrolled: 1-line block ×6, first 2 shown]
	s_nop 0
	global_load_dword v16, v[16:17], off
	s_nop 0
	global_load_dword v17, v[18:19], off
	v_add_u32_e32 v4, s54, v72
	v_add_u32_e32 v8, s56, v72
	;; [unrolled: 1-line block ×3, first 2 shown]
	v_ashrrev_i32_e32 v5, 31, v4
	v_add_u32_e32 v6, s55, v72
	v_ashrrev_i32_e32 v9, 31, v8
	v_ashrrev_i32_e32 v11, 31, v10
	v_add_u32_e32 v12, s58, v72
	v_add_u32_e32 v14, s59, v72
	v_lshl_add_u64 v[4:5], v[4:5], 2, s[0:1]
	v_ashrrev_i32_e32 v7, 31, v6
	v_lshl_add_u64 v[8:9], v[8:9], 2, s[0:1]
	v_lshl_add_u64 v[10:11], v[10:11], 2, s[0:1]
	v_ashrrev_i32_e32 v13, 31, v12
	v_ashrrev_i32_e32 v15, 31, v14
	v_lshl_add_u64 v[6:7], v[6:7], 2, s[0:1]
	v_lshl_add_u64 v[12:13], v[12:13], 2, s[0:1]
	;; [unrolled: 1-line block ×3, first 2 shown]
	global_load_dword v18, v[4:5], off
	global_load_dword v19, v[6:7], off
	s_nop 0
	global_load_dword v8, v[8:9], off
	s_nop 0
	;; [unrolled: 2-line block ×3, first 2 shown]
	global_load_dword v10, v[12:13], off
	global_load_dword v11, v[14:15], off
	v_add_u32_e32 v4, s60, v72
	v_add_u32_e32 v6, s61, v72
	v_ashrrev_i32_e32 v5, 31, v4
	v_ashrrev_i32_e32 v7, 31, v6
	v_lshl_add_u64 v[4:5], v[4:5], 2, s[0:1]
	v_add_u32_e32 v12, s62, v72
	v_lshl_add_u64 v[6:7], v[6:7], 2, s[0:1]
	global_load_dword v28, v[4:5], off
	global_load_dword v29, v[6:7], off
	v_ashrrev_i32_e32 v13, 31, v12
	v_add_u32_e32 v14, s63, v72
	v_lshl_add_u64 v[12:13], v[12:13], 2, s[0:1]
	v_ashrrev_i32_e32 v15, 31, v14
	v_lshl_add_u64 v[14:15], v[14:15], 2, s[0:1]
	s_andn2_b64 vcc, exec, s[34:35]
	s_waitcnt vmcnt(17)
	ds_write_b32 v73, v0
	s_waitcnt vmcnt(16)
	ds_write_b32 v73, v20 offset:264
	s_waitcnt vmcnt(15)
	ds_write_b32 v73, v21 offset:528
	;; [unrolled: 2-line block ×15, first 2 shown]
	v_add_u32_e32 v16, s64, v72
	v_add_u32_e32 v18, s65, v72
	;; [unrolled: 1-line block ×6, first 2 shown]
	v_ashrrev_i32_e32 v17, 31, v16
	v_ashrrev_i32_e32 v19, 31, v18
	;; [unrolled: 1-line block ×6, first 2 shown]
	ds_read_b64 v[10:11], v74
	ds_read_b64 v[8:9], v74 offset:32
	ds_read_b64 v[6:7], v74 offset:64
	;; [unrolled: 1-line block ×3, first 2 shown]
	v_lshl_add_u64 v[16:17], v[16:17], 2, s[0:1]
	v_lshl_add_u64 v[18:19], v[18:19], 2, s[0:1]
	v_lshl_add_u64 v[20:21], v[20:21], 2, s[0:1]
	v_lshl_add_u64 v[22:23], v[22:23], 2, s[0:1]
	v_lshl_add_u64 v[24:25], v[24:25], 2, s[0:1]
	v_lshl_add_u64 v[26:27], v[26:27], 2, s[0:1]
	global_load_dword v0, v[12:13], off
	global_load_dword v30, v[14:15], off
	global_load_dword v31, v[16:17], off
	global_load_dword v32, v[18:19], off
	global_load_dword v33, v[20:21], off
	global_load_dword v34, v[22:23], off
	global_load_dword v35, v[24:25], off
	global_load_dword v36, v[26:27], off
	v_add_u32_e32 v12, s70, v72
	v_ashrrev_i32_e32 v13, 31, v12
	v_add_u32_e32 v14, s71, v72
	v_add_u32_e32 v16, s72, v72
	v_add_u32_e32 v18, s73, v72
	v_add_u32_e32 v20, s74, v72
	v_add_u32_e32 v22, s75, v72
	v_add_u32_e32 v24, s76, v72
	v_add_u32_e32 v26, s77, v72
	v_lshl_add_u64 v[12:13], v[12:13], 2, s[0:1]
	v_ashrrev_i32_e32 v15, 31, v14
	v_ashrrev_i32_e32 v17, 31, v16
	v_ashrrev_i32_e32 v19, 31, v18
	v_ashrrev_i32_e32 v21, 31, v20
	v_ashrrev_i32_e32 v23, 31, v22
	v_ashrrev_i32_e32 v25, 31, v24
	v_ashrrev_i32_e32 v27, 31, v26
	v_lshl_add_u64 v[14:15], v[14:15], 2, s[0:1]
	v_lshl_add_u64 v[16:17], v[16:17], 2, s[0:1]
	v_lshl_add_u64 v[18:19], v[18:19], 2, s[0:1]
	v_lshl_add_u64 v[20:21], v[20:21], 2, s[0:1]
	v_lshl_add_u64 v[22:23], v[22:23], 2, s[0:1]
	v_lshl_add_u64 v[24:25], v[24:25], 2, s[0:1]
	v_lshl_add_u64 v[26:27], v[26:27], 2, s[0:1]
	global_load_dword v37, v[12:13], off
	global_load_dword v38, v[14:15], off
	global_load_dword v39, v[16:17], off
	global_load_dword v40, v[18:19], off
	global_load_dword v41, v[20:21], off
	global_load_dword v42, v[22:23], off
	global_load_dword v43, v[24:25], off
	global_load_dword v46, v[26:27], off
	v_add_u32_e32 v12, s78, v72
	v_ashrrev_i32_e32 v13, 31, v12
	v_add_u32_e32 v14, s79, v72
	v_add_u32_e32 v16, s80, v72
	v_add_u32_e32 v18, s81, v72
	v_add_u32_e32 v20, s82, v72
	v_add_u32_e32 v22, s83, v72
	v_add_u32_e32 v24, s84, v72
	v_add_u32_e32 v26, s85, v72
	v_lshl_add_u64 v[12:13], v[12:13], 2, s[0:1]
	v_ashrrev_i32_e32 v15, 31, v14
	v_ashrrev_i32_e32 v17, 31, v16
	v_ashrrev_i32_e32 v19, 31, v18
	v_ashrrev_i32_e32 v21, 31, v20
	v_ashrrev_i32_e32 v23, 31, v22
	v_ashrrev_i32_e32 v25, 31, v24
	v_ashrrev_i32_e32 v27, 31, v26
	v_lshl_add_u64 v[14:15], v[14:15], 2, s[0:1]
	;; [unrolled: 32-line block ×4, first 2 shown]
	v_lshl_add_u64 v[16:17], v[16:17], 2, s[0:1]
	v_lshl_add_u64 v[18:19], v[18:19], 2, s[0:1]
	;; [unrolled: 1-line block ×6, first 2 shown]
	global_load_dword v63, v[12:13], off
	global_load_dword v64, v[14:15], off
	;; [unrolled: 1-line block ×8, first 2 shown]
	v_add_u32_e32 v12, s98, v72
	v_ashrrev_i32_e32 v13, 31, v12
	v_add_u32_e32 v14, s99, v72
	v_add_u32_e32 v16, s26, v72
	;; [unrolled: 1-line block ×5, first 2 shown]
	v_lshl_add_u64 v[12:13], v[12:13], 2, s[0:1]
	v_ashrrev_i32_e32 v15, 31, v14
	v_ashrrev_i32_e32 v17, 31, v16
	;; [unrolled: 1-line block ×5, first 2 shown]
	v_lshl_add_u64 v[14:15], v[14:15], 2, s[0:1]
	v_lshl_add_u64 v[16:17], v[16:17], 2, s[0:1]
	;; [unrolled: 1-line block ×5, first 2 shown]
	global_load_dword v78, v[12:13], off
	global_load_dword v79, v[14:15], off
	;; [unrolled: 1-line block ×6, first 2 shown]
	ds_read_b64 v[20:21], v74 offset:128
	ds_read_b64 v[16:17], v74 offset:160
	ds_read_b64 v[14:15], v74 offset:192
	ds_read_b64 v[12:13], v74 offset:224
	s_waitcnt vmcnt(47)
	ds_write_b32 v73, v28
	s_waitcnt vmcnt(46)
	ds_write_b32 v73, v29 offset:264
	s_waitcnt vmcnt(45)
	ds_write_b32 v73, v0 offset:528
	s_waitcnt vmcnt(44)
	ds_write_b32 v73, v30 offset:792
	s_waitcnt vmcnt(43)
	ds_write_b32 v73, v31 offset:1056
	s_waitcnt vmcnt(42)
	ds_write_b32 v73, v32 offset:1320
	s_waitcnt vmcnt(41)
	ds_write_b32 v73, v33 offset:1584
	s_waitcnt vmcnt(40)
	ds_write_b32 v73, v34 offset:1848
	s_waitcnt vmcnt(39)
	ds_write_b32 v73, v35 offset:2112
	s_waitcnt vmcnt(38)
	ds_write_b32 v73, v36 offset:2376
	s_waitcnt vmcnt(37)
	ds_write_b32 v73, v37 offset:2640
	s_waitcnt vmcnt(36)
	ds_write_b32 v73, v38 offset:2904
	s_waitcnt vmcnt(35)
	ds_write_b32 v73, v39 offset:3168
	s_waitcnt vmcnt(34)
	ds_write_b32 v73, v40 offset:3432
	s_waitcnt vmcnt(33)
	ds_write_b32 v73, v41 offset:3696
	s_waitcnt vmcnt(32)
	ds_write_b32 v73, v42 offset:3960
	ds_read_b64 v[44:45], v74
	ds_read_b64 v[40:41], v74 offset:32
	ds_read_b64 v[36:37], v74 offset:64
	ds_read_b64 v[32:33], v74 offset:96
	ds_read_b64 v[28:29], v74 offset:128
	ds_read_b64 v[24:25], v74 offset:160
	ds_read_b64 v[22:23], v74 offset:192
	ds_read_b64 v[18:19], v74 offset:224
	s_waitcnt vmcnt(31)
	ds_write_b32 v73, v43
	s_waitcnt vmcnt(30)
	ds_write_b32 v73, v46 offset:264
	s_waitcnt vmcnt(29)
	ds_write_b32 v73, v47 offset:528
	s_waitcnt vmcnt(28)
	ds_write_b32 v73, v48 offset:792
	s_waitcnt vmcnt(27)
	ds_write_b32 v73, v49 offset:1056
	s_waitcnt vmcnt(26)
	ds_write_b32 v73, v50 offset:1320
	s_waitcnt vmcnt(25)
	ds_write_b32 v73, v51 offset:1584
	s_waitcnt vmcnt(24)
	ds_write_b32 v73, v52 offset:1848
	s_waitcnt vmcnt(23)
	ds_write_b32 v73, v53 offset:2112
	s_waitcnt vmcnt(22)
	ds_write_b32 v73, v54 offset:2376
	s_waitcnt vmcnt(21)
	ds_write_b32 v73, v55 offset:2640
	s_waitcnt vmcnt(20)
	ds_write_b32 v73, v56 offset:2904
	s_waitcnt vmcnt(19)
	ds_write_b32 v73, v57 offset:3168
	s_waitcnt vmcnt(18)
	ds_write_b32 v73, v58 offset:3432
	s_waitcnt vmcnt(17)
	ds_write_b32 v73, v59 offset:3696
	s_waitcnt vmcnt(16)
	ds_write_b32 v73, v60 offset:3960
	ds_read_b64 v[54:55], v74
	ds_read_b64 v[50:51], v74 offset:32
	ds_read_b64 v[48:49], v74 offset:64
	ds_read_b64 v[42:43], v74 offset:96
	;; [unrolled: 40-line block ×3, first 2 shown]
	ds_read_b64 v[58:59], v74 offset:128
	ds_read_b64 v[56:57], v74 offset:160
	;; [unrolled: 1-line block ×4, first 2 shown]
	v_mov_b32_e32 v0, 0
	s_cbranch_vccnz .LBB81_9
; %bb.7:                                ;   in Loop: Header=BB81_6 Depth=1
	s_load_dword s23, s[36:37], 0x0
	v_mov_b32_e32 v0, 0
	s_waitcnt lgkmcnt(0)
	s_mul_hi_u32 vcc_lo, s23, s16
	s_add_i32 vcc_lo, s23, vcc_lo
	s_lshr_b32 vcc_lo, vcc_lo, s17
	s_cmp_ge_i32 vcc_lo, s13
	s_cbranch_scc1 .LBB81_9
; %bb.8:                                ;   in Loop: Header=BB81_6 Depth=1
	s_mul_i32 vcc_hi, vcc_lo, s18
	s_sub_i32 s23, s23, vcc_hi
	s_mul_i32 s23, s23, s9
	s_mul_i32 vcc_lo, vcc_lo, s20
	s_add_i32 vcc_lo, vcc_lo, s23
	v_add_u32_e32 v76, vcc_lo, v72
	v_ashrrev_i32_e32 v77, 31, v76
	v_lshl_add_u64 v[76:77], v[76:77], 2, s[6:7]
	global_load_dword v0, v[76:77], off
.LBB81_9:                               ;   in Loop: Header=BB81_6 Depth=1
	v_mov_b32_e32 v75, 0
	s_andn2_b64 vcc, exec, s[38:39]
	v_mov_b32_e32 v76, 0
	s_cbranch_vccnz .LBB81_12
; %bb.10:                               ;   in Loop: Header=BB81_6 Depth=1
	s_load_dword s23, s[36:37], 0x4
	v_mov_b32_e32 v76, 0
	s_waitcnt lgkmcnt(0)
	s_mul_hi_u32 vcc_lo, s23, s16
	s_add_i32 vcc_lo, s23, vcc_lo
	s_lshr_b32 vcc_lo, vcc_lo, s17
	s_cmp_ge_i32 vcc_lo, s13
	s_cbranch_scc1 .LBB81_12
; %bb.11:                               ;   in Loop: Header=BB81_6 Depth=1
	s_mul_i32 vcc_hi, vcc_lo, s18
	s_sub_i32 s23, s23, vcc_hi
	s_mul_i32 s23, s23, s9
	s_mul_i32 vcc_lo, vcc_lo, s20
	s_add_i32 vcc_lo, vcc_lo, s23
	v_add_u32_e32 v76, vcc_lo, v72
	v_ashrrev_i32_e32 v77, 31, v76
	v_lshl_add_u64 v[76:77], v[76:77], 2, s[6:7]
	global_load_dword v76, v[76:77], off
.LBB81_12:                              ;   in Loop: Header=BB81_6 Depth=1
	s_andn2_b64 vcc, exec, s[40:41]
	s_cbranch_vccnz .LBB81_5
; %bb.13:                               ;   in Loop: Header=BB81_6 Depth=1
	s_load_dword s23, s[36:37], 0x8
	v_mov_b32_e32 v75, 0
	s_waitcnt lgkmcnt(0)
	s_mul_hi_u32 vcc_lo, s23, s16
	s_add_i32 vcc_lo, s23, vcc_lo
	s_lshr_b32 vcc_lo, vcc_lo, s17
	s_cmp_ge_i32 vcc_lo, s13
	s_cbranch_scc1 .LBB81_5
; %bb.14:                               ;   in Loop: Header=BB81_6 Depth=1
	s_mul_i32 vcc_hi, vcc_lo, s18
	s_sub_i32 s23, s23, vcc_hi
	s_mul_i32 s23, s23, s9
	s_mul_i32 vcc_lo, vcc_lo, s20
	s_add_i32 vcc_lo, vcc_lo, s23
	v_add_u32_e32 v78, vcc_lo, v72
	v_ashrrev_i32_e32 v79, 31, v78
	v_lshl_add_u64 v[78:79], v[78:79], 2, s[6:7]
	global_load_dword v75, v[78:79], off
	s_branch .LBB81_5
.LBB81_15:
	s_or_b64 exec, exec, s[4:5]
	v_readlane_b32 s26, v84, 2
	v_readlane_b32 s27, v84, 3
.LBB81_16:
	s_or_b64 exec, exec, s[30:31]
	v_lshl_add_u32 v0, v70, 2, 0
	v_mul_u32_u24_e32 v1, 0x308, v71
	v_and_b32_e32 v2, 0x3f0, v68
	v_add3_u32 v0, v0, v1, v2
	v_accvgpr_read_b32 v1, a13
	v_accvgpr_read_b32 v2, a12
	s_barrier
	ds_write2_b32 v0, v2, v1 offset1:1
	v_accvgpr_read_b32 v1, a15
	v_accvgpr_read_b32 v2, a14
	ds_write2_b32 v0, v2, v1 offset0:2 offset1:3
	v_accvgpr_read_b32 v1, a9
	v_accvgpr_read_b32 v2, a8
	ds_write2_b32 v0, v2, v1 offset0:16 offset1:17
	v_accvgpr_read_b32 v1, a11
	v_accvgpr_read_b32 v2, a10
	ds_write2_b32 v0, v2, v1 offset0:18 offset1:19
	v_accvgpr_read_b32 v1, a5
	v_accvgpr_read_b32 v2, a4
	ds_write2_b32 v0, v2, v1 offset0:32 offset1:33
	v_accvgpr_read_b32 v1, a7
	v_accvgpr_read_b32 v2, a6
	ds_write2_b32 v0, v2, v1 offset0:34 offset1:35
	v_accvgpr_read_b32 v1, a1
	v_accvgpr_read_b32 v2, a0
	ds_write2_b32 v0, v2, v1 offset0:48 offset1:49
	v_accvgpr_read_b32 v1, a3
	v_accvgpr_read_b32 v2, a2
	ds_write2_b32 v0, v2, v1 offset0:50 offset1:51
	s_cmp_gt_i32 s14, 0
	v_add_u32_e32 v0, s2, v69
	s_cselect_b64 s[4:5], -1, 0
	v_cmp_gt_i32_e64 s[0:1], s33, v0
	v_cmp_gt_u32_e32 vcc, 3, v69
	s_and_b64 s[0:1], s[4:5], s[0:1]
	s_and_b64 s[0:1], vcc, s[0:1]
	s_waitcnt lgkmcnt(0)
	s_barrier
	s_and_saveexec_b64 s[2:3], s[0:1]
	s_cbranch_execz .LBB81_19
; %bb.17:
	s_lshl_b64 s[0:1], s[24:25], 2
	s_add_u32 s0, s28, s0
	s_addc_u32 s1, s29, s1
	v_ashrrev_i32_e32 v1, 31, v0
	v_lshl_add_u64 v[0:1], v[0:1], 2, s[0:1]
	global_load_dword v0, v[0:1], off
	s_waitcnt vmcnt(0)
	v_mul_hi_u32 v1, v0, s19
	v_add_u32_e32 v1, v0, v1
	v_lshrrev_b32_e32 v1, s26, v1
	v_cmp_gt_i32_e32 vcc, s13, v1
	s_and_b64 exec, exec, vcc
	s_cbranch_execz .LBB81_19
; %bb.18:
	v_lshlrev_b32_e32 v2, 2, v68
	v_mul_u32_u24_e32 v3, 0x308, v69
	v_add3_u32 v4, 0, v2, v3
	ds_read2st64_b32 v[2:3], v4 offset1:1
	ds_read_b32 v4, v4 offset:512
	v_mul_lo_u32 v6, v1, s27
	v_sub_u32_e32 v0, v0, v6
	v_add_u32_e32 v5, s11, v68
	s_waitcnt lgkmcnt(1)
	v_add_f32_e32 v2, 0, v2
	v_mul_lo_u32 v0, v0, s10
	v_mul_lo_u32 v1, v1, s21
	v_readlane_b32 s0, v84, 0
	v_add_f32_e32 v2, v2, v3
	v_add3_u32 v0, v5, v1, v0
	v_mov_b32_e32 v1, 0
	v_readlane_b32 s1, v84, 1
	s_waitcnt lgkmcnt(0)
	v_add_f32_e32 v2, v2, v4
	v_lshl_add_u64 v[0:1], v[0:1], 2, s[0:1]
	global_store_dword v[0:1], v2, off
.LBB81_19:
	s_endpgm
	.section	.rodata,"a",@progbits
	.p2align	6, 0x0
	.amdhsa_kernel _ZL13mul_mat_f_idsIfLi64ELi3ELi3EEvPKT_PKfPKiS6_S6_Pfiiiiiiiiiiiiii15HIP_vector_typeIjLj3EES9_
		.amdhsa_group_segment_fixed_size 0
		.amdhsa_private_segment_fixed_size 0
		.amdhsa_kernarg_size 128
		.amdhsa_user_sgpr_count 2
		.amdhsa_user_sgpr_dispatch_ptr 0
		.amdhsa_user_sgpr_queue_ptr 0
		.amdhsa_user_sgpr_kernarg_segment_ptr 1
		.amdhsa_user_sgpr_dispatch_id 0
		.amdhsa_user_sgpr_kernarg_preload_length 0
		.amdhsa_user_sgpr_kernarg_preload_offset 0
		.amdhsa_user_sgpr_private_segment_size 0
		.amdhsa_uses_dynamic_stack 0
		.amdhsa_enable_private_segment 0
		.amdhsa_system_sgpr_workgroup_id_x 1
		.amdhsa_system_sgpr_workgroup_id_y 1
		.amdhsa_system_sgpr_workgroup_id_z 1
		.amdhsa_system_sgpr_workgroup_info 0
		.amdhsa_system_vgpr_workitem_id 1
		.amdhsa_next_free_vgpr 104
		.amdhsa_next_free_sgpr 100
		.amdhsa_accum_offset 88
		.amdhsa_reserve_vcc 1
		.amdhsa_float_round_mode_32 0
		.amdhsa_float_round_mode_16_64 0
		.amdhsa_float_denorm_mode_32 3
		.amdhsa_float_denorm_mode_16_64 3
		.amdhsa_dx10_clamp 1
		.amdhsa_ieee_mode 1
		.amdhsa_fp16_overflow 0
		.amdhsa_tg_split 0
		.amdhsa_exception_fp_ieee_invalid_op 0
		.amdhsa_exception_fp_denorm_src 0
		.amdhsa_exception_fp_ieee_div_zero 0
		.amdhsa_exception_fp_ieee_overflow 0
		.amdhsa_exception_fp_ieee_underflow 0
		.amdhsa_exception_fp_ieee_inexact 0
		.amdhsa_exception_int_div_zero 0
	.end_amdhsa_kernel
	.section	.text._ZL13mul_mat_f_idsIfLi64ELi3ELi3EEvPKT_PKfPKiS6_S6_Pfiiiiiiiiiiiiii15HIP_vector_typeIjLj3EES9_,"axG",@progbits,_ZL13mul_mat_f_idsIfLi64ELi3ELi3EEvPKT_PKfPKiS6_S6_Pfiiiiiiiiiiiiii15HIP_vector_typeIjLj3EES9_,comdat
.Lfunc_end81:
	.size	_ZL13mul_mat_f_idsIfLi64ELi3ELi3EEvPKT_PKfPKiS6_S6_Pfiiiiiiiiiiiiii15HIP_vector_typeIjLj3EES9_, .Lfunc_end81-_ZL13mul_mat_f_idsIfLi64ELi3ELi3EEvPKT_PKfPKiS6_S6_Pfiiiiiiiiiiiiii15HIP_vector_typeIjLj3EES9_
                                        ; -- End function
	.set _ZL13mul_mat_f_idsIfLi64ELi3ELi3EEvPKT_PKfPKiS6_S6_Pfiiiiiiiiiiiiii15HIP_vector_typeIjLj3EES9_.num_vgpr, 85
	.set _ZL13mul_mat_f_idsIfLi64ELi3ELi3EEvPKT_PKfPKiS6_S6_Pfiiiiiiiiiiiiii15HIP_vector_typeIjLj3EES9_.num_agpr, 16
	.set _ZL13mul_mat_f_idsIfLi64ELi3ELi3EEvPKT_PKfPKiS6_S6_Pfiiiiiiiiiiiiii15HIP_vector_typeIjLj3EES9_.numbered_sgpr, 100
	.set _ZL13mul_mat_f_idsIfLi64ELi3ELi3EEvPKT_PKfPKiS6_S6_Pfiiiiiiiiiiiiii15HIP_vector_typeIjLj3EES9_.num_named_barrier, 0
	.set _ZL13mul_mat_f_idsIfLi64ELi3ELi3EEvPKT_PKfPKiS6_S6_Pfiiiiiiiiiiiiii15HIP_vector_typeIjLj3EES9_.private_seg_size, 0
	.set _ZL13mul_mat_f_idsIfLi64ELi3ELi3EEvPKT_PKfPKiS6_S6_Pfiiiiiiiiiiiiii15HIP_vector_typeIjLj3EES9_.uses_vcc, 1
	.set _ZL13mul_mat_f_idsIfLi64ELi3ELi3EEvPKT_PKfPKiS6_S6_Pfiiiiiiiiiiiiii15HIP_vector_typeIjLj3EES9_.uses_flat_scratch, 0
	.set _ZL13mul_mat_f_idsIfLi64ELi3ELi3EEvPKT_PKfPKiS6_S6_Pfiiiiiiiiiiiiii15HIP_vector_typeIjLj3EES9_.has_dyn_sized_stack, 0
	.set _ZL13mul_mat_f_idsIfLi64ELi3ELi3EEvPKT_PKfPKiS6_S6_Pfiiiiiiiiiiiiii15HIP_vector_typeIjLj3EES9_.has_recursion, 0
	.set _ZL13mul_mat_f_idsIfLi64ELi3ELi3EEvPKT_PKfPKiS6_S6_Pfiiiiiiiiiiiiii15HIP_vector_typeIjLj3EES9_.has_indirect_call, 0
	.section	.AMDGPU.csdata,"",@progbits
; Kernel info:
; codeLenInByte = 5004
; TotalNumSgprs: 106
; NumVgprs: 85
; NumAgprs: 16
; TotalNumVgprs: 104
; ScratchSize: 0
; MemoryBound: 0
; FloatMode: 240
; IeeeMode: 1
; LDSByteSize: 0 bytes/workgroup (compile time only)
; SGPRBlocks: 13
; VGPRBlocks: 12
; NumSGPRsForWavesPerEU: 106
; NumVGPRsForWavesPerEU: 104
; AccumOffset: 88
; Occupancy: 4
; WaveLimiterHint : 1
; COMPUTE_PGM_RSRC2:SCRATCH_EN: 0
; COMPUTE_PGM_RSRC2:USER_SGPR: 2
; COMPUTE_PGM_RSRC2:TRAP_HANDLER: 0
; COMPUTE_PGM_RSRC2:TGID_X_EN: 1
; COMPUTE_PGM_RSRC2:TGID_Y_EN: 1
; COMPUTE_PGM_RSRC2:TGID_Z_EN: 1
; COMPUTE_PGM_RSRC2:TIDIG_COMP_CNT: 1
; COMPUTE_PGM_RSRC3_GFX90A:ACCUM_OFFSET: 21
; COMPUTE_PGM_RSRC3_GFX90A:TG_SPLIT: 0
	.section	.text._ZL9mul_mat_fIfLi64ELi3ELi3ELb1EEvPKT_PKfPKiPfiiiiiiiiiiiiiiii,"axG",@progbits,_ZL9mul_mat_fIfLi64ELi3ELi3ELb1EEvPKT_PKfPKiPfiiiiiiiiiiiiiiii,comdat
	.globl	_ZL9mul_mat_fIfLi64ELi3ELi3ELb1EEvPKT_PKfPKiPfiiiiiiiiiiiiiiii ; -- Begin function _ZL9mul_mat_fIfLi64ELi3ELi3ELb1EEvPKT_PKfPKiPfiiiiiiiiiiiiiiii
	.p2align	8
	.type	_ZL9mul_mat_fIfLi64ELi3ELi3ELb1EEvPKT_PKfPKiPfiiiiiiiiiiiiiiii,@function
_ZL9mul_mat_fIfLi64ELi3ELi3ELb1EEvPKT_PKfPKiPfiiiiiiiiiiiiiiii: ; @_ZL9mul_mat_fIfLi64ELi3ELi3ELb1EEvPKT_PKfPKiPfiiiiiiiiiiiiiiii
; %bb.0:
	s_load_dwordx8 s[12:19], s[0:1], 0x20
	s_waitcnt lgkmcnt(0)
	s_add_i32 s5, s13, 2
	s_mul_hi_i32 s5, s5, 0x55555556
	s_lshr_b32 s6, s5, 31
	s_add_i32 s5, s5, s6
	v_cvt_f32_u32_e32 v1, s5
	s_load_dwordx4 s[20:23], s[0:1], 0x44
	s_load_dword s6, s[0:1], 0x64
	s_add_u32 s30, s0, 0x60
	s_addc_u32 s31, s1, 0
	v_rcp_iflag_f32_e32 v1, v1
	s_sub_i32 s7, 0, s5
	s_waitcnt lgkmcnt(0)
	s_abs_i32 s33, s23
	v_cvt_f32_u32_e32 v5, s33
	v_mul_f32_e32 v1, 0x4f7ffffe, v1
	v_cvt_u32_f32_e32 v1, v1
	v_mul_lo_u32 v2, s7, v1
	v_mul_hi_u32 v2, v1, v2
	v_add_u32_e32 v1, v1, v2
	v_mul_hi_u32 v1, s6, v1
	v_mul_lo_u32 v2, v1, s5
	v_sub_u32_e32 v2, s6, v2
	v_add_u32_e32 v3, 1, v1
	v_subrev_u32_e32 v4, s5, v2
	v_cmp_le_u32_e32 vcc, s5, v2
	s_nop 1
	v_cndmask_b32_e32 v1, v1, v3, vcc
	v_cndmask_b32_e32 v2, v2, v4, vcc
	v_add_u32_e32 v3, 1, v1
	v_cmp_le_u32_e32 vcc, s5, v2
	v_rcp_iflag_f32_e32 v2, v5
	s_sub_i32 s5, 0, s33
	v_cndmask_b32_e32 v4, v1, v3, vcc
	v_cvt_f32_u32_e32 v1, v4
	v_sub_u32_e32 v5, 0, v4
	v_rcp_iflag_f32_e32 v3, v1
	v_mul_f32_e32 v1, 0x4f7ffffe, v2
	v_cvt_u32_f32_e32 v1, v1
	v_mul_f32_e32 v2, 0x4f7ffffe, v3
	v_cvt_u32_f32_e32 v2, v2
	v_mul_lo_u32 v3, s5, v1
	v_mul_hi_u32 v6, v1, v3
	v_bfe_u32 v3, v0, 10, 10
	v_mul_lo_u32 v5, v5, v2
	v_mul_hi_u32 v5, v2, v5
	v_add_u32_e32 v2, v2, v5
	v_mul_hi_u32 v5, s3, v2
	v_and_b32_e32 v2, 0x3ff, v0
	v_cmp_eq_u32_e32 vcc, 0, v2
	s_and_saveexec_b64 s[6:7], vcc
; %bb.1:
	v_mov_b32_e32 v7, 0x100
	v_lshl_add_u32 v7, v3, 2, v7
	v_mov_b32_e32 v8, -1
	ds_write_b32 v7, v8
; %bb.2:
	s_or_b64 exec, exec, s[6:7]
	v_add_u32_e32 v1, v1, v6
	v_mul_lo_u32 v6, v5, v4
	v_sub_u32_e32 v6, s3, v6
	v_add_u32_e32 v7, 1, v5
	v_sub_u32_e32 v8, v6, v4
	v_cmp_ge_u32_e32 vcc, v6, v4
	s_load_dwordx4 s[24:27], s[0:1], 0x54
	s_waitcnt lgkmcnt(0)
	s_abs_i32 s27, s4
	v_cndmask_b32_e32 v5, v5, v7, vcc
	v_cndmask_b32_e32 v6, v6, v8, vcc
	v_add_u32_e32 v7, 1, v5
	v_cmp_ge_u32_e32 vcc, v6, v4
	v_mov_b32_e32 v9, 0
	s_nop 0
	v_cndmask_b32_e32 v5, v5, v7, vcc
	v_mul_lo_u32 v4, v5, v4
	v_mul_lo_u32 v74, v5, 3
	v_sub_u32_e32 v8, s3, v4
	v_add_u32_e32 v4, v3, v74
	v_cmp_gt_i32_e64 s[8:9], s13, v4
	s_and_saveexec_b64 s[10:11], s[8:9]
	s_cbranch_execz .LBB82_10
; %bb.3:
	v_cmp_gt_i32_e32 vcc, s14, v2
	v_mov_b32_e32 v9, 0
	s_and_saveexec_b64 s[28:29], vcc
	s_cbranch_execz .LBB82_9
; %bb.4:
	s_load_dwordx2 s[6:7], s[0:1], 0x10
	v_mul_hi_i32 v5, v74, s19
	v_mul_lo_u32 v4, v74, s19
	v_mul_lo_u32 v6, v3, s19
	v_lshlrev_b64 v[4:5], 2, v[4:5]
	s_waitcnt lgkmcnt(0)
	v_lshl_add_u64 v[4:5], s[6:7], 0, v[4:5]
	v_ashrrev_i32_e32 v7, 31, v6
	v_lshl_add_u64 v[4:5], v[6:7], 2, v[4:5]
	v_mov_b32_e32 v6, 0x100
	v_lshl_add_u32 v10, v3, 2, v6
	v_mul_lo_u32 v6, v2, s18
	s_lshl_b32 s3, s18, 6
	v_mov_b32_e32 v9, 0
	s_mov_b64 s[18:19], 0
	v_mov_b32_e32 v11, v2
	s_branch .LBB82_6
.LBB82_5:                               ;   in Loop: Header=BB82_6 Depth=1
	s_or_b64 exec, exec, s[34:35]
	v_add_u32_e32 v11, 64, v11
	v_cmp_le_i32_e64 s[6:7], s14, v11
	s_xor_b64 s[34:35], vcc, -1
	s_or_b64 s[6:7], s[34:35], s[6:7]
	s_and_b64 s[6:7], exec, s[6:7]
	s_or_b64 s[18:19], s[6:7], s[18:19]
	v_add_u32_e32 v6, s3, v6
	s_andn2_b64 exec, exec, s[18:19]
	s_cbranch_execz .LBB82_8
.LBB82_6:                               ; =>This Inner Loop Header: Depth=1
	v_ashrrev_i32_e32 v7, 31, v6
	v_lshl_add_u64 v[12:13], v[6:7], 2, v[4:5]
	global_load_dword v7, v[12:13], off
	s_waitcnt vmcnt(0)
	v_cmp_ne_u32_e32 vcc, v7, v8
	v_cmp_eq_u32_e64 s[6:7], v7, v8
	s_and_saveexec_b64 s[34:35], s[6:7]
	s_cbranch_execz .LBB82_5
; %bb.7:                                ;   in Loop: Header=BB82_6 Depth=1
	v_mov_b32_e32 v9, 1
	ds_write_b32 v10, v11
	s_branch .LBB82_5
.LBB82_8:
	s_or_b64 exec, exec, s[18:19]
.LBB82_9:
	s_or_b64 exec, exec, s[28:29]
.LBB82_10:
	s_or_b64 exec, exec, s[10:11]
	s_load_dwordx2 s[18:19], s[30:31], 0xc
	s_load_dwordx2 s[28:29], s[0:1], 0x8
	;; [unrolled: 1-line block ×3, first 2 shown]
	v_mul_hi_u32 v4, s27, v1
	v_or_b32_dpp v1, v9, v9 row_shl:1 row_mask:0xf bank_mask:0xf bound_ctrl:1
	s_waitcnt lgkmcnt(0)
	s_lshr_b32 s6, s18, 16
	s_and_b32 s5, s18, 0xffff
	v_or_b32_dpp v1, v1, v1 row_shl:2 row_mask:0xf bank_mask:0xf bound_ctrl:1
	s_mul_i32 s7, s6, s5
	s_and_b32 s3, s19, 0xffff
	v_or_b32_dpp v1, v1, v1 row_shl:4 row_mask:0xf bank_mask:0xf bound_ctrl:1
	s_bfe_i32 s7, s7, 0x180000
	s_mul_i32 s3, s7, s3
	v_or_b32_dpp v1, v1, v1 row_shl:8 row_mask:0xf bank_mask:0xf bound_ctrl:1
	s_add_i32 s7, s3, 63
	s_bitcmp1_b32 exec_hi, 0
	v_mov_b32_dpp v5, v1 wave_shl:1 row_mask:0xf bank_mask:0xf bound_ctrl:1
	s_nop 1
	v_or_b32_dpp v1, v5, v1 row_mirror row_mask:0xf bank_mask:0xf bound_ctrl:1
	s_nop 0
	v_readlane_b32 s3, v1, 32
	s_cselect_b32 s3, s3, 0
	v_readlane_b32 s14, v1, 0
	s_or_b32 s3, s3, s14
	s_andn2_b32 s7, s7, 63
	s_cmp_lg_u32 s7, 64
	v_mov_b32_e32 v1, s3
	s_cbranch_scc0 .LBB82_17
; %bb.11:
	v_bfe_u32 v0, v0, 20, 10
	v_mbcnt_lo_u32_b32 v1, -1, 0
	v_mad_u32_u24 v0, v0, s6, v3
	v_mbcnt_hi_u32_b32 v5, -1, v1
	v_mad_u64_u32 v[0:1], s[6:7], v0, s5, v[2:3]
	v_lshrrev_b32_e32 v1, 6, v0
	v_or_b32_e32 v1, v5, v1
	v_cmp_eq_u32_e32 vcc, 0, v1
	s_and_saveexec_b64 s[6:7], vcc
; %bb.12:
	v_mov_b32_e32 v1, 0
	v_mov_b32_e32 v6, s3
	ds_write_b32 v1, v6
; %bb.13:
	s_or_b64 exec, exec, s[6:7]
	v_cmp_eq_u32_e32 vcc, 0, v5
	v_cmp_lt_u32_e64 s[6:7], 63, v0
	s_and_b64 s[18:19], s[6:7], vcc
	s_waitcnt lgkmcnt(0)
	s_barrier
	s_and_saveexec_b64 s[6:7], s[18:19]
	s_cbranch_execz .LBB82_16
; %bb.14:
	v_mbcnt_lo_u32_b32 v0, exec_lo, 0
	v_mbcnt_hi_u32_b32 v0, exec_hi, v0
	v_cmp_eq_u32_e32 vcc, 0, v0
	s_and_b64 exec, exec, vcc
; %bb.15:
	v_mov_b32_e32 v0, 0
	v_mov_b32_e32 v1, s3
	ds_or_b32 v0, v1
.LBB82_16:
	s_or_b64 exec, exec, s[6:7]
	v_mov_b32_e32 v0, 0
	s_waitcnt lgkmcnt(0)
	s_barrier
	ds_read_b32 v1, v0
	s_waitcnt lgkmcnt(0)
	s_barrier
.LBB82_17:
	s_load_dwordx2 s[0:1], s[0:1], 0x0
	v_cmp_ne_u32_e32 vcc, 0, v1
	s_ashr_i32 s3, s4, 31
	s_ashr_i32 s14, s23, 31
	s_cbranch_vccz .LBB82_40
; %bb.18:
	v_lshlrev_b32_e32 v75, 6, v3
	v_add_u32_e32 v77, v75, v2
	v_cmp_le_i32_e32 vcc, s12, v77
	v_and_b32_e32 v76, 15, v2
	s_and_saveexec_b64 s[6:7], vcc
	s_xor_b64 s[6:7], exec, s[6:7]
; %bb.19:
	v_and_b32_e32 v76, 15, v2
                                        ; implicit-def: $vgpr77
                                        ; implicit-def: $vgpr4
                                        ; implicit-def: $vgpr8
; %bb.20:
	s_or_saveexec_b64 s[18:19], s[6:7]
	s_lshl_b32 s5, s2, 6
	v_mov_b32_e32 v1, 0
	v_accvgpr_write_b32 a0, 0
	v_accvgpr_write_b32 a1, 0
	;; [unrolled: 1-line block ×16, first 2 shown]
	s_xor_b64 exec, exec, s[18:19]
	s_cbranch_execz .LBB82_36
; %bb.21:
	v_mul_lo_u32 v0, v4, s33
	v_sub_u32_e32 v0, s27, v0
	v_add_u32_e32 v5, 1, v4
	v_subrev_u32_e32 v6, s33, v0
	v_cmp_le_u32_e32 vcc, s33, v0
	s_xor_b32 s2, s3, s14
	s_movk_i32 s6, 0x1080
	v_cndmask_b32_e32 v4, v4, v5, vcc
	v_cndmask_b32_e32 v0, v0, v6, vcc
	v_add_u32_e32 v5, 1, v4
	v_cmp_le_u32_e32 vcc, s33, v0
	v_mov_b32_e32 v78, 0x100
	v_mul_lo_u32 v6, v8, s20
	v_cndmask_b32_e32 v0, v4, v5, vcc
	v_xor_b32_e32 v0, s2, v0
	v_subrev_u32_e32 v0, s2, v0
	s_mul_i32 s2, s15, s5
	v_mul_hi_i32 v5, v0, s24
	v_mul_lo_u32 v4, v0, s24
	s_ashr_i32 s3, s2, 31
	v_mad_u32_u24 v0, v3, s6, v78
	s_mul_hi_i32 s7, s25, s4
	s_mul_i32 s6, s25, s4
	v_ashrrev_i32_e32 v7, 31, v6
	v_lshlrev_b64 v[8:9], 2, v[4:5]
	s_lshl_b64 s[2:3], s[2:3], 2
	s_lshl_b64 s[6:7], s[6:7], 2
	s_waitcnt lgkmcnt(0)
	v_lshl_add_u64 v[4:5], s[0:1], 0, v[8:9]
	v_lshlrev_b64 v[10:11], 2, v[6:7]
	v_mul_hi_i32 v7, v74, s16
	v_mul_lo_u32 v6, v74, s16
	s_add_u32 s6, s28, s6
	v_lshrrev_b32_e32 v13, 1, v2
	v_lshl_add_u64 v[8:9], v[8:9], 0, s[2:3]
	s_addc_u32 s7, s29, s7
	v_lshlrev_b64 v[6:7], 2, v[6:7]
	v_mul_u32_u24_e32 v12, 0x108, v76
	v_and_b32_e32 v13, 0x1f8, v13
	v_lshl_add_u64 v[8:9], v[8:9], 0, v[10:11]
	v_lshl_add_u64 v[4:5], v[4:5], 0, v[10:11]
	;; [unrolled: 1-line block ×3, first 2 shown]
	v_lshl_add_u32 v79, v2, 2, v0
	v_add3_u32 v80, v0, v12, v13
	v_add_u32_e32 v12, 1, v74
	v_add_u32_e32 v13, 2, v74
	s_ashr_i32 s7, s15, 31
	s_mov_b32 s6, s15
	v_lshl_add_u64 v[8:9], s[0:1], 0, v[8:9]
	v_lshlrev_b32_e32 v0, 2, v77
	v_lshl_add_u64 v[4:5], v[4:5], 0, s[2:3]
	s_lshl_b32 s20, s16, 1
	s_add_i32 s23, s15, s15
	s_mul_i32 s27, s15, 3
	s_lshl_b32 s30, s15, 2
	s_mul_i32 s31, s15, 5
	s_mul_i32 s33, s15, 6
	;; [unrolled: 1-line block ×3, first 2 shown]
	s_lshl_b32 s35, s15, 3
	s_mul_i32 s36, s15, 9
	s_mul_i32 s37, s15, 10
	s_mul_i32 s38, s15, 11
	s_mul_i32 s39, s15, 12
	s_mul_i32 s40, s15, 13
	s_mul_i32 s41, s15, 14
	s_mul_i32 s42, s15, 15
	s_lshl_b32 s43, s15, 4
	s_mul_i32 s44, s15, 17
	s_mul_i32 s45, s15, 18
	;; [unrolled: 1-line block ×15, first 2 shown]
	s_lshl_b32 s59, s15, 5
	s_mul_i32 s60, s15, 33
	s_mul_i32 s61, s15, 34
	;; [unrolled: 1-line block ×22, first 2 shown]
	v_cmp_gt_i32_e64 s[2:3], s13, v74
	s_mul_i32 s82, s15, 55
	s_mul_i32 s83, s15, 56
	s_lshl_b64 s[24:25], s[6:7], 2
	v_accvgpr_write_b32 a15, 0
	v_accvgpr_write_b32 a14, 0
	;; [unrolled: 1-line block ×16, first 2 shown]
	v_lshl_add_u64 v[8:9], v[8:9], 0, v[0:1]
	s_mul_i32 s84, s15, 57
	s_mul_i32 s85, s15, 58
	;; [unrolled: 1-line block ×7, first 2 shown]
	v_cmp_gt_i32_e64 s[0:1], s13, v12
	v_cmp_gt_i32_e64 s[6:7], s13, v13
	s_mov_b64 s[14:15], 0
	s_mov_b64 s[28:29], 0x300
	s_branch .LBB82_24
.LBB82_22:                              ;   in Loop: Header=BB82_24 Depth=1
	v_mul_lo_u32 v0, v0, s21
	v_add_u32_e32 v0, s20, v0
	v_add_u32_e32 v82, v0, v77
	v_ashrrev_i32_e32 v83, 31, v82
	v_lshl_add_u64 v[82:83], v[82:83], 2, v[6:7]
	global_load_dword v0, v[82:83], off
.LBB82_23:                              ;   in Loop: Header=BB82_24 Depth=1
	s_waitcnt vmcnt(0)
	ds_write2_b32 v79, v0, v1 offset0:148 offset1:214
	v_add_u32_e32 v0, 0x400, v79
	ds_write2_b32 v0, v1, v1 offset0:24 offset1:90
	ds_write2_b32 v0, v1, v1 offset0:156 offset1:222
	v_add_u32_e32 v0, 0x800, v79
	ds_write2_b32 v0, v1, v1 offset0:32 offset1:98
	;; [unrolled: 3-line block ×3, first 2 shown]
	ds_write2_b32 v0, v1, v1 offset0:172 offset1:238
	ds_read2_b64 v[82:85], v80 offset0:8 offset1:12
	v_add_u32_e32 v77, 0xc0, v77
	s_waitcnt lgkmcnt(0)
	v_mfma_f32_16x16x4_f32 a[12:15], v38, v82, a[12:15]
	v_cmp_le_i32_e32 vcc, s12, v77
	v_lshl_add_u64 v[8:9], v[8:9], 0, s[28:29]
	s_or_b64 s[14:15], vcc, s[14:15]
	v_mfma_f32_16x16x4_f32 a[8:11], v50, v82, a[8:11]
	v_mfma_f32_16x16x4_f32 a[4:7], v60, v82, a[4:7]
	;; [unrolled: 1-line block ×15, first 2 shown]
	ds_read2_b64 v[70:73], v80 offset0:16 offset1:20
	s_waitcnt lgkmcnt(0)
	v_mfma_f32_16x16x4_f32 a[12:15], v26, v70, a[12:15]
	v_mfma_f32_16x16x4_f32 a[8:11], v42, v70, a[8:11]
	;; [unrolled: 1-line block ×14, first 2 shown]
	ds_read2_b64 v[36:39], v80 offset0:24 offset1:28
	v_mfma_f32_16x16x4_f32 a[4:7], v49, v73, a[4:7]
	v_mfma_f32_16x16x4_f32 a[0:3], v67, v73, a[0:3]
	s_waitcnt lgkmcnt(0)
	v_mfma_f32_16x16x4_f32 a[12:15], v18, v36, a[12:15]
	v_mfma_f32_16x16x4_f32 a[8:11], v30, v36, a[8:11]
	;; [unrolled: 1-line block ×14, first 2 shown]
	ds_read2_b64 v[22:25], v80 offset0:32 offset1:36
	v_mfma_f32_16x16x4_f32 a[4:7], v41, v39, a[4:7]
	v_mfma_f32_16x16x4_f32 a[0:3], v63, v39, a[0:3]
	s_waitcnt lgkmcnt(0)
	v_mfma_f32_16x16x4_f32 a[12:15], v12, v22, a[12:15]
	v_mfma_f32_16x16x4_f32 a[8:11], v20, v22, a[8:11]
	;; [unrolled: 1-line block ×16, first 2 shown]
	s_andn2_b64 exec, exec, s[14:15]
	s_cbranch_execz .LBB82_35
.LBB82_24:                              ; =>This Inner Loop Header: Depth=1
	v_lshl_add_u64 v[10:11], v[8:9], 0, s[24:25]
	global_load_dword v0, v[8:9], off
	global_load_dword v26, v[10:11], off
	v_add_u32_e32 v10, s23, v77
	v_add_u32_e32 v14, s30, v77
	;; [unrolled: 1-line block ×5, first 2 shown]
	v_ashrrev_i32_e32 v11, 31, v10
	v_add_u32_e32 v12, s27, v77
	v_ashrrev_i32_e32 v15, 31, v14
	v_ashrrev_i32_e32 v17, 31, v16
	;; [unrolled: 1-line block ×3, first 2 shown]
	v_add_u32_e32 v20, s34, v77
	v_ashrrev_i32_e32 v23, 31, v22
	v_add_u32_e32 v24, s36, v77
	v_lshl_add_u64 v[10:11], v[10:11], 2, v[4:5]
	v_ashrrev_i32_e32 v13, 31, v12
	v_lshl_add_u64 v[14:15], v[14:15], 2, v[4:5]
	v_lshl_add_u64 v[16:17], v[16:17], 2, v[4:5]
	;; [unrolled: 1-line block ×3, first 2 shown]
	v_ashrrev_i32_e32 v21, 31, v20
	v_lshl_add_u64 v[22:23], v[22:23], 2, v[4:5]
	v_ashrrev_i32_e32 v25, 31, v24
	v_lshl_add_u64 v[12:13], v[12:13], 2, v[4:5]
	v_lshl_add_u64 v[20:21], v[20:21], 2, v[4:5]
	;; [unrolled: 1-line block ×3, first 2 shown]
	global_load_dword v27, v[10:11], off
	global_load_dword v28, v[12:13], off
	;; [unrolled: 1-line block ×6, first 2 shown]
	s_nop 0
	global_load_dword v22, v[22:23], off
	s_nop 0
	global_load_dword v23, v[24:25], off
	v_add_u32_e32 v10, s37, v77
	v_add_u32_e32 v14, s39, v77
	;; [unrolled: 1-line block ×4, first 2 shown]
	v_ashrrev_i32_e32 v11, 31, v10
	v_add_u32_e32 v12, s38, v77
	v_ashrrev_i32_e32 v15, 31, v14
	v_ashrrev_i32_e32 v17, 31, v16
	;; [unrolled: 1-line block ×3, first 2 shown]
	v_add_u32_e32 v20, s42, v77
	v_lshl_add_u64 v[10:11], v[10:11], 2, v[4:5]
	v_ashrrev_i32_e32 v13, 31, v12
	v_lshl_add_u64 v[14:15], v[14:15], 2, v[4:5]
	v_lshl_add_u64 v[16:17], v[16:17], 2, v[4:5]
	;; [unrolled: 1-line block ×3, first 2 shown]
	v_ashrrev_i32_e32 v21, 31, v20
	v_lshl_add_u64 v[12:13], v[12:13], 2, v[4:5]
	v_lshl_add_u64 v[20:21], v[20:21], 2, v[4:5]
	global_load_dword v24, v[10:11], off
	global_load_dword v25, v[12:13], off
	s_nop 0
	global_load_dword v15, v[14:15], off
	s_nop 0
	;; [unrolled: 2-line block ×4, first 2 shown]
	global_load_dword v18, v[20:21], off
	v_add_u32_e32 v10, s43, v77
	v_add_u32_e32 v12, s44, v77
	v_ashrrev_i32_e32 v11, 31, v10
	v_add_u32_e32 v14, s45, v77
	v_ashrrev_i32_e32 v13, 31, v12
	v_lshl_add_u64 v[10:11], v[10:11], 2, v[4:5]
	v_lshl_add_u64 v[12:13], v[12:13], 2, v[4:5]
	global_load_dword v34, v[10:11], off
	global_load_dword v35, v[12:13], off
	v_add_u32_e32 v12, s46, v77
	v_add_u32_e32 v20, s50, v77
	v_ashrrev_i32_e32 v13, 31, v12
	v_ashrrev_i32_e32 v21, 31, v20
	v_lshl_add_u64 v[12:13], v[12:13], 2, v[4:5]
	v_lshl_add_u64 v[20:21], v[20:21], 2, v[4:5]
	s_andn2_b64 vcc, exec, s[2:3]
	s_waitcnt vmcnt(17)
	ds_write_b32 v79, v0 offset:64
	s_waitcnt vmcnt(16)
	ds_write_b32 v79, v26 offset:328
	;; [unrolled: 2-line block ×16, first 2 shown]
	v_ashrrev_i32_e32 v15, 31, v14
	v_lshl_add_u64 v[10:11], v[14:15], 2, v[4:5]
	v_add_u32_e32 v14, s47, v77
	v_add_u32_e32 v16, s48, v77
	;; [unrolled: 1-line block ×5, first 2 shown]
	v_ashrrev_i32_e32 v15, 31, v14
	v_ashrrev_i32_e32 v17, 31, v16
	;; [unrolled: 1-line block ×5, first 2 shown]
	v_lshl_add_u64 v[14:15], v[14:15], 2, v[4:5]
	v_lshl_add_u64 v[16:17], v[16:17], 2, v[4:5]
	v_lshl_add_u64 v[18:19], v[18:19], 2, v[4:5]
	v_lshl_add_u64 v[22:23], v[22:23], 2, v[4:5]
	v_lshl_add_u64 v[24:25], v[24:25], 2, v[4:5]
	global_load_dword v0, v[10:11], off
	global_load_dword v28, v[12:13], off
	global_load_dword v29, v[14:15], off
	global_load_dword v30, v[16:17], off
	global_load_dword v31, v[18:19], off
	global_load_dword v36, v[20:21], off
	global_load_dword v37, v[22:23], off
	global_load_dword v40, v[24:25], off
	v_add_u32_e32 v10, s53, v77
	v_ashrrev_i32_e32 v11, 31, v10
	v_add_u32_e32 v12, s54, v77
	v_add_u32_e32 v14, s55, v77
	v_add_u32_e32 v16, s56, v77
	v_add_u32_e32 v18, s57, v77
	v_add_u32_e32 v20, s58, v77
	v_add_u32_e32 v22, s59, v77
	v_add_u32_e32 v24, s60, v77
	v_lshl_add_u64 v[10:11], v[10:11], 2, v[4:5]
	v_ashrrev_i32_e32 v13, 31, v12
	v_ashrrev_i32_e32 v15, 31, v14
	v_ashrrev_i32_e32 v17, 31, v16
	v_ashrrev_i32_e32 v19, 31, v18
	v_ashrrev_i32_e32 v21, 31, v20
	v_ashrrev_i32_e32 v23, 31, v22
	v_ashrrev_i32_e32 v25, 31, v24
	v_lshl_add_u64 v[12:13], v[12:13], 2, v[4:5]
	v_lshl_add_u64 v[14:15], v[14:15], 2, v[4:5]
	v_lshl_add_u64 v[16:17], v[16:17], 2, v[4:5]
	v_lshl_add_u64 v[18:19], v[18:19], 2, v[4:5]
	v_lshl_add_u64 v[20:21], v[20:21], 2, v[4:5]
	v_lshl_add_u64 v[22:23], v[22:23], 2, v[4:5]
	v_lshl_add_u64 v[24:25], v[24:25], 2, v[4:5]
	global_load_dword v41, v[10:11], off
	global_load_dword v42, v[12:13], off
	global_load_dword v43, v[14:15], off
	global_load_dword v44, v[16:17], off
	global_load_dword v45, v[18:19], off
	global_load_dword v46, v[20:21], off
	global_load_dword v48, v[22:23], off
	global_load_dword v49, v[24:25], off
	v_add_u32_e32 v10, s61, v77
	v_ashrrev_i32_e32 v11, 31, v10
	v_add_u32_e32 v12, s62, v77
	v_add_u32_e32 v14, s63, v77
	v_add_u32_e32 v16, s64, v77
	v_add_u32_e32 v18, s65, v77
	v_add_u32_e32 v20, s66, v77
	v_add_u32_e32 v22, s67, v77
	v_add_u32_e32 v24, s68, v77
	v_lshl_add_u64 v[10:11], v[10:11], 2, v[4:5]
	v_ashrrev_i32_e32 v13, 31, v12
	v_ashrrev_i32_e32 v15, 31, v14
	v_ashrrev_i32_e32 v17, 31, v16
	v_ashrrev_i32_e32 v19, 31, v18
	v_ashrrev_i32_e32 v21, 31, v20
	v_ashrrev_i32_e32 v23, 31, v22
	v_ashrrev_i32_e32 v25, 31, v24
	v_lshl_add_u64 v[12:13], v[12:13], 2, v[4:5]
	v_lshl_add_u64 v[14:15], v[14:15], 2, v[4:5]
	;; [unrolled: 32-line block ×4, first 2 shown]
	v_lshl_add_u64 v[16:17], v[16:17], 2, v[4:5]
	v_lshl_add_u64 v[18:19], v[18:19], 2, v[4:5]
	;; [unrolled: 1-line block ×5, first 2 shown]
	global_load_dword v68, v[10:11], off
	global_load_dword v69, v[12:13], off
	;; [unrolled: 1-line block ×8, first 2 shown]
	v_add_u32_e32 v10, s85, v77
	v_ashrrev_i32_e32 v11, 31, v10
	v_add_u32_e32 v12, s86, v77
	v_lshl_add_u64 v[10:11], v[10:11], 2, v[4:5]
	v_ashrrev_i32_e32 v13, 31, v12
	v_lshl_add_u64 v[12:13], v[12:13], 2, v[4:5]
	global_load_dword v83, v[10:11], off
	global_load_dword v84, v[12:13], off
	v_add_u32_e32 v10, s87, v77
	v_ashrrev_i32_e32 v11, 31, v10
	v_add_u32_e32 v12, s88, v77
	v_add_u32_e32 v14, s89, v77
	;; [unrolled: 1-line block ×3, first 2 shown]
	v_lshl_add_u64 v[10:11], v[10:11], 2, v[4:5]
	v_ashrrev_i32_e32 v13, 31, v12
	v_ashrrev_i32_e32 v15, 31, v14
	;; [unrolled: 1-line block ×3, first 2 shown]
	v_lshl_add_u64 v[12:13], v[12:13], 2, v[4:5]
	v_lshl_add_u64 v[14:15], v[14:15], 2, v[4:5]
	;; [unrolled: 1-line block ×3, first 2 shown]
	global_load_dword v85, v[10:11], off
	global_load_dword v86, v[12:13], off
	;; [unrolled: 1-line block ×4, first 2 shown]
	ds_read_b64 v[38:39], v80 offset:64
	ds_read_b64 v[32:33], v80 offset:96
	ds_read_b64 v[26:27], v80 offset:128
	ds_read_b64 v[22:23], v80 offset:160
	ds_read_b64 v[18:19], v80 offset:192
	ds_read_b64 v[14:15], v80 offset:224
	ds_read_b64 v[12:13], v80 offset:256
	ds_read_b64 v[10:11], v80 offset:288
	s_waitcnt vmcnt(47)
	ds_write_b32 v79, v34 offset:64
	s_waitcnt vmcnt(46)
	ds_write_b32 v79, v35 offset:328
	s_waitcnt vmcnt(45)
	ds_write_b32 v79, v0 offset:592
	s_waitcnt vmcnt(44)
	ds_write_b32 v79, v28 offset:856
	s_waitcnt vmcnt(43)
	ds_write_b32 v79, v29 offset:1120
	s_waitcnt vmcnt(42)
	ds_write_b32 v79, v30 offset:1384
	s_waitcnt vmcnt(41)
	ds_write_b32 v79, v31 offset:1648
	s_waitcnt vmcnt(40)
	ds_write_b32 v79, v36 offset:1912
	s_waitcnt vmcnt(39)
	ds_write_b32 v79, v37 offset:2176
	s_waitcnt vmcnt(38)
	ds_write_b32 v79, v40 offset:2440
	s_waitcnt vmcnt(37)
	ds_write_b32 v79, v41 offset:2704
	s_waitcnt vmcnt(36)
	ds_write_b32 v79, v42 offset:2968
	s_waitcnt vmcnt(35)
	ds_write_b32 v79, v43 offset:3232
	s_waitcnt vmcnt(34)
	ds_write_b32 v79, v44 offset:3496
	s_waitcnt vmcnt(33)
	ds_write_b32 v79, v45 offset:3760
	s_waitcnt vmcnt(32)
	ds_write_b32 v79, v46 offset:4024
	ds_read_b64 v[50:51], v80 offset:64
	ds_read_b64 v[46:47], v80 offset:96
	ds_read_b64 v[42:43], v80 offset:128
	ds_read_b64 v[36:37], v80 offset:160
	ds_read_b64 v[30:31], v80 offset:192
	ds_read_b64 v[24:25], v80 offset:224
	ds_read_b64 v[20:21], v80 offset:256
	ds_read_b64 v[16:17], v80 offset:288
	s_waitcnt vmcnt(31)
	ds_write_b32 v79, v48 offset:64
	s_waitcnt vmcnt(30)
	ds_write_b32 v79, v49 offset:328
	s_waitcnt vmcnt(29)
	ds_write_b32 v79, v52 offset:592
	s_waitcnt vmcnt(28)
	ds_write_b32 v79, v53 offset:856
	s_waitcnt vmcnt(27)
	ds_write_b32 v79, v54 offset:1120
	s_waitcnt vmcnt(26)
	ds_write_b32 v79, v55 offset:1384
	s_waitcnt vmcnt(25)
	ds_write_b32 v79, v56 offset:1648
	s_waitcnt vmcnt(24)
	ds_write_b32 v79, v57 offset:1912
	s_waitcnt vmcnt(23)
	ds_write_b32 v79, v58 offset:2176
	s_waitcnt vmcnt(22)
	ds_write_b32 v79, v59 offset:2440
	s_waitcnt vmcnt(21)
	ds_write_b32 v79, v60 offset:2704
	s_waitcnt vmcnt(20)
	ds_write_b32 v79, v61 offset:2968
	s_waitcnt vmcnt(19)
	ds_write_b32 v79, v62 offset:3232
	s_waitcnt vmcnt(18)
	ds_write_b32 v79, v63 offset:3496
	s_waitcnt vmcnt(17)
	ds_write_b32 v79, v64 offset:3760
	s_waitcnt vmcnt(16)
	ds_write_b32 v79, v65 offset:4024
	;; [unrolled: 40-line block ×3, first 2 shown]
	ds_read_b64 v[72:73], v80 offset:64
	ds_read_b64 v[70:71], v80 offset:96
	;; [unrolled: 1-line block ×8, first 2 shown]
	v_mov_b32_e32 v0, 0
	s_cbranch_vccnz .LBB82_28
; %bb.25:                               ;   in Loop: Header=BB82_24 Depth=1
	ds_read_b32 v0, v78
	s_waitcnt lgkmcnt(0)
	v_cmp_gt_i32_e32 vcc, 0, v0
	s_cbranch_vccnz .LBB82_27
; %bb.26:                               ;   in Loop: Header=BB82_24 Depth=1
	v_mul_lo_u32 v0, v0, s21
	v_add_u32_e32 v82, v77, v0
	v_ashrrev_i32_e32 v83, 31, v82
	v_lshl_add_u64 v[82:83], v[82:83], 2, v[6:7]
	global_load_dword v0, v[82:83], off
	s_branch .LBB82_28
.LBB82_27:                              ;   in Loop: Header=BB82_24 Depth=1
	v_mov_b32_e32 v0, 0
.LBB82_28:                              ;   in Loop: Header=BB82_24 Depth=1
	s_waitcnt vmcnt(0)
	ds_write_b32 v79, v0 offset:64
	v_mov_b32_e32 v0, 0
	s_andn2_b64 vcc, exec, s[0:1]
	v_mov_b32_e32 v81, 0
	s_cbranch_vccnz .LBB82_31
; %bb.29:                               ;   in Loop: Header=BB82_24 Depth=1
	ds_read_b32 v81, v78 offset:4
	s_waitcnt lgkmcnt(0)
	v_cmp_gt_i32_e32 vcc, 0, v81
	s_cbranch_vccnz .LBB82_34
; %bb.30:                               ;   in Loop: Header=BB82_24 Depth=1
	v_mul_lo_u32 v81, v81, s21
	v_add_u32_e32 v81, s16, v81
	v_add_u32_e32 v82, v81, v77
	v_ashrrev_i32_e32 v83, 31, v82
	v_lshl_add_u64 v[82:83], v[82:83], 2, v[6:7]
	global_load_dword v81, v[82:83], off
.LBB82_31:                              ;   in Loop: Header=BB82_24 Depth=1
	s_andn2_b64 vcc, exec, s[6:7]
	s_waitcnt vmcnt(0)
	ds_write_b32 v79, v81 offset:328
	s_cbranch_vccnz .LBB82_23
.LBB82_32:                              ;   in Loop: Header=BB82_24 Depth=1
	ds_read_b32 v0, v78 offset:8
	s_waitcnt lgkmcnt(0)
	v_cmp_gt_i32_e32 vcc, 0, v0
	s_cbranch_vccz .LBB82_22
; %bb.33:                               ;   in Loop: Header=BB82_24 Depth=1
	v_mov_b32_e32 v0, 0
	s_branch .LBB82_23
.LBB82_34:                              ;   in Loop: Header=BB82_24 Depth=1
	v_mov_b32_e32 v81, 0
	s_andn2_b64 vcc, exec, s[6:7]
	ds_write_b32 v79, v81 offset:328
	s_cbranch_vccnz .LBB82_23
	s_branch .LBB82_32
.LBB82_35:
	s_or_b64 exec, exec, s[14:15]
.LBB82_36:
	s_or_b64 exec, exec, s[18:19]
	v_mov_b32_e32 v0, 0x100
	v_lshl_add_u32 v4, v75, 2, v0
	v_mul_u32_u24_e32 v0, 0x308, v76
	v_and_b32_e32 v1, 0x3f0, v2
	v_add3_u32 v0, v4, v0, v1
	v_accvgpr_read_b32 v1, a13
	v_accvgpr_read_b32 v5, a12
	s_waitcnt lgkmcnt(0)
	s_barrier
	ds_write2_b32 v0, v5, v1 offset0:16 offset1:17
	v_accvgpr_read_b32 v1, a15
	v_accvgpr_read_b32 v5, a14
	ds_write2_b32 v0, v5, v1 offset0:18 offset1:19
	v_accvgpr_read_b32 v1, a9
	v_accvgpr_read_b32 v5, a8
	;; [unrolled: 3-line block ×7, first 2 shown]
	s_movk_i32 s0, 0x100
	ds_write2_b32 v0, v5, v1 offset0:66 offset1:67
	v_lshlrev_b32_e32 v0, 2, v2
	v_mul_u32_u24_e32 v1, 0x308, v3
	v_add3_u32 v5, s0, v0, v1
	s_waitcnt lgkmcnt(0)
	s_barrier
	ds_read2_b32 v[0:1], v5 offset0:16 offset1:80
	ds_read_b32 v6, v5 offset:576
	v_cmp_gt_u32_e32 vcc, 3, v3
	v_mov_b32_e32 v5, -1
	s_and_saveexec_b64 s[0:1], vcc
; %bb.37:
	s_movk_i32 s2, 0xff04
	v_mad_i32_i24 v4, v3, s2, v4
	ds_read_b32 v5, v4
; %bb.38:
	s_or_b64 exec, exec, s[0:1]
	s_waitcnt lgkmcnt(0)
	v_cmp_lt_i32_e32 vcc, -1, v5
	s_and_b64 s[0:1], vcc, s[8:9]
	s_and_saveexec_b64 s[2:3], s[0:1]
	s_cbranch_execz .LBB82_40
; %bb.39:
	v_add_f32_e32 v0, 0, v0
	s_mul_hi_i32 s1, s26, s4
	s_mul_i32 s0, s26, s4
	v_add_f32_e32 v0, v0, v1
	s_lshl_b64 s[0:1], s[0:1], 2
	v_add_f32_e32 v4, v0, v6
	v_mul_hi_i32 v1, v74, s17
	v_mul_lo_u32 v0, v74, s17
	s_add_u32 s0, s10, s0
	v_add_u32_e32 v2, s5, v2
	s_addc_u32 s1, s11, s1
	v_lshlrev_b64 v[0:1], 2, v[0:1]
	v_mul_lo_u32 v5, v5, s22
	v_mul_lo_u32 v3, v3, s17
	v_lshl_add_u64 v[0:1], s[0:1], 0, v[0:1]
	v_add3_u32 v2, v2, v3, v5
	v_mov_b32_e32 v3, 0
	v_lshl_add_u64 v[0:1], v[2:3], 2, v[0:1]
	global_store_dword v[0:1], v4, off
.LBB82_40:
	s_endpgm
	.section	.rodata,"a",@progbits
	.p2align	6, 0x0
	.amdhsa_kernel _ZL9mul_mat_fIfLi64ELi3ELi3ELb1EEvPKT_PKfPKiPfiiiiiiiiiiiiiiii
		.amdhsa_group_segment_fixed_size 256
		.amdhsa_private_segment_fixed_size 0
		.amdhsa_kernarg_size 352
		.amdhsa_user_sgpr_count 2
		.amdhsa_user_sgpr_dispatch_ptr 0
		.amdhsa_user_sgpr_queue_ptr 0
		.amdhsa_user_sgpr_kernarg_segment_ptr 1
		.amdhsa_user_sgpr_dispatch_id 0
		.amdhsa_user_sgpr_kernarg_preload_length 0
		.amdhsa_user_sgpr_kernarg_preload_offset 0
		.amdhsa_user_sgpr_private_segment_size 0
		.amdhsa_uses_dynamic_stack 0
		.amdhsa_enable_private_segment 0
		.amdhsa_system_sgpr_workgroup_id_x 1
		.amdhsa_system_sgpr_workgroup_id_y 1
		.amdhsa_system_sgpr_workgroup_id_z 1
		.amdhsa_system_sgpr_workgroup_info 0
		.amdhsa_system_vgpr_workitem_id 2
		.amdhsa_next_free_vgpr 108
		.amdhsa_next_free_sgpr 91
		.amdhsa_accum_offset 92
		.amdhsa_reserve_vcc 1
		.amdhsa_float_round_mode_32 0
		.amdhsa_float_round_mode_16_64 0
		.amdhsa_float_denorm_mode_32 3
		.amdhsa_float_denorm_mode_16_64 3
		.amdhsa_dx10_clamp 1
		.amdhsa_ieee_mode 1
		.amdhsa_fp16_overflow 0
		.amdhsa_tg_split 0
		.amdhsa_exception_fp_ieee_invalid_op 0
		.amdhsa_exception_fp_denorm_src 0
		.amdhsa_exception_fp_ieee_div_zero 0
		.amdhsa_exception_fp_ieee_overflow 0
		.amdhsa_exception_fp_ieee_underflow 0
		.amdhsa_exception_fp_ieee_inexact 0
		.amdhsa_exception_int_div_zero 0
	.end_amdhsa_kernel
	.section	.text._ZL9mul_mat_fIfLi64ELi3ELi3ELb1EEvPKT_PKfPKiPfiiiiiiiiiiiiiiii,"axG",@progbits,_ZL9mul_mat_fIfLi64ELi3ELi3ELb1EEvPKT_PKfPKiPfiiiiiiiiiiiiiiii,comdat
.Lfunc_end82:
	.size	_ZL9mul_mat_fIfLi64ELi3ELi3ELb1EEvPKT_PKfPKiPfiiiiiiiiiiiiiiii, .Lfunc_end82-_ZL9mul_mat_fIfLi64ELi3ELi3ELb1EEvPKT_PKfPKiPfiiiiiiiiiiiiiiii
                                        ; -- End function
	.set _ZL9mul_mat_fIfLi64ELi3ELi3ELb1EEvPKT_PKfPKiPfiiiiiiiiiiiiiiii.num_vgpr, 89
	.set _ZL9mul_mat_fIfLi64ELi3ELi3ELb1EEvPKT_PKfPKiPfiiiiiiiiiiiiiiii.num_agpr, 16
	.set _ZL9mul_mat_fIfLi64ELi3ELi3ELb1EEvPKT_PKfPKiPfiiiiiiiiiiiiiiii.numbered_sgpr, 91
	.set _ZL9mul_mat_fIfLi64ELi3ELi3ELb1EEvPKT_PKfPKiPfiiiiiiiiiiiiiiii.num_named_barrier, 0
	.set _ZL9mul_mat_fIfLi64ELi3ELi3ELb1EEvPKT_PKfPKiPfiiiiiiiiiiiiiiii.private_seg_size, 0
	.set _ZL9mul_mat_fIfLi64ELi3ELi3ELb1EEvPKT_PKfPKiPfiiiiiiiiiiiiiiii.uses_vcc, 1
	.set _ZL9mul_mat_fIfLi64ELi3ELi3ELb1EEvPKT_PKfPKiPfiiiiiiiiiiiiiiii.uses_flat_scratch, 0
	.set _ZL9mul_mat_fIfLi64ELi3ELi3ELb1EEvPKT_PKfPKiPfiiiiiiiiiiiiiiii.has_dyn_sized_stack, 0
	.set _ZL9mul_mat_fIfLi64ELi3ELi3ELb1EEvPKT_PKfPKiPfiiiiiiiiiiiiiiii.has_recursion, 0
	.set _ZL9mul_mat_fIfLi64ELi3ELi3ELb1EEvPKT_PKfPKiPfiiiiiiiiiiiiiiii.has_indirect_call, 0
	.section	.AMDGPU.csdata,"",@progbits
; Kernel info:
; codeLenInByte = 5916
; TotalNumSgprs: 97
; NumVgprs: 89
; NumAgprs: 16
; TotalNumVgprs: 108
; ScratchSize: 0
; MemoryBound: 0
; FloatMode: 240
; IeeeMode: 1
; LDSByteSize: 256 bytes/workgroup (compile time only)
; SGPRBlocks: 12
; VGPRBlocks: 13
; NumSGPRsForWavesPerEU: 97
; NumVGPRsForWavesPerEU: 108
; AccumOffset: 92
; Occupancy: 4
; WaveLimiterHint : 0
; COMPUTE_PGM_RSRC2:SCRATCH_EN: 0
; COMPUTE_PGM_RSRC2:USER_SGPR: 2
; COMPUTE_PGM_RSRC2:TRAP_HANDLER: 0
; COMPUTE_PGM_RSRC2:TGID_X_EN: 1
; COMPUTE_PGM_RSRC2:TGID_Y_EN: 1
; COMPUTE_PGM_RSRC2:TGID_Z_EN: 1
; COMPUTE_PGM_RSRC2:TIDIG_COMP_CNT: 2
; COMPUTE_PGM_RSRC3_GFX90A:ACCUM_OFFSET: 22
; COMPUTE_PGM_RSRC3_GFX90A:TG_SPLIT: 0
	.section	.text._ZL9mul_mat_fIfLi64ELi3ELi3ELb0EEvPKT_PKfPKiPfiiiiiiiiiiiiiiii,"axG",@progbits,_ZL9mul_mat_fIfLi64ELi3ELi3ELb0EEvPKT_PKfPKiPfiiiiiiiiiiiiiiii,comdat
	.globl	_ZL9mul_mat_fIfLi64ELi3ELi3ELb0EEvPKT_PKfPKiPfiiiiiiiiiiiiiiii ; -- Begin function _ZL9mul_mat_fIfLi64ELi3ELi3ELb0EEvPKT_PKfPKiPfiiiiiiiiiiiiiiii
	.p2align	8
	.type	_ZL9mul_mat_fIfLi64ELi3ELi3ELb0EEvPKT_PKfPKiPfiiiiiiiiiiiiiiii,@function
_ZL9mul_mat_fIfLi64ELi3ELi3ELb0EEvPKT_PKfPKiPfiiiiiiiiiiiiiiii: ; @_ZL9mul_mat_fIfLi64ELi3ELi3ELb0EEvPKT_PKfPKiPfiiiiiiiiiiiiiiii
; %bb.0:
	s_load_dword s5, s[0:1], 0x20
	s_load_dwordx4 s[16:19], s[0:1], 0x2c
	v_bfe_u32 v78, v0, 10, 10
	v_lshlrev_b32_e32 v80, 6, v78
	v_and_b32_e32 v79, 0x3ff, v0
	v_add_u32_e32 v82, v80, v79
	s_waitcnt lgkmcnt(0)
	s_ashr_i32 s19, s4, 31
	v_cmp_le_i32_e32 vcc, s5, v82
	v_and_b32_e32 v81, 15, v79
	s_and_saveexec_b64 s[6:7], vcc
	s_xor_b64 s[6:7], exec, s[6:7]
; %bb.1:
	v_and_b32_e32 v81, 15, v79
                                        ; implicit-def: $vgpr82
; %bb.2:
	s_or_saveexec_b64 s[24:25], s[6:7]
	s_load_dwordx8 s[8:15], s[0:1], 0x40
	s_load_dwordx2 s[6:7], s[0:1], 0x18
	s_lshl_b32 s2, s2, 6
	v_mov_b32_e32 v1, 0
	v_accvgpr_write_b32 a0, 0
	v_accvgpr_write_b32 a1, 0
	;; [unrolled: 1-line block ×16, first 2 shown]
	v_lshlrev_b32_e32 v0, 2, v79
	s_xor_b64 exec, exec, s[24:25]
	s_cbranch_execz .LBB83_6
; %bb.3:
	s_waitcnt lgkmcnt(0)
	s_abs_i32 s26, s8
	v_cvt_f32_u32_e32 v2, s26
	s_abs_i32 s27, s12
	v_cvt_f32_u32_e32 v3, s27
	s_sub_i32 s20, 0, s26
	v_rcp_iflag_f32_e32 v2, v2
	s_abs_i32 s28, s3
	v_rcp_iflag_f32_e32 v3, v3
	s_sub_i32 s21, 0, s27
	v_mul_f32_e32 v2, 0x4f7ffffe, v2
	v_cvt_u32_f32_e32 v2, v2
	v_mul_f32_e32 v3, 0x4f7ffffe, v3
	v_cvt_u32_f32_e32 v3, v3
	s_abs_i32 s29, s4
	v_mul_lo_u32 v4, s20, v2
	v_mul_hi_u32 v4, v2, v4
	v_add_u32_e32 v2, v2, v4
	v_mul_hi_u32 v2, s28, v2
	v_mul_lo_u32 v5, s21, v3
	v_mul_lo_u32 v4, v2, s26
	v_mul_hi_u32 v5, v3, v5
	v_sub_u32_e32 v4, s28, v4
	v_add_u32_e32 v3, v3, v5
	v_add_u32_e32 v5, 1, v2
	v_subrev_u32_e32 v6, s26, v4
	v_cmp_le_u32_e32 vcc, s26, v4
	s_load_dwordx4 s[20:23], s[0:1], 0x0
	s_ashr_i32 s0, s3, 31
	v_cndmask_b32_e32 v2, v2, v5, vcc
	v_cndmask_b32_e32 v4, v4, v6, vcc
	s_ashr_i32 s1, s8, 31
	v_add_u32_e32 v5, 1, v2
	v_cmp_le_u32_e32 vcc, s26, v4
	s_xor_b32 s0, s0, s1
	v_mul_hi_u32 v3, s29, v3
	v_cndmask_b32_e32 v2, v2, v5, vcc
	v_xor_b32_e32 v2, s0, v2
	v_subrev_u32_e32 v4, s0, v2
	v_mul_lo_u32 v2, v3, s27
	v_sub_u32_e32 v2, s29, v2
	v_add_u32_e32 v5, 1, v3
	v_subrev_u32_e32 v6, s27, v2
	v_cmp_le_u32_e32 vcc, s27, v2
	s_ashr_i32 s8, s12, 31
	s_xor_b32 s0, s19, s8
	v_cndmask_b32_e32 v3, v3, v5, vcc
	v_cndmask_b32_e32 v2, v2, v6, vcc
	v_add_u32_e32 v5, 1, v3
	v_cmp_le_u32_e32 vcc, s27, v2
	v_mul_lo_u32 v4, v4, s9
	s_mul_hi_i32 s9, s14, s4
	v_cndmask_b32_e32 v2, v3, v5, vcc
	s_mul_i32 s8, s14, s4
	v_xor_b32_e32 v2, s0, v2
	s_lshl_b64 s[8:9], s[8:9], 2
	v_subrev_u32_e32 v2, s0, v2
	s_mul_i32 s0, s16, s2
	s_mul_i32 s26, s10, s3
	s_waitcnt lgkmcnt(0)
	s_add_u32 s10, s22, s8
	s_addc_u32 s14, s23, s9
	s_ashr_i32 s1, s0, 31
	s_ashr_i32 s27, s26, 31
	v_mul_hi_i32 v3, v2, s13
	v_mul_lo_u32 v2, v2, s13
	s_lshl_b64 s[12:13], s[0:1], 2
	s_lshl_b64 s[26:27], s[26:27], 2
	s_add_u32 s0, s10, s26
	s_addc_u32 s1, s14, s27
	s_movk_i32 s10, 0x1080
	s_ashr_i32 s69, s16, 31
	s_mov_b32 s68, s16
	s_ashr_i32 s71, s17, 31
	s_mov_b32 s70, s17
	v_ashrrev_i32_e32 v5, 31, v4
	v_lshlrev_b64 v[8:9], 2, v[2:3]
	v_mad_u32_u24 v6, v78, s10, 0
	s_add_i32 s10, s16, s16
	s_add_i32 s14, s17, s17
	s_lshl_b32 s19, s16, 2
	s_lshl_b32 s31, s16, 3
	;; [unrolled: 1-line block ×4, first 2 shown]
	s_lshl_b64 s[72:73], s[68:69], 2
	s_lshl_b64 s[74:75], s[70:71], 2
	v_lshl_add_u64 v[2:3], s[20:21], 0, v[8:9]
	v_lshlrev_b64 v[4:5], 2, v[4:5]
	v_lshrrev_b32_e32 v10, 1, v79
	s_add_u32 s76, s22, s26
	v_lshl_add_u64 v[2:3], v[2:3], 0, v[4:5]
	v_mul_u32_u24_e32 v7, 0x108, v81
	v_and_b32_e32 v10, 0x1f8, v10
	s_addc_u32 s77, s23, s27
	v_lshl_add_u64 v[4:5], s[20:21], 0, v[4:5]
	v_lshlrev_b32_e32 v14, 8, v78
	v_mov_b32_e32 v15, v1
	v_add_u32_e32 v83, v6, v0
	v_add3_u32 v84, v6, v7, v10
	v_lshl_add_u64 v[10:11], v[4:5], 0, s[12:13]
	v_lshl_add_u64 v[6:7], s[8:9], 0, v[14:15]
	s_add_u32 s8, s76, s74
	v_lshl_add_u64 v[12:13], v[10:11], 0, s[72:73]
	s_addc_u32 s9, s77, s75
	v_lshl_add_u64 v[14:15], v[8:9], 0, v[14:15]
	v_lshl_add_u64 v[2:3], v[2:3], 0, s[12:13]
	s_mul_i32 s17, s16, 3
	s_mul_i32 s28, s16, 5
	;; [unrolled: 1-line block ×49, first 2 shown]
	v_lshl_add_u64 v[4:5], s[8:9], 0, v[6:7]
	s_mul_i32 s74, s16, 56
	s_mul_i32 s75, s16, 57
	v_lshl_add_u64 v[6:7], s[76:77], 0, v[6:7]
	s_mul_i32 s76, s16, 58
	s_mul_i32 s77, s16, 59
	v_accvgpr_write_b32 a15, 0
	v_accvgpr_write_b32 a14, 0
	;; [unrolled: 1-line block ×16, first 2 shown]
	v_lshl_add_u64 v[8:9], v[12:13], 0, v[14:15]
	v_lshl_add_u64 v[10:11], v[10:11], 0, v[14:15]
	s_mul_i32 s78, s16, 60
	s_mul_i32 s79, s16, 61
	;; [unrolled: 1-line block ×4, first 2 shown]
	s_mov_b64 s[8:9], 0
	s_mov_b64 s[12:13], 0x300
.LBB83_4:                               ; =>This Inner Loop Header: Depth=1
	v_add_u32_e32 v46, s10, v82
	v_add_u32_e32 v50, s17, v82
	;; [unrolled: 1-line block ×9, first 2 shown]
	v_lshl_add_u64 v[52:53], v[10:11], 0, v[0:1]
	v_add_u32_e32 v48, s28, v82
	v_add_u32_e32 v44, s30, v82
	;; [unrolled: 1-line block ×9, first 2 shown]
	v_lshl_add_u64 v[90:91], v[6:7], 0, v[0:1]
	v_ashrrev_i32_e32 v47, 31, v46
	v_ashrrev_i32_e32 v51, 31, v50
	v_ashrrev_i32_e32 v43, 31, v42
	v_ashrrev_i32_e32 v39, 31, v38
	v_ashrrev_i32_e32 v35, 31, v34
	v_ashrrev_i32_e32 v31, 31, v30
	v_ashrrev_i32_e32 v21, 31, v20
	v_ashrrev_i32_e32 v15, 31, v14
	v_ashrrev_i32_e32 v25, 31, v24
	v_lshl_add_u64 v[54:55], v[8:9], 0, v[0:1]
	v_add_u32_e32 v12, s44, v82
	v_add_u32_e32 v22, s45, v82
	v_lshl_add_u64 v[92:93], v[4:5], 0, v[0:1]
	global_load_dword v87, v[52:53], off
	global_load_dword v88, v[54:55], off
	;; [unrolled: 1-line block ×4, first 2 shown]
	v_lshl_add_u64 v[46:47], v[46:47], 2, v[2:3]
	v_lshl_add_u64 v[90:91], v[50:51], 2, v[2:3]
	v_ashrrev_i32_e32 v49, 31, v48
	v_lshl_add_u64 v[42:43], v[42:43], 2, v[2:3]
	v_ashrrev_i32_e32 v45, 31, v44
	;; [unrolled: 2-line block ×5, first 2 shown]
	v_lshl_add_u64 v[20:21], v[20:21], 2, v[2:3]
	v_lshl_add_u64 v[14:15], v[14:15], 2, v[2:3]
	;; [unrolled: 1-line block ×3, first 2 shown]
	v_ashrrev_i32_e32 v19, 31, v18
	v_ashrrev_i32_e32 v29, 31, v28
	;; [unrolled: 1-line block ×4, first 2 shown]
	v_add_u32_e32 v68, s46, v82
	v_add_u32_e32 v76, s47, v82
	global_load_dword v50, v[46:47], off
	global_load_dword v51, v[90:91], off
	v_lshl_add_u64 v[90:91], v[48:49], 2, v[2:3]
	global_load_dword v48, v[42:43], off
	global_load_dword v49, v[90:91], off
	v_lshl_add_u64 v[44:45], v[44:45], 2, v[2:3]
	global_load_dword v38, v[38:39], off
	s_nop 0
	global_load_dword v39, v[44:45], off
	v_lshl_add_u64 v[40:41], v[40:41], 2, v[2:3]
	global_load_dword v34, v[34:35], off
	s_nop 0
	;; [unrolled: 4-line block ×4, first 2 shown]
	global_load_dword v21, v[32:33], off
	s_nop 0
	global_load_dword v14, v[14:15], off
	s_nop 0
	global_load_dword v15, v[24:25], off
	v_lshl_add_u64 v[18:19], v[18:19], 2, v[2:3]
	v_lshl_add_u64 v[24:25], v[28:29], 2, v[2:3]
	;; [unrolled: 1-line block ×4, first 2 shown]
	v_ashrrev_i32_e32 v13, 31, v12
	v_ashrrev_i32_e32 v23, 31, v22
	v_add_u32_e32 v64, s48, v82
	v_add_u32_e32 v74, s49, v82
	global_load_dword v18, v[18:19], off
	s_nop 0
	global_load_dword v19, v[24:25], off
	s_nop 0
	global_load_dword v24, v[16:17], off
	global_load_dword v25, v[26:27], off
	v_lshl_add_u64 v[12:13], v[12:13], 2, v[2:3]
	v_lshl_add_u64 v[26:27], v[22:23], 2, v[2:3]
	v_ashrrev_i32_e32 v69, 31, v68
	v_ashrrev_i32_e32 v77, 31, v76
	v_add_u32_e32 v62, s50, v82
	v_add_u32_e32 v72, s51, v82
	global_load_dword v22, v[12:13], off
	global_load_dword v23, v[26:27], off
	v_lshl_add_u64 v[26:27], v[68:69], 2, v[2:3]
	v_lshl_add_u64 v[28:29], v[76:77], 2, v[2:3]
	v_ashrrev_i32_e32 v65, 31, v64
	v_ashrrev_i32_e32 v75, 31, v74
	v_add_u32_e32 v60, s52, v82
	v_add_u32_e32 v70, s53, v82
	global_load_dword v26, v[26:27], off
	s_nop 0
	global_load_dword v27, v[28:29], off
	v_lshl_add_u64 v[28:29], v[64:65], 2, v[2:3]
	v_lshl_add_u64 v[32:33], v[74:75], 2, v[2:3]
	v_ashrrev_i32_e32 v63, 31, v62
	v_ashrrev_i32_e32 v73, 31, v72
	v_add_u32_e32 v58, s54, v82
	v_add_u32_e32 v66, s55, v82
	global_load_dword v28, v[28:29], off
	s_nop 0
	global_load_dword v29, v[32:33], off
	v_lshl_add_u64 v[32:33], v[62:63], 2, v[2:3]
	v_lshl_add_u64 v[36:37], v[72:73], 2, v[2:3]
	v_ashrrev_i32_e32 v61, 31, v60
	v_ashrrev_i32_e32 v71, 31, v70
	v_add_u32_e32 v56, s56, v82
	v_add_u32_e32 v54, s57, v82
	;; [unrolled: 1-line block ×3, first 2 shown]
	global_load_dword v32, v[32:33], off
	s_nop 0
	global_load_dword v33, v[36:37], off
	v_lshl_add_u64 v[36:37], v[60:61], 2, v[2:3]
	v_lshl_add_u64 v[40:41], v[70:71], 2, v[2:3]
	v_ashrrev_i32_e32 v59, 31, v58
	v_ashrrev_i32_e32 v67, 31, v66
	v_add_u32_e32 v46, s59, v82
	v_add_u32_e32 v42, s60, v82
	;; [unrolled: 1-line block ×3, first 2 shown]
	global_load_dword v36, v[36:37], off
	s_nop 0
	global_load_dword v37, v[40:41], off
	v_lshl_add_u64 v[40:41], v[58:59], 2, v[2:3]
	v_lshl_add_u64 v[44:45], v[66:67], 2, v[2:3]
	v_ashrrev_i32_e32 v57, 31, v56
	v_ashrrev_i32_e32 v55, 31, v54
	;; [unrolled: 1-line block ×3, first 2 shown]
	v_add_u32_e32 v92, s62, v82
	v_add_u32_e32 v94, s63, v82
	global_load_dword v40, v[40:41], off
	s_nop 0
	global_load_dword v41, v[44:45], off
	v_lshl_add_u64 v[44:45], v[56:57], 2, v[2:3]
	v_lshl_add_u64 v[54:55], v[54:55], 2, v[2:3]
	v_ashrrev_i32_e32 v47, 31, v46
	v_lshl_add_u64 v[52:53], v[52:53], 2, v[2:3]
	v_ashrrev_i32_e32 v43, 31, v42
	v_ashrrev_i32_e32 v91, 31, v90
	v_add_u32_e32 v96, s64, v82
	v_add_u32_e32 v98, s65, v82
	global_load_dword v44, v[44:45], off
	s_nop 0
	global_load_dword v45, v[54:55], off
	v_lshl_add_u64 v[54:55], v[46:47], 2, v[2:3]
	global_load_dword v46, v[52:53], off
	global_load_dword v47, v[54:55], off
	v_lshl_add_u64 v[42:43], v[42:43], 2, v[2:3]
	v_lshl_add_u64 v[52:53], v[90:91], 2, v[2:3]
	v_ashrrev_i32_e32 v93, 31, v92
	v_ashrrev_i32_e32 v95, 31, v94
	v_add_u32_e32 v100, s66, v82
	v_add_u32_e32 v16, s67, v82
	;; [unrolled: 1-line block ×6, first 2 shown]
	global_load_dword v42, v[42:43], off
	s_nop 0
	global_load_dword v43, v[52:53], off
	v_lshl_add_u64 v[52:53], v[92:93], 2, v[2:3]
	v_lshl_add_u64 v[54:55], v[94:95], 2, v[2:3]
	v_ashrrev_i32_e32 v97, 31, v96
	v_ashrrev_i32_e32 v99, 31, v98
	v_add_u32_e32 v62, s21, v82
	v_add_u32_e32 v58, s27, v82
	;; [unrolled: 1-line block ×4, first 2 shown]
	global_load_dword v52, v[52:53], off
	s_nop 0
	global_load_dword v53, v[54:55], off
	v_lshl_add_u64 v[54:55], v[96:97], 2, v[2:3]
	v_lshl_add_u64 v[56:57], v[98:99], 2, v[2:3]
	v_ashrrev_i32_e32 v101, 31, v100
	v_ashrrev_i32_e32 v17, 31, v16
	;; [unrolled: 1-line block ×6, first 2 shown]
	v_add_u32_e32 v72, s70, v82
	v_add_u32_e32 v74, s71, v82
	global_load_dword v54, v[54:55], off
	s_nop 0
	global_load_dword v55, v[56:57], off
	v_lshl_add_u64 v[56:57], v[100:101], 2, v[2:3]
	v_lshl_add_u64 v[16:17], v[16:17], 2, v[2:3]
	;; [unrolled: 1-line block ×4, first 2 shown]
	v_ashrrev_i32_e32 v63, 31, v62
	v_lshl_add_u64 v[64:65], v[64:65], 2, v[2:3]
	v_ashrrev_i32_e32 v59, 31, v58
	v_lshl_add_u64 v[60:61], v[60:61], 2, v[2:3]
	v_ashrrev_i32_e32 v67, 31, v66
	v_ashrrev_i32_e32 v71, 31, v70
	v_add_u32_e32 v76, s72, v82
	global_load_dword v56, v[56:57], off
	s_nop 0
	global_load_dword v57, v[16:17], off
	v_add_u32_e32 v16, s73, v82
	global_load_dword v89, v[12:13], off
	s_nop 0
	global_load_dword v68, v[68:69], off
	v_lshl_add_u64 v[62:63], v[62:63], 2, v[2:3]
	global_load_dword v69, v[64:65], off
	global_load_dword v90, v[62:63], off
	v_lshl_add_u64 v[58:59], v[58:59], 2, v[2:3]
	global_load_dword v91, v[60:61], off
	global_load_dword v92, v[58:59], off
	v_lshl_add_u64 v[60:61], v[66:67], 2, v[2:3]
	v_lshl_add_u64 v[64:65], v[70:71], 2, v[2:3]
	v_ashrrev_i32_e32 v73, 31, v72
	v_ashrrev_i32_e32 v75, 31, v74
	global_load_dword v70, v[60:61], off
	global_load_dword v71, v[64:65], off
	v_lshl_add_u64 v[64:65], v[72:73], 2, v[2:3]
	v_lshl_add_u64 v[66:67], v[74:75], 2, v[2:3]
	v_ashrrev_i32_e32 v77, 31, v76
	v_ashrrev_i32_e32 v17, 31, v16
	v_add_u32_e32 v12, s74, v82
	v_add_u32_e32 v58, s76, v82
	;; [unrolled: 1-line block ×3, first 2 shown]
	global_load_dword v72, v[64:65], off
	global_load_dword v73, v[66:67], off
	v_lshl_add_u64 v[66:67], v[76:77], 2, v[2:3]
	v_lshl_add_u64 v[16:17], v[16:17], 2, v[2:3]
	v_add_u32_e32 v62, s75, v82
	v_add_u32_e32 v64, s78, v82
	global_load_dword v66, v[66:67], off
	s_nop 0
	global_load_dword v67, v[16:17], off
	v_add_u32_e32 v16, s79, v82
	v_ashrrev_i32_e32 v13, 31, v12
	v_ashrrev_i32_e32 v59, 31, v58
	;; [unrolled: 1-line block ×4, first 2 shown]
	v_lshl_add_u64 v[12:13], v[12:13], 2, v[2:3]
	v_lshl_add_u64 v[58:59], v[58:59], 2, v[2:3]
	;; [unrolled: 1-line block ×3, first 2 shown]
	v_ashrrev_i32_e32 v65, 31, v64
	v_ashrrev_i32_e32 v17, 31, v16
	v_lshl_add_u64 v[62:63], v[62:63], 2, v[2:3]
	global_load_dword v74, v[12:13], off
	global_load_dword v75, v[62:63], off
	v_add_u32_e32 v12, s80, v82
	global_load_dword v76, v[58:59], off
	global_load_dword v77, v[60:61], off
	v_lshl_add_u64 v[60:61], v[64:65], 2, v[2:3]
	v_lshl_add_u64 v[16:17], v[16:17], 2, v[2:3]
	v_add_u32_e32 v58, s16, v82
	global_load_dword v93, v[60:61], off
	global_load_dword v94, v[16:17], off
	v_add_u32_e32 v16, s14, v82
	v_ashrrev_i32_e32 v13, 31, v12
	v_ashrrev_i32_e32 v59, 31, v58
	;; [unrolled: 1-line block ×3, first 2 shown]
	v_lshl_add_u64 v[12:13], v[12:13], 2, v[2:3]
	v_lshl_add_u64 v[58:59], v[58:59], 2, v[2:3]
	;; [unrolled: 1-line block ×3, first 2 shown]
	global_load_dword v95, v[12:13], off
	global_load_dword v96, v[58:59], off
	;; [unrolled: 1-line block ×3, first 2 shown]
	s_waitcnt vmcnt(62)
	ds_write_b32 v83, v87
	ds_write_b32 v83, v88 offset:264
	ds_write_b32 v83, v50 offset:528
	s_waitcnt vmcnt(61)
	ds_write_b32 v83, v51 offset:792
	s_waitcnt vmcnt(60)
	ds_write_b32 v83, v48 offset:1056
	s_waitcnt vmcnt(59)
	ds_write_b32 v83, v49 offset:1320
	s_waitcnt vmcnt(58)
	ds_write_b32 v83, v38 offset:1584
	s_waitcnt vmcnt(57)
	ds_write_b32 v83, v39 offset:1848
	s_waitcnt vmcnt(56)
	ds_write_b32 v83, v34 offset:2112
	s_waitcnt vmcnt(55)
	ds_write_b32 v83, v35 offset:2376
	s_waitcnt vmcnt(54)
	ds_write_b32 v83, v30 offset:2640
	s_waitcnt vmcnt(53)
	ds_write_b32 v83, v31 offset:2904
	s_waitcnt vmcnt(52)
	ds_write_b32 v83, v20 offset:3168
	s_waitcnt vmcnt(51)
	ds_write_b32 v83, v21 offset:3432
	s_waitcnt vmcnt(50)
	ds_write_b32 v83, v14 offset:3696
	s_waitcnt vmcnt(49)
	ds_write_b32 v83, v15 offset:3960
	ds_read_b64 v[38:39], v84
	ds_read_b64 v[48:49], v84 offset:32
	ds_read_b64 v[50:51], v84 offset:64
	ds_read_b64 v[34:35], v84 offset:96
	ds_read_b64 v[30:31], v84 offset:128
	ds_read_b64 v[20:21], v84 offset:160
	ds_read_b64 v[16:17], v84 offset:192
	ds_read_b64 v[12:13], v84 offset:224
	s_waitcnt vmcnt(48)
	ds_write_b32 v83, v18
	s_waitcnt vmcnt(47)
	ds_write_b32 v83, v19 offset:264
	s_waitcnt vmcnt(46)
	ds_write_b32 v83, v24 offset:528
	s_waitcnt vmcnt(45)
	ds_write_b32 v83, v25 offset:792
	s_waitcnt vmcnt(44)
	ds_write_b32 v83, v22 offset:1056
	s_waitcnt vmcnt(43)
	ds_write_b32 v83, v23 offset:1320
	s_waitcnt vmcnt(42)
	ds_write_b32 v83, v26 offset:1584
	s_waitcnt vmcnt(41)
	ds_write_b32 v83, v27 offset:1848
	s_waitcnt vmcnt(40)
	ds_write_b32 v83, v28 offset:2112
	s_waitcnt vmcnt(39)
	ds_write_b32 v83, v29 offset:2376
	s_waitcnt vmcnt(38)
	ds_write_b32 v83, v32 offset:2640
	s_waitcnt vmcnt(37)
	ds_write_b32 v83, v33 offset:2904
	s_waitcnt vmcnt(36)
	ds_write_b32 v83, v36 offset:3168
	s_waitcnt vmcnt(35)
	ds_write_b32 v83, v37 offset:3432
	s_waitcnt vmcnt(34)
	ds_write_b32 v83, v40 offset:3696
	s_waitcnt vmcnt(33)
	ds_write_b32 v83, v41 offset:3960
	ds_read_b64 v[40:41], v84
	ds_read_b64 v[58:59], v84 offset:32
	ds_read_b64 v[60:61], v84 offset:64
	ds_read_b64 v[62:63], v84 offset:96
	ds_read_b64 v[64:65], v84 offset:128
	ds_read_b64 v[26:27], v84 offset:160
	ds_read_b64 v[22:23], v84 offset:192
	ds_read_b64 v[14:15], v84 offset:224
	s_waitcnt vmcnt(32)
	ds_write_b32 v83, v44
	s_waitcnt vmcnt(31)
	ds_write_b32 v83, v45 offset:264
	s_waitcnt vmcnt(30)
	;; [unrolled: 40-line block ×3, first 2 shown]
	ds_write_b32 v83, v70 offset:528
	s_waitcnt vmcnt(13)
	ds_write_b32 v83, v71 offset:792
	s_waitcnt vmcnt(12)
	;; [unrolled: 2-line block ×13, first 2 shown]
	ds_write_b32 v83, v96 offset:3960
	ds_read_b64 v[56:57], v84
	ds_read_b64 v[66:67], v84 offset:32
	ds_read_b64 v[68:69], v84 offset:64
	;; [unrolled: 1-line block ×7, first 2 shown]
	ds_write_b32 v83, v85
	ds_write_b32 v83, v86 offset:264
	s_waitcnt vmcnt(0)
	ds_write_b32 v83, v97 offset:528
	ds_write_b32 v83, v1 offset:792
	;; [unrolled: 1-line block ×14, first 2 shown]
	ds_read_b64 v[76:77], v84
	s_waitcnt lgkmcnt(0)
	v_mfma_f32_16x16x4_f32 a[12:15], v38, v76, a[12:15]
	v_add_u32_e32 v82, 0xc0, v82
	v_cmp_le_i32_e32 vcc, s5, v82
	v_lshl_add_u64 v[8:9], v[8:9], 0, s[12:13]
	v_lshl_add_u64 v[10:11], v[10:11], 0, s[12:13]
	;; [unrolled: 1-line block ×3, first 2 shown]
	s_or_b64 s[8:9], vcc, s[8:9]
	v_lshl_add_u64 v[6:7], v[6:7], 0, s[12:13]
	v_mfma_f32_16x16x4_f32 a[8:11], v40, v76, a[8:11]
	v_mfma_f32_16x16x4_f32 a[4:7], v42, v76, a[4:7]
	;; [unrolled: 1-line block ×4, first 2 shown]
	ds_read_b64 v[38:39], v84 offset:32
	v_mfma_f32_16x16x4_f32 a[8:11], v41, v77, a[8:11]
	v_mfma_f32_16x16x4_f32 a[4:7], v43, v77, a[4:7]
	;; [unrolled: 1-line block ×3, first 2 shown]
	s_waitcnt lgkmcnt(0)
	v_mfma_f32_16x16x4_f32 a[12:15], v48, v38, a[12:15]
	v_mfma_f32_16x16x4_f32 a[8:11], v58, v38, a[8:11]
	;; [unrolled: 1-line block ×8, first 2 shown]
	ds_read_b64 v[38:39], v84 offset:64
	s_waitcnt lgkmcnt(0)
	v_mfma_f32_16x16x4_f32 a[12:15], v50, v38, a[12:15]
	v_mfma_f32_16x16x4_f32 a[8:11], v60, v38, a[8:11]
	;; [unrolled: 1-line block ×8, first 2 shown]
	ds_read_b64 v[38:39], v84 offset:96
	s_waitcnt lgkmcnt(0)
	v_mfma_f32_16x16x4_f32 a[12:15], v34, v38, a[12:15]
	v_mfma_f32_16x16x4_f32 a[8:11], v62, v38, a[8:11]
	v_mfma_f32_16x16x4_f32 a[4:7], v52, v38, a[4:7]
	v_mfma_f32_16x16x4_f32 a[0:3], v70, v38, a[0:3]
	v_mfma_f32_16x16x4_f32 a[12:15], v35, v39, a[12:15]
	ds_read_b64 v[34:35], v84 offset:128
	v_mfma_f32_16x16x4_f32 a[8:11], v63, v39, a[8:11]
	v_mfma_f32_16x16x4_f32 a[4:7], v53, v39, a[4:7]
	v_mfma_f32_16x16x4_f32 a[0:3], v71, v39, a[0:3]
	s_waitcnt lgkmcnt(0)
	v_mfma_f32_16x16x4_f32 a[12:15], v30, v34, a[12:15]
	v_mfma_f32_16x16x4_f32 a[8:11], v64, v34, a[8:11]
	v_mfma_f32_16x16x4_f32 a[4:7], v54, v34, a[4:7]
	v_mfma_f32_16x16x4_f32 a[0:3], v72, v34, a[0:3]
	v_mfma_f32_16x16x4_f32 a[12:15], v31, v35, a[12:15]
	ds_read_b64 v[30:31], v84 offset:160
	v_mfma_f32_16x16x4_f32 a[8:11], v65, v35, a[8:11]
	v_mfma_f32_16x16x4_f32 a[4:7], v55, v35, a[4:7]
	v_mfma_f32_16x16x4_f32 a[0:3], v73, v35, a[0:3]
	;; [unrolled: 10-line block ×4, first 2 shown]
	s_waitcnt lgkmcnt(0)
	v_mfma_f32_16x16x4_f32 a[12:15], v12, v16, a[12:15]
	v_mfma_f32_16x16x4_f32 a[8:11], v14, v16, a[8:11]
	;; [unrolled: 1-line block ×8, first 2 shown]
	s_andn2_b64 exec, exec, s[8:9]
	s_cbranch_execnz .LBB83_4
; %bb.5:
	s_or_b64 exec, exec, s[8:9]
.LBB83_6:
	s_or_b64 exec, exec, s[24:25]
	v_lshl_add_u32 v1, v80, 2, 0
	v_mul_u32_u24_e32 v2, 0x308, v81
	v_and_b32_e32 v3, 0x3f0, v79
	v_add3_u32 v1, v1, v2, v3
	v_accvgpr_read_b32 v2, a13
	v_accvgpr_read_b32 v3, a12
	s_waitcnt lgkmcnt(0)
	s_barrier
	ds_write2_b32 v1, v3, v2 offset1:1
	v_accvgpr_read_b32 v2, a15
	v_accvgpr_read_b32 v3, a14
	ds_write2_b32 v1, v3, v2 offset0:2 offset1:3
	v_accvgpr_read_b32 v2, a9
	v_accvgpr_read_b32 v3, a8
	ds_write2_b32 v1, v3, v2 offset0:16 offset1:17
	;; [unrolled: 3-line block ×7, first 2 shown]
	v_mul_u32_u24_e32 v1, 0x308, v78
	v_add3_u32 v2, 0, v0, v1
	s_waitcnt lgkmcnt(0)
	s_barrier
	ds_read2st64_b32 v[0:1], v2 offset1:1
	s_mul_hi_i32 s1, s15, s4
	s_mul_i32 s0, s15, s4
	ds_read_b32 v2, v2 offset:512
	s_lshl_b64 s[0:1], s[0:1], 2
	s_add_u32 s4, s6, s0
	s_mul_i32 s0, s11, s3
	s_addc_u32 s5, s7, s1
	s_ashr_i32 s1, s0, 31
	s_waitcnt lgkmcnt(1)
	v_add_f32_e32 v0, 0, v0
	s_lshl_b64 s[0:1], s[0:1], 2
	v_add_f32_e32 v0, v0, v1
	s_add_u32 s0, s4, s0
	s_waitcnt lgkmcnt(0)
	v_add_f32_e32 v2, v0, v2
	v_mul_lo_u32 v0, v78, s18
	s_addc_u32 s1, s5, s1
	v_add3_u32 v0, s2, v79, v0
	v_mov_b32_e32 v1, 0
	v_lshl_add_u64 v[0:1], v[0:1], 2, s[0:1]
	global_store_dword v[0:1], v2, off
	s_endpgm
	.section	.rodata,"a",@progbits
	.p2align	6, 0x0
	.amdhsa_kernel _ZL9mul_mat_fIfLi64ELi3ELi3ELb0EEvPKT_PKfPKiPfiiiiiiiiiiiiiiii
		.amdhsa_group_segment_fixed_size 0
		.amdhsa_private_segment_fixed_size 0
		.amdhsa_kernarg_size 96
		.amdhsa_user_sgpr_count 2
		.amdhsa_user_sgpr_dispatch_ptr 0
		.amdhsa_user_sgpr_queue_ptr 0
		.amdhsa_user_sgpr_kernarg_segment_ptr 1
		.amdhsa_user_sgpr_dispatch_id 0
		.amdhsa_user_sgpr_kernarg_preload_length 0
		.amdhsa_user_sgpr_kernarg_preload_offset 0
		.amdhsa_user_sgpr_private_segment_size 0
		.amdhsa_uses_dynamic_stack 0
		.amdhsa_enable_private_segment 0
		.amdhsa_system_sgpr_workgroup_id_x 1
		.amdhsa_system_sgpr_workgroup_id_y 1
		.amdhsa_system_sgpr_workgroup_id_z 1
		.amdhsa_system_sgpr_workgroup_info 0
		.amdhsa_system_vgpr_workitem_id 1
		.amdhsa_next_free_vgpr 120
		.amdhsa_next_free_sgpr 81
		.amdhsa_accum_offset 104
		.amdhsa_reserve_vcc 1
		.amdhsa_float_round_mode_32 0
		.amdhsa_float_round_mode_16_64 0
		.amdhsa_float_denorm_mode_32 3
		.amdhsa_float_denorm_mode_16_64 3
		.amdhsa_dx10_clamp 1
		.amdhsa_ieee_mode 1
		.amdhsa_fp16_overflow 0
		.amdhsa_tg_split 0
		.amdhsa_exception_fp_ieee_invalid_op 0
		.amdhsa_exception_fp_denorm_src 0
		.amdhsa_exception_fp_ieee_div_zero 0
		.amdhsa_exception_fp_ieee_overflow 0
		.amdhsa_exception_fp_ieee_underflow 0
		.amdhsa_exception_fp_ieee_inexact 0
		.amdhsa_exception_int_div_zero 0
	.end_amdhsa_kernel
	.section	.text._ZL9mul_mat_fIfLi64ELi3ELi3ELb0EEvPKT_PKfPKiPfiiiiiiiiiiiiiiii,"axG",@progbits,_ZL9mul_mat_fIfLi64ELi3ELi3ELb0EEvPKT_PKfPKiPfiiiiiiiiiiiiiiii,comdat
.Lfunc_end83:
	.size	_ZL9mul_mat_fIfLi64ELi3ELi3ELb0EEvPKT_PKfPKiPfiiiiiiiiiiiiiiii, .Lfunc_end83-_ZL9mul_mat_fIfLi64ELi3ELi3ELb0EEvPKT_PKfPKiPfiiiiiiiiiiiiiiii
                                        ; -- End function
	.set _ZL9mul_mat_fIfLi64ELi3ELi3ELb0EEvPKT_PKfPKiPfiiiiiiiiiiiiiiii.num_vgpr, 102
	.set _ZL9mul_mat_fIfLi64ELi3ELi3ELb0EEvPKT_PKfPKiPfiiiiiiiiiiiiiiii.num_agpr, 16
	.set _ZL9mul_mat_fIfLi64ELi3ELi3ELb0EEvPKT_PKfPKiPfiiiiiiiiiiiiiiii.numbered_sgpr, 81
	.set _ZL9mul_mat_fIfLi64ELi3ELi3ELb0EEvPKT_PKfPKiPfiiiiiiiiiiiiiiii.num_named_barrier, 0
	.set _ZL9mul_mat_fIfLi64ELi3ELi3ELb0EEvPKT_PKfPKiPfiiiiiiiiiiiiiiii.private_seg_size, 0
	.set _ZL9mul_mat_fIfLi64ELi3ELi3ELb0EEvPKT_PKfPKiPfiiiiiiiiiiiiiiii.uses_vcc, 1
	.set _ZL9mul_mat_fIfLi64ELi3ELi3ELb0EEvPKT_PKfPKiPfiiiiiiiiiiiiiiii.uses_flat_scratch, 0
	.set _ZL9mul_mat_fIfLi64ELi3ELi3ELb0EEvPKT_PKfPKiPfiiiiiiiiiiiiiiii.has_dyn_sized_stack, 0
	.set _ZL9mul_mat_fIfLi64ELi3ELi3ELb0EEvPKT_PKfPKiPfiiiiiiiiiiiiiiii.has_recursion, 0
	.set _ZL9mul_mat_fIfLi64ELi3ELi3ELb0EEvPKT_PKfPKiPfiiiiiiiiiiiiiiii.has_indirect_call, 0
	.section	.AMDGPU.csdata,"",@progbits
; Kernel info:
; codeLenInByte = 5020
; TotalNumSgprs: 87
; NumVgprs: 102
; NumAgprs: 16
; TotalNumVgprs: 120
; ScratchSize: 0
; MemoryBound: 0
; FloatMode: 240
; IeeeMode: 1
; LDSByteSize: 0 bytes/workgroup (compile time only)
; SGPRBlocks: 10
; VGPRBlocks: 14
; NumSGPRsForWavesPerEU: 87
; NumVGPRsForWavesPerEU: 120
; AccumOffset: 104
; Occupancy: 4
; WaveLimiterHint : 0
; COMPUTE_PGM_RSRC2:SCRATCH_EN: 0
; COMPUTE_PGM_RSRC2:USER_SGPR: 2
; COMPUTE_PGM_RSRC2:TRAP_HANDLER: 0
; COMPUTE_PGM_RSRC2:TGID_X_EN: 1
; COMPUTE_PGM_RSRC2:TGID_Y_EN: 1
; COMPUTE_PGM_RSRC2:TGID_Z_EN: 1
; COMPUTE_PGM_RSRC2:TIDIG_COMP_CNT: 1
; COMPUTE_PGM_RSRC3_GFX90A:ACCUM_OFFSET: 25
; COMPUTE_PGM_RSRC3_GFX90A:TG_SPLIT: 0
	.section	.text._ZL13mul_mat_f_idsIfLi64ELi3ELi4EEvPKT_PKfPKiS6_S6_Pfiiiiiiiiiiiiii15HIP_vector_typeIjLj3EES9_,"axG",@progbits,_ZL13mul_mat_f_idsIfLi64ELi3ELi4EEvPKT_PKfPKiS6_S6_Pfiiiiiiiiiiiiii15HIP_vector_typeIjLj3EES9_,comdat
	.globl	_ZL13mul_mat_f_idsIfLi64ELi3ELi4EEvPKT_PKfPKiS6_S6_Pfiiiiiiiiiiiiii15HIP_vector_typeIjLj3EES9_ ; -- Begin function _ZL13mul_mat_f_idsIfLi64ELi3ELi4EEvPKT_PKfPKiS6_S6_Pfiiiiiiiiiiiiii15HIP_vector_typeIjLj3EES9_
	.p2align	8
	.type	_ZL13mul_mat_f_idsIfLi64ELi3ELi4EEvPKT_PKfPKiS6_S6_Pfiiiiiiiiiiiiii15HIP_vector_typeIjLj3EES9_,@function
_ZL13mul_mat_f_idsIfLi64ELi3ELi4EEvPKT_PKfPKiS6_S6_Pfiiiiiiiiiiiiii15HIP_vector_typeIjLj3EES9_: ; @_ZL13mul_mat_f_idsIfLi64ELi3ELi4EEvPKT_PKfPKiS6_S6_Pfiiiiiiiiiiiiii15HIP_vector_typeIjLj3EES9_
; %bb.0:
	s_load_dwordx2 s[6:7], s[0:1], 0x20
	s_mov_b32 s34, s3
	s_ashr_i32 s35, s3, 31
	s_lshl_b64 s[8:9], s[34:35], 2
	s_waitcnt lgkmcnt(0)
	s_add_u32 s6, s6, s8
	s_addc_u32 s7, s7, s9
	s_load_dwordx2 s[26:27], s[6:7], 0x0
	s_waitcnt lgkmcnt(0)
	s_sub_i32 s33, s27, s26
	s_add_i32 s3, s33, 2
	s_mul_hi_i32 s3, s3, 0x55555556
	s_lshr_b32 s5, s3, 31
	s_add_i32 s3, s3, s5
	s_cmp_ge_i32 s4, s3
	s_cbranch_scc1 .LBB84_20
; %bb.1:
	v_bfe_u32 v69, v0, 10, 10
	v_lshlrev_b32_e32 v70, 6, v69
	v_and_b32_e32 v68, 0x3ff, v0
	s_load_dwordx4 s[12:15], s[0:1], 0x30
	s_load_dwordx2 s[20:21], s[0:1], 0x40
	s_load_dwordx4 s[8:11], s[0:1], 0x4c
	s_load_dwordx4 s[16:19], s[0:1], 0x68
	s_load_dwordx2 s[24:25], s[0:1], 0x78
	v_add_u32_e32 v72, v70, v68
	s_ashr_i32 s27, s26, 31
	s_waitcnt lgkmcnt(0)
	v_cmp_le_i32_e32 vcc, s12, v72
	v_and_b32_e32 v71, 15, v68
	s_and_saveexec_b64 s[6:7], vcc
	s_xor_b64 s[6:7], exec, s[6:7]
; %bb.2:
	v_and_b32_e32 v71, 15, v68
                                        ; implicit-def: $vgpr72
; %bb.3:
	s_or_saveexec_b64 s[30:31], s[6:7]
	s_load_dwordx2 s[28:29], s[0:1], 0x18
	s_load_dwordx2 s[6:7], s[0:1], 0x28
                                        ; implicit-def: $vgpr84 : SGPR spill to VGPR lane
	s_lshl_b32 s11, s2, 6
	s_mul_i32 s2, s4, 3
	v_mov_b32_e32 v1, 0
	v_accvgpr_write_b32 a0, 0
	s_waitcnt lgkmcnt(0)
	v_writelane_b32 v84, s6, 0
	v_accvgpr_write_b32 a1, 0
	v_accvgpr_write_b32 a2, 0
	;; [unrolled: 1-line block ×15, first 2 shown]
	v_writelane_b32 v84, s7, 1
	s_xor_b64 exec, exec, s[30:31]
	s_cbranch_execz .LBB84_16
; %bb.4:
	s_load_dwordx4 s[4:7], s[0:1], 0x0
	s_load_dwordx2 s[22:23], s[0:1], 0x10
	s_mul_i32 s0, s8, s34
	s_ashr_i32 s1, s0, 31
	v_writelane_b32 v84, s24, 2
	s_lshl_b64 s[44:45], s[0:1], 2
	s_waitcnt lgkmcnt(0)
	s_add_u32 s0, s4, s44
	v_writelane_b32 v84, s25, 3
	s_mul_i32 s24, s15, s11
	s_addc_u32 s1, s5, s45
	s_ashr_i32 s25, s24, 31
	s_lshl_b64 s[46:47], s[24:25], 2
	s_add_u32 s0, s0, s46
	s_addc_u32 s1, s1, s47
	s_lshl_b64 s[24:25], s[26:27], 2
	s_add_u32 s8, s22, s24
	s_addc_u32 s24, s23, s25
	s_movk_i32 s3, 0x1080
	s_cmp_lt_i32 s2, s33
	v_mad_u32_u24 v0, v69, s3, 0
	s_cselect_b64 s[34:35], -1, 0
	s_ashr_i32 s3, s2, 31
	s_lshl_b64 s[22:23], s[2:3], 2
	s_add_u32 s36, s8, s22
	s_addc_u32 s37, s24, s23
	s_add_i32 s3, s2, 1
	s_cmp_lt_i32 s3, s33
	s_cselect_b64 s[38:39], -1, 0
	s_add_i32 s3, s2, 2
	s_cmp_lt_i32 s3, s33
	s_cselect_b64 s[40:41], -1, 0
	s_ashr_i32 s23, s15, 31
	s_mov_b32 s22, s15
	v_lshrrev_b32_e32 v4, 1, v68
	s_add_i32 s3, s15, s15
	s_lshl_b32 s48, s15, 2
	s_lshl_b32 s52, s15, 3
	;; [unrolled: 1-line block ×4, first 2 shown]
	s_lshl_b64 s[42:43], s[22:23], 2
	v_lshlrev_b32_e32 v2, 2, v68
	v_mul_u32_u24_e32 v3, 0x108, v71
	v_and_b32_e32 v4, 0x1f8, v4
	s_add_u32 s22, s44, s46
	v_add_u32_e32 v73, v0, v2
	v_add3_u32 v74, v0, v3, v4
	s_addc_u32 s23, s45, s47
	v_lshlrev_b32_e32 v0, 8, v69
	v_lshl_add_u64 v[4:5], s[22:23], 0, v[0:1]
	v_mov_b32_e32 v3, v1
	v_lshl_add_u64 v[2:3], v[4:5], 0, v[2:3]
	s_mul_i32 s8, s15, 3
	s_mul_i32 s49, s15, 5
	;; [unrolled: 1-line block ×43, first 2 shown]
	v_accvgpr_write_b32 a15, 0
	v_accvgpr_write_b32 a14, 0
	v_accvgpr_write_b32 a13, 0
	v_accvgpr_write_b32 a12, 0
	v_accvgpr_write_b32 a11, 0
	v_accvgpr_write_b32 a10, 0
	v_accvgpr_write_b32 a9, 0
	v_accvgpr_write_b32 a8, 0
	v_accvgpr_write_b32 a7, 0
	v_accvgpr_write_b32 a6, 0
	v_accvgpr_write_b32 a5, 0
	v_accvgpr_write_b32 a4, 0
	v_accvgpr_write_b32 a3, 0
	v_accvgpr_write_b32 a2, 0
	v_accvgpr_write_b32 a1, 0
	v_accvgpr_write_b32 a0, 0
	v_lshl_add_u64 v[2:3], s[4:5], 0, v[2:3]
	s_mul_i32 s90, s15, 50
	s_mul_i32 s91, s15, 51
	;; [unrolled: 1-line block ×14, first 2 shown]
	s_mov_b64 s[4:5], 0
	s_branch .LBB84_6
.LBB84_5:                               ;   in Loop: Header=BB84_6 Depth=1
	s_waitcnt vmcnt(0)
	ds_write2_b32 v73, v0, v76 offset1:66
	ds_write2_b32 v73, v75, v1 offset0:132 offset1:198
	v_add_u32_e32 v0, 0x400, v73
	ds_write2_b32 v0, v1, v1 offset0:8 offset1:74
	ds_write2_b32 v0, v1, v1 offset0:140 offset1:206
	v_add_u32_e32 v0, 0x800, v73
	ds_write2_b32 v0, v1, v1 offset0:16 offset1:82
	;; [unrolled: 3-line block ×3, first 2 shown]
	ds_write2_b32 v0, v1, v1 offset0:156 offset1:222
	ds_read2_b64 v[76:79], v74 offset1:4
	v_add_u32_e32 v72, 0x100, v72
	s_waitcnt lgkmcnt(0)
	v_mfma_f32_16x16x4_f32 a[12:15], v10, v76, a[12:15]
	s_mov_b64 vcc, 0x400
	v_lshl_add_u64 v[2:3], v[2:3], 0, vcc
	v_cmp_le_i32_e32 vcc, s12, v72
	s_or_b64 s[4:5], vcc, s[4:5]
	v_mfma_f32_16x16x4_f32 a[8:11], v44, v76, a[8:11]
	v_mfma_f32_16x16x4_f32 a[4:7], v54, v76, a[4:7]
	;; [unrolled: 1-line block ×12, first 2 shown]
	ds_read2_b64 v[8:11], v74 offset0:8 offset1:12
	v_mfma_f32_16x16x4_f32 a[8:11], v41, v79, a[8:11]
	v_mfma_f32_16x16x4_f32 a[4:7], v51, v79, a[4:7]
	;; [unrolled: 1-line block ×3, first 2 shown]
	s_waitcnt lgkmcnt(0)
	v_mfma_f32_16x16x4_f32 a[12:15], v6, v8, a[12:15]
	v_mfma_f32_16x16x4_f32 a[8:11], v36, v8, a[8:11]
	v_mfma_f32_16x16x4_f32 a[4:7], v48, v8, a[4:7]
	v_mfma_f32_16x16x4_f32 a[0:3], v62, v8, a[0:3]
	v_mfma_f32_16x16x4_f32 a[12:15], v7, v9, a[12:15]
	v_mfma_f32_16x16x4_f32 a[8:11], v37, v9, a[8:11]
	v_mfma_f32_16x16x4_f32 a[4:7], v49, v9, a[4:7]
	v_mfma_f32_16x16x4_f32 a[0:3], v63, v9, a[0:3]
	v_mfma_f32_16x16x4_f32 a[12:15], v4, v10, a[12:15]
	v_mfma_f32_16x16x4_f32 a[8:11], v32, v10, a[8:11]
	v_mfma_f32_16x16x4_f32 a[4:7], v42, v10, a[4:7]
	v_mfma_f32_16x16x4_f32 a[0:3], v60, v10, a[0:3]
	v_mfma_f32_16x16x4_f32 a[12:15], v5, v11, a[12:15]
	ds_read2_b64 v[4:7], v74 offset0:16 offset1:20
	v_mfma_f32_16x16x4_f32 a[8:11], v33, v11, a[8:11]
	v_mfma_f32_16x16x4_f32 a[4:7], v43, v11, a[4:7]
	;; [unrolled: 1-line block ×3, first 2 shown]
	s_waitcnt lgkmcnt(0)
	v_mfma_f32_16x16x4_f32 a[12:15], v20, v4, a[12:15]
	v_mfma_f32_16x16x4_f32 a[8:11], v28, v4, a[8:11]
	;; [unrolled: 1-line block ×16, first 2 shown]
	ds_read2_b64 v[4:7], v74 offset0:24 offset1:28
	s_waitcnt lgkmcnt(0)
	v_mfma_f32_16x16x4_f32 a[12:15], v14, v4, a[12:15]
	v_mfma_f32_16x16x4_f32 a[8:11], v22, v4, a[8:11]
	v_mfma_f32_16x16x4_f32 a[4:7], v30, v4, a[4:7]
	v_mfma_f32_16x16x4_f32 a[0:3], v52, v4, a[0:3]
	v_mfma_f32_16x16x4_f32 a[12:15], v15, v5, a[12:15]
	v_mfma_f32_16x16x4_f32 a[8:11], v23, v5, a[8:11]
	v_mfma_f32_16x16x4_f32 a[4:7], v31, v5, a[4:7]
	v_mfma_f32_16x16x4_f32 a[0:3], v53, v5, a[0:3]
	v_mfma_f32_16x16x4_f32 a[12:15], v12, v6, a[12:15]
	v_mfma_f32_16x16x4_f32 a[8:11], v18, v6, a[8:11]
	v_mfma_f32_16x16x4_f32 a[4:7], v26, v6, a[4:7]
	v_mfma_f32_16x16x4_f32 a[0:3], v46, v6, a[0:3]
	v_mfma_f32_16x16x4_f32 a[12:15], v13, v7, a[12:15]
	v_mfma_f32_16x16x4_f32 a[8:11], v19, v7, a[8:11]
	v_mfma_f32_16x16x4_f32 a[4:7], v27, v7, a[4:7]
	v_mfma_f32_16x16x4_f32 a[0:3], v47, v7, a[0:3]
	s_andn2_b64 exec, exec, s[4:5]
	s_cbranch_execz .LBB84_15
.LBB84_6:                               ; =>This Inner Loop Header: Depth=1
	v_lshl_add_u64 v[4:5], v[2:3], 0, s[42:43]
	global_load_dword v0, v[2:3], off
	global_load_dword v20, v[4:5], off
	v_add_u32_e32 v4, s3, v72
	v_add_u32_e32 v8, s48, v72
	;; [unrolled: 1-line block ×4, first 2 shown]
	v_ashrrev_i32_e32 v5, 31, v4
	v_add_u32_e32 v6, s8, v72
	v_ashrrev_i32_e32 v9, 31, v8
	v_ashrrev_i32_e32 v11, 31, v10
	v_add_u32_e32 v12, s50, v72
	v_add_u32_e32 v14, s51, v72
	v_ashrrev_i32_e32 v17, 31, v16
	v_add_u32_e32 v18, s53, v72
	v_lshl_add_u64 v[4:5], v[4:5], 2, s[0:1]
	v_ashrrev_i32_e32 v7, 31, v6
	v_lshl_add_u64 v[8:9], v[8:9], 2, s[0:1]
	v_lshl_add_u64 v[10:11], v[10:11], 2, s[0:1]
	v_ashrrev_i32_e32 v13, 31, v12
	v_ashrrev_i32_e32 v15, 31, v14
	v_lshl_add_u64 v[16:17], v[16:17], 2, s[0:1]
	v_ashrrev_i32_e32 v19, 31, v18
	v_lshl_add_u64 v[6:7], v[6:7], 2, s[0:1]
	v_lshl_add_u64 v[12:13], v[12:13], 2, s[0:1]
	;; [unrolled: 1-line block ×4, first 2 shown]
	global_load_dword v21, v[4:5], off
	global_load_dword v22, v[6:7], off
	;; [unrolled: 1-line block ×6, first 2 shown]
	s_nop 0
	global_load_dword v16, v[16:17], off
	s_nop 0
	global_load_dword v17, v[18:19], off
	v_add_u32_e32 v4, s54, v72
	v_add_u32_e32 v8, s56, v72
	;; [unrolled: 1-line block ×3, first 2 shown]
	v_ashrrev_i32_e32 v5, 31, v4
	v_add_u32_e32 v6, s55, v72
	v_ashrrev_i32_e32 v9, 31, v8
	v_ashrrev_i32_e32 v11, 31, v10
	v_add_u32_e32 v12, s58, v72
	v_add_u32_e32 v14, s59, v72
	v_lshl_add_u64 v[4:5], v[4:5], 2, s[0:1]
	v_ashrrev_i32_e32 v7, 31, v6
	v_lshl_add_u64 v[8:9], v[8:9], 2, s[0:1]
	v_lshl_add_u64 v[10:11], v[10:11], 2, s[0:1]
	v_ashrrev_i32_e32 v13, 31, v12
	v_ashrrev_i32_e32 v15, 31, v14
	v_lshl_add_u64 v[6:7], v[6:7], 2, s[0:1]
	v_lshl_add_u64 v[12:13], v[12:13], 2, s[0:1]
	;; [unrolled: 1-line block ×3, first 2 shown]
	global_load_dword v18, v[4:5], off
	global_load_dword v19, v[6:7], off
	s_nop 0
	global_load_dword v8, v[8:9], off
	s_nop 0
	;; [unrolled: 2-line block ×3, first 2 shown]
	global_load_dword v10, v[12:13], off
	global_load_dword v11, v[14:15], off
	v_add_u32_e32 v4, s60, v72
	v_add_u32_e32 v6, s61, v72
	v_ashrrev_i32_e32 v5, 31, v4
	v_ashrrev_i32_e32 v7, 31, v6
	v_lshl_add_u64 v[4:5], v[4:5], 2, s[0:1]
	v_add_u32_e32 v12, s62, v72
	v_lshl_add_u64 v[6:7], v[6:7], 2, s[0:1]
	global_load_dword v28, v[4:5], off
	global_load_dword v29, v[6:7], off
	v_ashrrev_i32_e32 v13, 31, v12
	v_add_u32_e32 v14, s63, v72
	v_lshl_add_u64 v[12:13], v[12:13], 2, s[0:1]
	v_ashrrev_i32_e32 v15, 31, v14
	v_lshl_add_u64 v[14:15], v[14:15], 2, s[0:1]
	s_andn2_b64 vcc, exec, s[34:35]
	s_waitcnt vmcnt(17)
	ds_write_b32 v73, v0
	s_waitcnt vmcnt(16)
	ds_write_b32 v73, v20 offset:264
	s_waitcnt vmcnt(15)
	ds_write_b32 v73, v21 offset:528
	;; [unrolled: 2-line block ×15, first 2 shown]
	v_add_u32_e32 v16, s64, v72
	v_add_u32_e32 v18, s65, v72
	;; [unrolled: 1-line block ×6, first 2 shown]
	v_ashrrev_i32_e32 v17, 31, v16
	v_ashrrev_i32_e32 v19, 31, v18
	;; [unrolled: 1-line block ×6, first 2 shown]
	ds_read_b64 v[10:11], v74
	ds_read_b64 v[8:9], v74 offset:32
	ds_read_b64 v[6:7], v74 offset:64
	;; [unrolled: 1-line block ×3, first 2 shown]
	v_lshl_add_u64 v[16:17], v[16:17], 2, s[0:1]
	v_lshl_add_u64 v[18:19], v[18:19], 2, s[0:1]
	v_lshl_add_u64 v[20:21], v[20:21], 2, s[0:1]
	v_lshl_add_u64 v[22:23], v[22:23], 2, s[0:1]
	v_lshl_add_u64 v[24:25], v[24:25], 2, s[0:1]
	v_lshl_add_u64 v[26:27], v[26:27], 2, s[0:1]
	global_load_dword v0, v[12:13], off
	global_load_dword v30, v[14:15], off
	global_load_dword v31, v[16:17], off
	global_load_dword v32, v[18:19], off
	global_load_dword v33, v[20:21], off
	global_load_dword v34, v[22:23], off
	global_load_dword v35, v[24:25], off
	global_load_dword v36, v[26:27], off
	v_add_u32_e32 v12, s70, v72
	v_ashrrev_i32_e32 v13, 31, v12
	v_add_u32_e32 v14, s71, v72
	v_add_u32_e32 v16, s72, v72
	v_add_u32_e32 v18, s73, v72
	v_add_u32_e32 v20, s74, v72
	v_add_u32_e32 v22, s75, v72
	v_add_u32_e32 v24, s76, v72
	v_add_u32_e32 v26, s77, v72
	v_lshl_add_u64 v[12:13], v[12:13], 2, s[0:1]
	v_ashrrev_i32_e32 v15, 31, v14
	v_ashrrev_i32_e32 v17, 31, v16
	v_ashrrev_i32_e32 v19, 31, v18
	v_ashrrev_i32_e32 v21, 31, v20
	v_ashrrev_i32_e32 v23, 31, v22
	v_ashrrev_i32_e32 v25, 31, v24
	v_ashrrev_i32_e32 v27, 31, v26
	v_lshl_add_u64 v[14:15], v[14:15], 2, s[0:1]
	v_lshl_add_u64 v[16:17], v[16:17], 2, s[0:1]
	v_lshl_add_u64 v[18:19], v[18:19], 2, s[0:1]
	v_lshl_add_u64 v[20:21], v[20:21], 2, s[0:1]
	v_lshl_add_u64 v[22:23], v[22:23], 2, s[0:1]
	v_lshl_add_u64 v[24:25], v[24:25], 2, s[0:1]
	v_lshl_add_u64 v[26:27], v[26:27], 2, s[0:1]
	global_load_dword v37, v[12:13], off
	global_load_dword v38, v[14:15], off
	global_load_dword v39, v[16:17], off
	global_load_dword v40, v[18:19], off
	global_load_dword v41, v[20:21], off
	global_load_dword v42, v[22:23], off
	global_load_dword v43, v[24:25], off
	global_load_dword v46, v[26:27], off
	v_add_u32_e32 v12, s78, v72
	v_ashrrev_i32_e32 v13, 31, v12
	v_add_u32_e32 v14, s79, v72
	v_add_u32_e32 v16, s80, v72
	v_add_u32_e32 v18, s81, v72
	v_add_u32_e32 v20, s82, v72
	v_add_u32_e32 v22, s83, v72
	v_add_u32_e32 v24, s84, v72
	v_add_u32_e32 v26, s85, v72
	v_lshl_add_u64 v[12:13], v[12:13], 2, s[0:1]
	v_ashrrev_i32_e32 v15, 31, v14
	v_ashrrev_i32_e32 v17, 31, v16
	v_ashrrev_i32_e32 v19, 31, v18
	v_ashrrev_i32_e32 v21, 31, v20
	v_ashrrev_i32_e32 v23, 31, v22
	v_ashrrev_i32_e32 v25, 31, v24
	v_ashrrev_i32_e32 v27, 31, v26
	v_lshl_add_u64 v[14:15], v[14:15], 2, s[0:1]
	;; [unrolled: 32-line block ×4, first 2 shown]
	v_lshl_add_u64 v[16:17], v[16:17], 2, s[0:1]
	v_lshl_add_u64 v[18:19], v[18:19], 2, s[0:1]
	;; [unrolled: 1-line block ×6, first 2 shown]
	global_load_dword v63, v[12:13], off
	global_load_dword v64, v[14:15], off
	;; [unrolled: 1-line block ×8, first 2 shown]
	v_add_u32_e32 v12, s98, v72
	v_ashrrev_i32_e32 v13, 31, v12
	v_add_u32_e32 v14, s99, v72
	v_add_u32_e32 v16, s24, v72
	v_add_u32_e32 v18, s25, v72
	v_add_u32_e32 v20, s22, v72
	v_add_u32_e32 v22, s15, v72
	v_lshl_add_u64 v[12:13], v[12:13], 2, s[0:1]
	v_ashrrev_i32_e32 v15, 31, v14
	v_ashrrev_i32_e32 v17, 31, v16
	;; [unrolled: 1-line block ×5, first 2 shown]
	v_lshl_add_u64 v[14:15], v[14:15], 2, s[0:1]
	v_lshl_add_u64 v[16:17], v[16:17], 2, s[0:1]
	;; [unrolled: 1-line block ×5, first 2 shown]
	global_load_dword v78, v[12:13], off
	global_load_dword v79, v[14:15], off
	;; [unrolled: 1-line block ×6, first 2 shown]
	ds_read_b64 v[20:21], v74 offset:128
	ds_read_b64 v[16:17], v74 offset:160
	ds_read_b64 v[14:15], v74 offset:192
	ds_read_b64 v[12:13], v74 offset:224
	s_waitcnt vmcnt(47)
	ds_write_b32 v73, v28
	s_waitcnt vmcnt(46)
	ds_write_b32 v73, v29 offset:264
	s_waitcnt vmcnt(45)
	ds_write_b32 v73, v0 offset:528
	s_waitcnt vmcnt(44)
	ds_write_b32 v73, v30 offset:792
	s_waitcnt vmcnt(43)
	ds_write_b32 v73, v31 offset:1056
	s_waitcnt vmcnt(42)
	ds_write_b32 v73, v32 offset:1320
	s_waitcnt vmcnt(41)
	ds_write_b32 v73, v33 offset:1584
	s_waitcnt vmcnt(40)
	ds_write_b32 v73, v34 offset:1848
	s_waitcnt vmcnt(39)
	ds_write_b32 v73, v35 offset:2112
	s_waitcnt vmcnt(38)
	ds_write_b32 v73, v36 offset:2376
	s_waitcnt vmcnt(37)
	ds_write_b32 v73, v37 offset:2640
	s_waitcnt vmcnt(36)
	ds_write_b32 v73, v38 offset:2904
	s_waitcnt vmcnt(35)
	ds_write_b32 v73, v39 offset:3168
	s_waitcnt vmcnt(34)
	ds_write_b32 v73, v40 offset:3432
	s_waitcnt vmcnt(33)
	ds_write_b32 v73, v41 offset:3696
	s_waitcnt vmcnt(32)
	ds_write_b32 v73, v42 offset:3960
	ds_read_b64 v[44:45], v74
	ds_read_b64 v[40:41], v74 offset:32
	ds_read_b64 v[36:37], v74 offset:64
	ds_read_b64 v[32:33], v74 offset:96
	ds_read_b64 v[28:29], v74 offset:128
	ds_read_b64 v[24:25], v74 offset:160
	ds_read_b64 v[22:23], v74 offset:192
	ds_read_b64 v[18:19], v74 offset:224
	s_waitcnt vmcnt(31)
	ds_write_b32 v73, v43
	s_waitcnt vmcnt(30)
	ds_write_b32 v73, v46 offset:264
	s_waitcnt vmcnt(29)
	ds_write_b32 v73, v47 offset:528
	s_waitcnt vmcnt(28)
	ds_write_b32 v73, v48 offset:792
	s_waitcnt vmcnt(27)
	ds_write_b32 v73, v49 offset:1056
	s_waitcnt vmcnt(26)
	ds_write_b32 v73, v50 offset:1320
	s_waitcnt vmcnt(25)
	ds_write_b32 v73, v51 offset:1584
	s_waitcnt vmcnt(24)
	ds_write_b32 v73, v52 offset:1848
	s_waitcnt vmcnt(23)
	ds_write_b32 v73, v53 offset:2112
	s_waitcnt vmcnt(22)
	ds_write_b32 v73, v54 offset:2376
	s_waitcnt vmcnt(21)
	ds_write_b32 v73, v55 offset:2640
	s_waitcnt vmcnt(20)
	ds_write_b32 v73, v56 offset:2904
	s_waitcnt vmcnt(19)
	ds_write_b32 v73, v57 offset:3168
	s_waitcnt vmcnt(18)
	ds_write_b32 v73, v58 offset:3432
	s_waitcnt vmcnt(17)
	ds_write_b32 v73, v59 offset:3696
	s_waitcnt vmcnt(16)
	ds_write_b32 v73, v60 offset:3960
	ds_read_b64 v[54:55], v74
	ds_read_b64 v[50:51], v74 offset:32
	ds_read_b64 v[48:49], v74 offset:64
	ds_read_b64 v[42:43], v74 offset:96
	;; [unrolled: 40-line block ×3, first 2 shown]
	ds_read_b64 v[58:59], v74 offset:128
	ds_read_b64 v[56:57], v74 offset:160
	;; [unrolled: 1-line block ×4, first 2 shown]
	v_mov_b32_e32 v0, 0
	s_cbranch_vccnz .LBB84_9
; %bb.7:                                ;   in Loop: Header=BB84_6 Depth=1
	s_load_dword s23, s[36:37], 0x0
	v_mov_b32_e32 v0, 0
	s_waitcnt lgkmcnt(0)
	s_mul_hi_u32 vcc_lo, s23, s16
	s_add_i32 vcc_lo, s23, vcc_lo
	s_lshr_b32 vcc_lo, vcc_lo, s17
	s_cmp_ge_i32 vcc_lo, s13
	s_cbranch_scc1 .LBB84_9
; %bb.8:                                ;   in Loop: Header=BB84_6 Depth=1
	s_mul_i32 vcc_hi, vcc_lo, s18
	s_sub_i32 s23, s23, vcc_hi
	s_mul_i32 s23, s23, s9
	s_mul_i32 vcc_lo, vcc_lo, s20
	s_add_i32 vcc_lo, vcc_lo, s23
	v_add_u32_e32 v76, vcc_lo, v72
	v_ashrrev_i32_e32 v77, 31, v76
	v_lshl_add_u64 v[76:77], v[76:77], 2, s[6:7]
	global_load_dword v0, v[76:77], off
.LBB84_9:                               ;   in Loop: Header=BB84_6 Depth=1
	v_mov_b32_e32 v75, 0
	s_andn2_b64 vcc, exec, s[38:39]
	v_mov_b32_e32 v76, 0
	s_cbranch_vccnz .LBB84_12
; %bb.10:                               ;   in Loop: Header=BB84_6 Depth=1
	s_load_dword s23, s[36:37], 0x4
	v_mov_b32_e32 v76, 0
	s_waitcnt lgkmcnt(0)
	s_mul_hi_u32 vcc_lo, s23, s16
	s_add_i32 vcc_lo, s23, vcc_lo
	s_lshr_b32 vcc_lo, vcc_lo, s17
	s_cmp_ge_i32 vcc_lo, s13
	s_cbranch_scc1 .LBB84_12
; %bb.11:                               ;   in Loop: Header=BB84_6 Depth=1
	s_mul_i32 vcc_hi, vcc_lo, s18
	s_sub_i32 s23, s23, vcc_hi
	s_mul_i32 s23, s23, s9
	s_mul_i32 vcc_lo, vcc_lo, s20
	s_add_i32 vcc_lo, vcc_lo, s23
	v_add_u32_e32 v76, vcc_lo, v72
	v_ashrrev_i32_e32 v77, 31, v76
	v_lshl_add_u64 v[76:77], v[76:77], 2, s[6:7]
	global_load_dword v76, v[76:77], off
.LBB84_12:                              ;   in Loop: Header=BB84_6 Depth=1
	s_andn2_b64 vcc, exec, s[40:41]
	s_cbranch_vccnz .LBB84_5
; %bb.13:                               ;   in Loop: Header=BB84_6 Depth=1
	s_load_dword s23, s[36:37], 0x8
	v_mov_b32_e32 v75, 0
	s_waitcnt lgkmcnt(0)
	s_mul_hi_u32 vcc_lo, s23, s16
	s_add_i32 vcc_lo, s23, vcc_lo
	s_lshr_b32 vcc_lo, vcc_lo, s17
	s_cmp_ge_i32 vcc_lo, s13
	s_cbranch_scc1 .LBB84_5
; %bb.14:                               ;   in Loop: Header=BB84_6 Depth=1
	s_mul_i32 vcc_hi, vcc_lo, s18
	s_sub_i32 s23, s23, vcc_hi
	s_mul_i32 s23, s23, s9
	s_mul_i32 vcc_lo, vcc_lo, s20
	s_add_i32 vcc_lo, vcc_lo, s23
	v_add_u32_e32 v78, vcc_lo, v72
	v_ashrrev_i32_e32 v79, 31, v78
	v_lshl_add_u64 v[78:79], v[78:79], 2, s[6:7]
	global_load_dword v75, v[78:79], off
	s_branch .LBB84_5
.LBB84_15:
	s_or_b64 exec, exec, s[4:5]
	v_readlane_b32 s24, v84, 2
	v_readlane_b32 s25, v84, 3
.LBB84_16:
	s_or_b64 exec, exec, s[30:31]
	v_lshl_add_u32 v0, v70, 2, 0
	v_mul_u32_u24_e32 v1, 0x408, v71
	v_and_b32_e32 v2, 0x3f0, v68
	v_add3_u32 v0, v0, v1, v2
	v_accvgpr_read_b32 v1, a13
	v_accvgpr_read_b32 v2, a12
	s_barrier
	ds_write2_b32 v0, v2, v1 offset1:1
	v_accvgpr_read_b32 v1, a15
	v_accvgpr_read_b32 v2, a14
	ds_write2_b32 v0, v2, v1 offset0:2 offset1:3
	v_accvgpr_read_b32 v1, a9
	v_accvgpr_read_b32 v2, a8
	ds_write2_b32 v0, v2, v1 offset0:16 offset1:17
	v_accvgpr_read_b32 v1, a11
	v_accvgpr_read_b32 v2, a10
	ds_write2_b32 v0, v2, v1 offset0:18 offset1:19
	v_accvgpr_read_b32 v1, a5
	v_accvgpr_read_b32 v2, a4
	ds_write2_b32 v0, v2, v1 offset0:32 offset1:33
	v_accvgpr_read_b32 v1, a7
	v_accvgpr_read_b32 v2, a6
	ds_write2_b32 v0, v2, v1 offset0:34 offset1:35
	v_accvgpr_read_b32 v1, a1
	v_accvgpr_read_b32 v2, a0
	ds_write2_b32 v0, v2, v1 offset0:48 offset1:49
	v_accvgpr_read_b32 v1, a3
	v_accvgpr_read_b32 v2, a2
	v_cmp_gt_u32_e32 vcc, 3, v69
	ds_write2_b32 v0, v2, v1 offset0:50 offset1:51
	s_waitcnt lgkmcnt(0)
	s_barrier
	s_and_saveexec_b64 s[0:1], vcc
	s_cbranch_execz .LBB84_20
; %bb.17:
	v_add_u32_e32 v0, s2, v69
	s_cmp_gt_i32 s14, 0
	v_cmp_gt_i32_e32 vcc, s33, v0
	s_cselect_b64 s[0:1], -1, 0
	s_and_b64 s[0:1], s[0:1], vcc
	s_and_b64 exec, exec, s[0:1]
	s_cbranch_execz .LBB84_20
; %bb.18:
	s_lshl_b64 s[0:1], s[26:27], 2
	s_add_u32 s0, s28, s0
	s_addc_u32 s1, s29, s1
	v_ashrrev_i32_e32 v1, 31, v0
	v_lshl_add_u64 v[0:1], v[0:1], 2, s[0:1]
	global_load_dword v0, v[0:1], off
	s_waitcnt vmcnt(0)
	v_mul_hi_u32 v1, v0, s19
	v_add_u32_e32 v1, v0, v1
	v_lshrrev_b32_e32 v1, s24, v1
	v_cmp_gt_i32_e32 vcc, s13, v1
	s_and_b64 exec, exec, vcc
	s_cbranch_execz .LBB84_20
; %bb.19:
	v_lshlrev_b32_e32 v2, 2, v68
	v_mul_u32_u24_e32 v3, 0x408, v69
	v_add3_u32 v4, 0, v2, v3
	ds_read2st64_b32 v[2:3], v4 offset1:1
	ds_read2st64_b32 v[4:5], v4 offset0:2 offset1:3
	v_mul_lo_u32 v7, v1, s25
	v_sub_u32_e32 v0, v0, v7
	v_add_u32_e32 v6, s11, v68
	s_waitcnt lgkmcnt(1)
	v_add_f32_e32 v2, 0, v2
	v_add_f32_e32 v2, v2, v3
	v_mul_lo_u32 v0, v0, s10
	v_mul_lo_u32 v1, v1, s21
	v_readlane_b32 s0, v84, 0
	s_waitcnt lgkmcnt(0)
	v_add_f32_e32 v2, v2, v4
	v_add3_u32 v0, v6, v1, v0
	v_mov_b32_e32 v1, 0
	v_readlane_b32 s1, v84, 1
	v_add_f32_e32 v2, v2, v5
	s_nop 0
	v_lshl_add_u64 v[0:1], v[0:1], 2, s[0:1]
	global_store_dword v[0:1], v2, off
.LBB84_20:
	s_endpgm
	.section	.rodata,"a",@progbits
	.p2align	6, 0x0
	.amdhsa_kernel _ZL13mul_mat_f_idsIfLi64ELi3ELi4EEvPKT_PKfPKiS6_S6_Pfiiiiiiiiiiiiii15HIP_vector_typeIjLj3EES9_
		.amdhsa_group_segment_fixed_size 0
		.amdhsa_private_segment_fixed_size 0
		.amdhsa_kernarg_size 128
		.amdhsa_user_sgpr_count 2
		.amdhsa_user_sgpr_dispatch_ptr 0
		.amdhsa_user_sgpr_queue_ptr 0
		.amdhsa_user_sgpr_kernarg_segment_ptr 1
		.amdhsa_user_sgpr_dispatch_id 0
		.amdhsa_user_sgpr_kernarg_preload_length 0
		.amdhsa_user_sgpr_kernarg_preload_offset 0
		.amdhsa_user_sgpr_private_segment_size 0
		.amdhsa_uses_dynamic_stack 0
		.amdhsa_enable_private_segment 0
		.amdhsa_system_sgpr_workgroup_id_x 1
		.amdhsa_system_sgpr_workgroup_id_y 1
		.amdhsa_system_sgpr_workgroup_id_z 1
		.amdhsa_system_sgpr_workgroup_info 0
		.amdhsa_system_vgpr_workitem_id 1
		.amdhsa_next_free_vgpr 104
		.amdhsa_next_free_sgpr 100
		.amdhsa_accum_offset 88
		.amdhsa_reserve_vcc 1
		.amdhsa_float_round_mode_32 0
		.amdhsa_float_round_mode_16_64 0
		.amdhsa_float_denorm_mode_32 3
		.amdhsa_float_denorm_mode_16_64 3
		.amdhsa_dx10_clamp 1
		.amdhsa_ieee_mode 1
		.amdhsa_fp16_overflow 0
		.amdhsa_tg_split 0
		.amdhsa_exception_fp_ieee_invalid_op 0
		.amdhsa_exception_fp_denorm_src 0
		.amdhsa_exception_fp_ieee_div_zero 0
		.amdhsa_exception_fp_ieee_overflow 0
		.amdhsa_exception_fp_ieee_underflow 0
		.amdhsa_exception_fp_ieee_inexact 0
		.amdhsa_exception_int_div_zero 0
	.end_amdhsa_kernel
	.section	.text._ZL13mul_mat_f_idsIfLi64ELi3ELi4EEvPKT_PKfPKiS6_S6_Pfiiiiiiiiiiiiii15HIP_vector_typeIjLj3EES9_,"axG",@progbits,_ZL13mul_mat_f_idsIfLi64ELi3ELi4EEvPKT_PKfPKiS6_S6_Pfiiiiiiiiiiiiii15HIP_vector_typeIjLj3EES9_,comdat
.Lfunc_end84:
	.size	_ZL13mul_mat_f_idsIfLi64ELi3ELi4EEvPKT_PKfPKiS6_S6_Pfiiiiiiiiiiiiii15HIP_vector_typeIjLj3EES9_, .Lfunc_end84-_ZL13mul_mat_f_idsIfLi64ELi3ELi4EEvPKT_PKfPKiS6_S6_Pfiiiiiiiiiiiiii15HIP_vector_typeIjLj3EES9_
                                        ; -- End function
	.set _ZL13mul_mat_f_idsIfLi64ELi3ELi4EEvPKT_PKfPKiS6_S6_Pfiiiiiiiiiiiiii15HIP_vector_typeIjLj3EES9_.num_vgpr, 85
	.set _ZL13mul_mat_f_idsIfLi64ELi3ELi4EEvPKT_PKfPKiS6_S6_Pfiiiiiiiiiiiiii15HIP_vector_typeIjLj3EES9_.num_agpr, 16
	.set _ZL13mul_mat_f_idsIfLi64ELi3ELi4EEvPKT_PKfPKiS6_S6_Pfiiiiiiiiiiiiii15HIP_vector_typeIjLj3EES9_.numbered_sgpr, 100
	.set _ZL13mul_mat_f_idsIfLi64ELi3ELi4EEvPKT_PKfPKiS6_S6_Pfiiiiiiiiiiiiii15HIP_vector_typeIjLj3EES9_.num_named_barrier, 0
	.set _ZL13mul_mat_f_idsIfLi64ELi3ELi4EEvPKT_PKfPKiS6_S6_Pfiiiiiiiiiiiiii15HIP_vector_typeIjLj3EES9_.private_seg_size, 0
	.set _ZL13mul_mat_f_idsIfLi64ELi3ELi4EEvPKT_PKfPKiS6_S6_Pfiiiiiiiiiiiiii15HIP_vector_typeIjLj3EES9_.uses_vcc, 1
	.set _ZL13mul_mat_f_idsIfLi64ELi3ELi4EEvPKT_PKfPKiS6_S6_Pfiiiiiiiiiiiiii15HIP_vector_typeIjLj3EES9_.uses_flat_scratch, 0
	.set _ZL13mul_mat_f_idsIfLi64ELi3ELi4EEvPKT_PKfPKiS6_S6_Pfiiiiiiiiiiiiii15HIP_vector_typeIjLj3EES9_.has_dyn_sized_stack, 0
	.set _ZL13mul_mat_f_idsIfLi64ELi3ELi4EEvPKT_PKfPKiS6_S6_Pfiiiiiiiiiiiiii15HIP_vector_typeIjLj3EES9_.has_recursion, 0
	.set _ZL13mul_mat_f_idsIfLi64ELi3ELi4EEvPKT_PKfPKiS6_S6_Pfiiiiiiiiiiiiii15HIP_vector_typeIjLj3EES9_.has_indirect_call, 0
	.section	.AMDGPU.csdata,"",@progbits
; Kernel info:
; codeLenInByte = 5012
; TotalNumSgprs: 106
; NumVgprs: 85
; NumAgprs: 16
; TotalNumVgprs: 104
; ScratchSize: 0
; MemoryBound: 0
; FloatMode: 240
; IeeeMode: 1
; LDSByteSize: 0 bytes/workgroup (compile time only)
; SGPRBlocks: 13
; VGPRBlocks: 12
; NumSGPRsForWavesPerEU: 106
; NumVGPRsForWavesPerEU: 104
; AccumOffset: 88
; Occupancy: 4
; WaveLimiterHint : 1
; COMPUTE_PGM_RSRC2:SCRATCH_EN: 0
; COMPUTE_PGM_RSRC2:USER_SGPR: 2
; COMPUTE_PGM_RSRC2:TRAP_HANDLER: 0
; COMPUTE_PGM_RSRC2:TGID_X_EN: 1
; COMPUTE_PGM_RSRC2:TGID_Y_EN: 1
; COMPUTE_PGM_RSRC2:TGID_Z_EN: 1
; COMPUTE_PGM_RSRC2:TIDIG_COMP_CNT: 1
; COMPUTE_PGM_RSRC3_GFX90A:ACCUM_OFFSET: 21
; COMPUTE_PGM_RSRC3_GFX90A:TG_SPLIT: 0
	.section	.text._ZL9mul_mat_fIfLi64ELi3ELi4ELb1EEvPKT_PKfPKiPfiiiiiiiiiiiiiiii,"axG",@progbits,_ZL9mul_mat_fIfLi64ELi3ELi4ELb1EEvPKT_PKfPKiPfiiiiiiiiiiiiiiii,comdat
	.globl	_ZL9mul_mat_fIfLi64ELi3ELi4ELb1EEvPKT_PKfPKiPfiiiiiiiiiiiiiiii ; -- Begin function _ZL9mul_mat_fIfLi64ELi3ELi4ELb1EEvPKT_PKfPKiPfiiiiiiiiiiiiiiii
	.p2align	8
	.type	_ZL9mul_mat_fIfLi64ELi3ELi4ELb1EEvPKT_PKfPKiPfiiiiiiiiiiiiiiii,@function
_ZL9mul_mat_fIfLi64ELi3ELi4ELb1EEvPKT_PKfPKiPfiiiiiiiiiiiiiiii: ; @_ZL9mul_mat_fIfLi64ELi3ELi4ELb1EEvPKT_PKfPKiPfiiiiiiiiiiiiiiii
; %bb.0:
	s_load_dwordx8 s[8:15], s[0:1], 0x20
	s_waitcnt lgkmcnt(0)
	s_add_i32 s5, s9, 2
	s_mul_hi_i32 s5, s5, 0x55555556
	s_lshr_b32 s6, s5, 31
	s_add_i32 s5, s5, s6
	v_cvt_f32_u32_e32 v1, s5
	s_load_dwordx8 s[16:23], s[0:1], 0x44
	s_load_dword s6, s[0:1], 0x64
	s_add_u32 s28, s0, 0x60
	s_addc_u32 s29, s1, 0
	v_rcp_iflag_f32_e32 v1, v1
	s_sub_i32 s7, 0, s5
	s_waitcnt lgkmcnt(0)
	s_abs_i32 s23, s19
	s_abs_i32 s33, s4
	v_mul_f32_e32 v1, 0x4f7ffffe, v1
	v_cvt_u32_f32_e32 v1, v1
	v_mul_lo_u32 v2, s7, v1
	v_mul_hi_u32 v2, v1, v2
	v_add_u32_e32 v1, v1, v2
	v_mul_hi_u32 v1, s6, v1
	v_mul_lo_u32 v2, v1, s5
	v_sub_u32_e32 v2, s6, v2
	v_add_u32_e32 v3, 1, v1
	v_subrev_u32_e32 v4, s5, v2
	v_cmp_le_u32_e32 vcc, s5, v2
	s_nop 1
	v_cndmask_b32_e32 v1, v1, v3, vcc
	v_cndmask_b32_e32 v2, v2, v4, vcc
	v_add_u32_e32 v3, 1, v1
	v_cmp_le_u32_e32 vcc, s5, v2
	s_sub_i32 s5, 0, s23
	s_nop 0
	v_cndmask_b32_e32 v1, v1, v3, vcc
	v_cvt_f32_u32_e32 v2, v1
	v_cvt_f32_u32_e32 v3, s23
	v_sub_u32_e32 v4, 0, v1
	v_rcp_iflag_f32_e32 v2, v2
	v_rcp_iflag_f32_e32 v3, v3
	v_mul_f32_e32 v2, 0x4f7ffffe, v2
	v_cvt_u32_f32_e32 v2, v2
	v_mul_f32_e32 v3, 0x4f7ffffe, v3
	v_cvt_u32_f32_e32 v3, v3
	v_mul_lo_u32 v4, v4, v2
	v_mul_hi_u32 v4, v2, v4
	v_add_u32_e32 v2, v2, v4
	v_mul_hi_u32 v4, s3, v2
	v_mul_lo_u32 v2, s5, v3
	v_mul_hi_u32 v2, v3, v2
	v_add_u32_e32 v5, v3, v2
	v_bfe_u32 v3, v0, 10, 10
	s_movk_i32 s5, 0x1080
	v_mov_b32_e32 v2, 0x100
	v_mad_u32_u24 v74, v3, s5, v2
	v_and_b32_e32 v2, 0x3ff, v0
	v_cmp_eq_u32_e32 vcc, 0, v2
	v_mul_i32_i24_e32 v75, 0xffffef84, v3
	s_and_saveexec_b64 s[6:7], vcc
; %bb.1:
	v_add_u32_e32 v6, v74, v75
	v_mov_b32_e32 v7, -1
	ds_write_b32 v6, v7
; %bb.2:
	s_or_b64 exec, exec, s[6:7]
	v_mul_hi_u32 v8, s33, v5
	v_mul_lo_u32 v5, v4, v1
	v_sub_u32_e32 v5, s3, v5
	v_add_u32_e32 v6, 1, v4
	v_sub_u32_e32 v7, v5, v1
	v_cmp_ge_u32_e32 vcc, v5, v1
	s_load_dwordx2 s[26:27], s[0:1], 0x8
	s_load_dwordx2 s[24:25], s[0:1], 0x18
	v_cndmask_b32_e32 v4, v4, v6, vcc
	v_cndmask_b32_e32 v5, v5, v7, vcc
	v_add_u32_e32 v6, 1, v4
	v_cmp_ge_u32_e32 vcc, v5, v1
	v_cmp_gt_i32_e64 s[6:7], s10, v2
	s_nop 0
	v_cndmask_b32_e32 v4, v4, v6, vcc
	v_mul_lo_u32 v76, v4, 3
	v_add_u32_e32 v77, v76, v3
	v_mul_lo_u32 v1, v4, v1
	v_cmp_gt_i32_e32 vcc, s9, v77
	v_sub_u32_e32 v9, s3, v1
	s_and_b64 s[6:7], vcc, s[6:7]
	v_mov_b32_e32 v1, 0
	s_and_saveexec_b64 s[30:31], s[6:7]
	s_cbranch_execz .LBB85_8
; %bb.3:
	s_load_dwordx2 s[6:7], s[0:1], 0x10
	v_mul_hi_i32 v5, v76, s15
	v_mul_lo_u32 v4, v76, s15
	v_mul_lo_u32 v6, s15, v3
	v_lshlrev_b64 v[4:5], 2, v[4:5]
	s_waitcnt lgkmcnt(0)
	v_lshl_add_u64 v[4:5], s[6:7], 0, v[4:5]
	v_ashrrev_i32_e32 v7, 31, v6
	v_lshl_add_u64 v[4:5], v[6:7], 2, v[4:5]
	v_mul_lo_u32 v6, v2, s14
	s_lshl_b32 s3, s14, 6
	v_mov_b32_e32 v1, 0
	s_mov_b64 s[14:15], 0
	v_add_u32_e32 v10, v74, v75
	v_mov_b32_e32 v11, v2
	s_branch .LBB85_5
.LBB85_4:                               ;   in Loop: Header=BB85_5 Depth=1
	s_or_b64 exec, exec, s[34:35]
	v_add_u32_e32 v11, 64, v11
	v_cmp_le_i32_e64 s[6:7], s10, v11
	s_xor_b64 s[34:35], vcc, -1
	s_or_b64 s[6:7], s[34:35], s[6:7]
	s_and_b64 s[6:7], exec, s[6:7]
	s_or_b64 s[14:15], s[6:7], s[14:15]
	v_add_u32_e32 v6, s3, v6
	s_andn2_b64 exec, exec, s[14:15]
	s_cbranch_execz .LBB85_7
.LBB85_5:                               ; =>This Inner Loop Header: Depth=1
	v_ashrrev_i32_e32 v7, 31, v6
	v_lshl_add_u64 v[12:13], v[6:7], 2, v[4:5]
	global_load_dword v7, v[12:13], off
	s_waitcnt vmcnt(0)
	v_cmp_ne_u32_e32 vcc, v7, v9
	v_cmp_eq_u32_e64 s[6:7], v7, v9
	s_and_saveexec_b64 s[34:35], s[6:7]
	s_cbranch_execz .LBB85_4
; %bb.6:                                ;   in Loop: Header=BB85_5 Depth=1
	v_mov_b32_e32 v1, 1
	ds_write_b32 v10, v11
	s_branch .LBB85_4
.LBB85_7:
	s_or_b64 exec, exec, s[14:15]
.LBB85_8:
	s_or_b64 exec, exec, s[30:31]
	s_load_dwordx2 s[6:7], s[0:1], 0x0
	v_or_b32_dpp v1, v1, v1 row_shl:1 row_mask:0xf bank_mask:0xf bound_ctrl:1
	s_load_dwordx2 s[0:1], s[28:29], 0xc
	s_ashr_i32 s3, s4, 31
	v_or_b32_dpp v1, v1, v1 row_shl:2 row_mask:0xf bank_mask:0xf bound_ctrl:1
	s_ashr_i32 s10, s19, 31
	s_waitcnt lgkmcnt(0)
	s_and_b32 s5, s1, 0xffff
	s_lshr_b32 s1, s0, 16
	s_and_b32 s0, s0, 0xffff
	s_mul_i32 s14, s1, s0
	v_or_b32_dpp v1, v1, v1 row_shl:4 row_mask:0xf bank_mask:0xf bound_ctrl:1
	s_bfe_i32 s14, s14, 0x180000
	s_mul_i32 s5, s14, s5
	v_or_b32_dpp v1, v1, v1 row_shl:8 row_mask:0xf bank_mask:0xf bound_ctrl:1
	s_add_i32 s14, s5, 63
	s_bitcmp1_b32 exec_hi, 0
	v_mov_b32_dpp v4, v1 wave_shl:1 row_mask:0xf bank_mask:0xf bound_ctrl:1
	s_nop 1
	v_or_b32_dpp v1, v4, v1 row_mirror row_mask:0xf bank_mask:0xf bound_ctrl:1
	s_nop 0
	v_readlane_b32 s5, v1, 32
	s_cselect_b32 s5, s5, 0
	v_readlane_b32 s15, v1, 0
	s_or_b32 s5, s5, s15
	s_andn2_b32 s14, s14, 63
	s_cmp_lg_u32 s14, 64
	v_mov_b32_e32 v1, s5
	s_cbranch_scc0 .LBB85_15
; %bb.9:
	v_bfe_u32 v0, v0, 20, 10
	v_mbcnt_lo_u32_b32 v1, -1, 0
	v_mad_u32_u24 v0, v0, s1, v3
	v_mbcnt_hi_u32_b32 v4, -1, v1
	v_mad_u64_u32 v[0:1], s[0:1], v0, s0, v[2:3]
	v_lshrrev_b32_e32 v1, 6, v0
	v_or_b32_e32 v1, v4, v1
	v_cmp_eq_u32_e32 vcc, 0, v1
	s_and_saveexec_b64 s[0:1], vcc
; %bb.10:
	v_mov_b32_e32 v1, 0
	v_mov_b32_e32 v5, s5
	ds_write_b32 v1, v5
; %bb.11:
	s_or_b64 exec, exec, s[0:1]
	v_cmp_eq_u32_e32 vcc, 0, v4
	v_cmp_lt_u32_e64 s[0:1], 63, v0
	s_and_b64 s[14:15], s[0:1], vcc
	s_waitcnt lgkmcnt(0)
	s_barrier
	s_and_saveexec_b64 s[0:1], s[14:15]
	s_cbranch_execz .LBB85_14
; %bb.12:
	v_mbcnt_lo_u32_b32 v0, exec_lo, 0
	v_mbcnt_hi_u32_b32 v0, exec_hi, v0
	v_cmp_eq_u32_e32 vcc, 0, v0
	s_and_b64 exec, exec, vcc
; %bb.13:
	v_mov_b32_e32 v0, 0
	v_mov_b32_e32 v1, s5
	ds_or_b32 v0, v1
.LBB85_14:
	s_or_b64 exec, exec, s[0:1]
	v_mov_b32_e32 v0, 0
	s_waitcnt lgkmcnt(0)
	s_barrier
	ds_read_b32 v1, v0
	s_waitcnt lgkmcnt(0)
	s_barrier
.LBB85_15:
	v_cmp_ne_u32_e32 vcc, 0, v1
	s_cbranch_vccz .LBB85_37
; %bb.16:
	v_lshlrev_b32_e32 v78, 6, v3
	v_add_u32_e32 v80, v78, v2
	v_cmp_le_i32_e32 vcc, s8, v80
	v_and_b32_e32 v79, 15, v2
	s_and_saveexec_b64 s[0:1], vcc
	s_xor_b64 s[0:1], exec, s[0:1]
; %bb.17:
	v_and_b32_e32 v79, 15, v2
                                        ; implicit-def: $vgpr80
                                        ; implicit-def: $vgpr8
                                        ; implicit-def: $vgpr9
; %bb.18:
	s_or_saveexec_b64 s[14:15], s[0:1]
	s_lshl_b32 s5, s2, 6
	v_mov_b32_e32 v1, 0
	v_accvgpr_write_b32 a0, 0
	v_accvgpr_write_b32 a1, 0
	;; [unrolled: 1-line block ×16, first 2 shown]
	s_xor_b64 exec, exec, s[14:15]
	s_cbranch_execz .LBB85_34
; %bb.19:
	v_mul_lo_u32 v0, v8, s23
	v_sub_u32_e32 v0, s33, v0
	v_add_u32_e32 v4, 1, v8
	v_subrev_u32_e32 v5, s23, v0
	v_cmp_le_u32_e32 vcc, s23, v0
	s_xor_b32 s0, s3, s10
	v_mul_lo_u32 v6, v9, s16
	v_cndmask_b32_e32 v4, v8, v4, vcc
	v_cndmask_b32_e32 v0, v0, v5, vcc
	v_add_u32_e32 v5, 1, v4
	v_cmp_le_u32_e32 vcc, s23, v0
	s_mul_hi_i32 s3, s21, s4
	s_mul_i32 s2, s21, s4
	v_cndmask_b32_e32 v0, v4, v5, vcc
	v_xor_b32_e32 v0, s0, v0
	v_subrev_u32_e32 v0, s0, v0
	s_mul_i32 s0, s11, s5
	v_mul_hi_i32 v5, v0, s20
	v_mul_lo_u32 v4, v0, s20
	s_ashr_i32 s1, s0, 31
	v_ashrrev_i32_e32 v7, 31, v6
	v_lshlrev_b64 v[8:9], 2, v[4:5]
	s_lshl_b64 s[0:1], s[0:1], 2
	s_lshl_b64 s[2:3], s[2:3], 2
	v_lshl_add_u64 v[4:5], s[6:7], 0, v[8:9]
	v_lshlrev_b64 v[10:11], 2, v[6:7]
	v_mul_hi_i32 v7, v76, s12
	v_mul_lo_u32 v6, v76, s12
	s_add_u32 s2, s26, s2
	v_lshrrev_b32_e32 v12, 1, v2
	v_lshl_add_u64 v[8:9], v[8:9], 0, s[0:1]
	s_addc_u32 s3, s27, s3
	v_lshlrev_b64 v[6:7], 2, v[6:7]
	v_mul_u32_u24_e32 v0, 0x108, v79
	v_and_b32_e32 v12, 0x1f8, v12
	v_lshl_add_u64 v[8:9], v[8:9], 0, v[10:11]
	v_lshl_add_u64 v[4:5], v[4:5], 0, v[10:11]
	v_lshl_add_u64 v[6:7], s[2:3], 0, v[6:7]
	v_add3_u32 v82, v74, v0, v12
	v_add_u32_e32 v12, 1, v76
	v_add_u32_e32 v13, 2, v76
	s_ashr_i32 s3, s11, 31
	s_mov_b32 s2, s11
	v_lshl_add_u64 v[8:9], s[6:7], 0, v[8:9]
	v_lshlrev_b32_e32 v0, 2, v80
	v_lshl_add_u64 v[4:5], v[4:5], 0, s[0:1]
	v_lshl_add_u32 v81, v2, 2, v74
	s_lshl_b32 s16, s12, 1
	s_add_i32 s19, s11, s11
	s_mul_i32 s23, s11, 3
	s_lshl_b32 s28, s11, 2
	s_mul_i32 s29, s11, 5
	s_mul_i32 s30, s11, 6
	;; [unrolled: 1-line block ×3, first 2 shown]
	s_lshl_b32 s33, s11, 3
	s_mul_i32 s34, s11, 9
	s_mul_i32 s35, s11, 10
	;; [unrolled: 1-line block ×7, first 2 shown]
	s_lshl_b32 s41, s11, 4
	s_mul_i32 s42, s11, 17
	s_mul_i32 s43, s11, 18
	;; [unrolled: 1-line block ×15, first 2 shown]
	s_lshl_b32 s57, s11, 5
	s_mul_i32 s58, s11, 33
	s_mul_i32 s59, s11, 34
	s_mul_i32 s60, s11, 35
	s_mul_i32 s61, s11, 36
	s_mul_i32 s62, s11, 37
	s_mul_i32 s63, s11, 38
	s_mul_i32 s64, s11, 39
	s_mul_i32 s65, s11, 40
	s_mul_i32 s66, s11, 41
	s_mul_i32 s67, s11, 42
	s_mul_i32 s68, s11, 43
	s_mul_i32 s69, s11, 44
	s_mul_i32 s70, s11, 45
	s_mul_i32 s71, s11, 46
	s_mul_i32 s72, s11, 47
	s_mul_i32 s73, s11, 48
	s_mul_i32 s74, s11, 49
	s_mul_i32 s75, s11, 50
	s_mul_i32 s76, s11, 51
	s_mul_i32 s77, s11, 52
	s_mul_i32 s78, s11, 53
	s_mul_i32 s79, s11, 54
	v_cmp_gt_i32_e64 s[0:1], s9, v76
	s_mul_i32 s80, s11, 55
	s_mul_i32 s81, s11, 56
	s_lshl_b64 s[20:21], s[2:3], 2
	v_accvgpr_write_b32 a15, 0
	v_accvgpr_write_b32 a14, 0
	;; [unrolled: 1-line block ×16, first 2 shown]
	v_lshl_add_u64 v[8:9], v[8:9], 0, v[0:1]
	v_mov_b32_e32 v0, 0x100
	s_mul_i32 s82, s11, 57
	s_mul_i32 s83, s11, 58
	;; [unrolled: 1-line block ×7, first 2 shown]
	v_cmp_gt_i32_e64 s[2:3], s9, v12
	v_cmp_gt_i32_e64 s[6:7], s9, v13
	s_mov_b64 s[10:11], 0
	s_mov_b64 s[26:27], 0x400
	s_branch .LBB85_22
.LBB85_20:                              ;   in Loop: Header=BB85_22 Depth=1
	v_mul_lo_u32 v83, v83, s17
	v_add_u32_e32 v83, s16, v83
	v_add_u32_e32 v84, v83, v80
	v_ashrrev_i32_e32 v85, 31, v84
	v_lshl_add_u64 v[84:85], v[84:85], 2, v[6:7]
	global_load_dword v83, v[84:85], off
.LBB85_21:                              ;   in Loop: Header=BB85_22 Depth=1
	s_waitcnt vmcnt(0)
	ds_write2_b32 v81, v83, v1 offset0:148 offset1:214
	v_add_u32_e32 v83, 0x400, v81
	ds_write2_b32 v83, v1, v1 offset0:24 offset1:90
	ds_write2_b32 v83, v1, v1 offset0:156 offset1:222
	v_add_u32_e32 v83, 0x800, v81
	ds_write2_b32 v83, v1, v1 offset0:32 offset1:98
	;; [unrolled: 3-line block ×3, first 2 shown]
	ds_write2_b32 v83, v1, v1 offset0:172 offset1:238
	ds_read2_b64 v[84:87], v82 offset0:8 offset1:12
	v_add_u32_e32 v80, 0x100, v80
	s_waitcnt lgkmcnt(0)
	v_mfma_f32_16x16x4_f32 a[12:15], v38, v84, a[12:15]
	v_cmp_le_i32_e32 vcc, s8, v80
	v_lshl_add_u64 v[8:9], v[8:9], 0, s[26:27]
	s_or_b64 s[10:11], vcc, s[10:11]
	v_mfma_f32_16x16x4_f32 a[8:11], v50, v84, a[8:11]
	v_mfma_f32_16x16x4_f32 a[4:7], v60, v84, a[4:7]
	;; [unrolled: 1-line block ×15, first 2 shown]
	ds_read2_b64 v[70:73], v82 offset0:16 offset1:20
	s_waitcnt lgkmcnt(0)
	v_mfma_f32_16x16x4_f32 a[12:15], v26, v70, a[12:15]
	v_mfma_f32_16x16x4_f32 a[8:11], v42, v70, a[8:11]
	;; [unrolled: 1-line block ×14, first 2 shown]
	ds_read2_b64 v[36:39], v82 offset0:24 offset1:28
	v_mfma_f32_16x16x4_f32 a[4:7], v49, v73, a[4:7]
	v_mfma_f32_16x16x4_f32 a[0:3], v67, v73, a[0:3]
	s_waitcnt lgkmcnt(0)
	v_mfma_f32_16x16x4_f32 a[12:15], v18, v36, a[12:15]
	v_mfma_f32_16x16x4_f32 a[8:11], v30, v36, a[8:11]
	;; [unrolled: 1-line block ×14, first 2 shown]
	ds_read2_b64 v[22:25], v82 offset0:32 offset1:36
	v_mfma_f32_16x16x4_f32 a[4:7], v41, v39, a[4:7]
	v_mfma_f32_16x16x4_f32 a[0:3], v63, v39, a[0:3]
	s_waitcnt lgkmcnt(0)
	v_mfma_f32_16x16x4_f32 a[12:15], v12, v22, a[12:15]
	v_mfma_f32_16x16x4_f32 a[8:11], v20, v22, a[8:11]
	;; [unrolled: 1-line block ×16, first 2 shown]
	s_andn2_b64 exec, exec, s[10:11]
	s_cbranch_execz .LBB85_33
.LBB85_22:                              ; =>This Inner Loop Header: Depth=1
	v_lshl_add_u64 v[10:11], v[8:9], 0, s[20:21]
	global_load_dword v26, v[8:9], off
	global_load_dword v27, v[10:11], off
	v_add_u32_e32 v10, s19, v80
	v_add_u32_e32 v14, s28, v80
	;; [unrolled: 1-line block ×5, first 2 shown]
	v_ashrrev_i32_e32 v11, 31, v10
	v_add_u32_e32 v12, s23, v80
	v_ashrrev_i32_e32 v15, 31, v14
	v_ashrrev_i32_e32 v17, 31, v16
	;; [unrolled: 1-line block ×3, first 2 shown]
	v_add_u32_e32 v20, s31, v80
	v_ashrrev_i32_e32 v23, 31, v22
	v_add_u32_e32 v24, s34, v80
	v_lshl_add_u64 v[10:11], v[10:11], 2, v[4:5]
	v_ashrrev_i32_e32 v13, 31, v12
	v_lshl_add_u64 v[14:15], v[14:15], 2, v[4:5]
	v_lshl_add_u64 v[16:17], v[16:17], 2, v[4:5]
	;; [unrolled: 1-line block ×3, first 2 shown]
	v_ashrrev_i32_e32 v21, 31, v20
	v_lshl_add_u64 v[22:23], v[22:23], 2, v[4:5]
	v_ashrrev_i32_e32 v25, 31, v24
	v_lshl_add_u64 v[12:13], v[12:13], 2, v[4:5]
	v_lshl_add_u64 v[20:21], v[20:21], 2, v[4:5]
	;; [unrolled: 1-line block ×3, first 2 shown]
	global_load_dword v28, v[10:11], off
	global_load_dword v29, v[12:13], off
	;; [unrolled: 1-line block ×6, first 2 shown]
	s_nop 0
	global_load_dword v22, v[22:23], off
	s_nop 0
	global_load_dword v23, v[24:25], off
	v_add_u32_e32 v10, s35, v80
	v_add_u32_e32 v14, s37, v80
	;; [unrolled: 1-line block ×4, first 2 shown]
	v_ashrrev_i32_e32 v11, 31, v10
	v_add_u32_e32 v12, s36, v80
	v_ashrrev_i32_e32 v15, 31, v14
	v_ashrrev_i32_e32 v17, 31, v16
	;; [unrolled: 1-line block ×3, first 2 shown]
	v_add_u32_e32 v20, s40, v80
	v_lshl_add_u64 v[10:11], v[10:11], 2, v[4:5]
	v_ashrrev_i32_e32 v13, 31, v12
	v_lshl_add_u64 v[14:15], v[14:15], 2, v[4:5]
	v_lshl_add_u64 v[16:17], v[16:17], 2, v[4:5]
	;; [unrolled: 1-line block ×3, first 2 shown]
	v_ashrrev_i32_e32 v21, 31, v20
	v_lshl_add_u64 v[12:13], v[12:13], 2, v[4:5]
	v_lshl_add_u64 v[20:21], v[20:21], 2, v[4:5]
	global_load_dword v24, v[10:11], off
	global_load_dword v25, v[12:13], off
	s_nop 0
	global_load_dword v15, v[14:15], off
	s_nop 0
	;; [unrolled: 2-line block ×4, first 2 shown]
	global_load_dword v18, v[20:21], off
	v_add_u32_e32 v10, s41, v80
	v_add_u32_e32 v12, s42, v80
	v_ashrrev_i32_e32 v11, 31, v10
	v_add_u32_e32 v14, s43, v80
	v_ashrrev_i32_e32 v13, 31, v12
	v_lshl_add_u64 v[10:11], v[10:11], 2, v[4:5]
	v_lshl_add_u64 v[12:13], v[12:13], 2, v[4:5]
	global_load_dword v34, v[10:11], off
	global_load_dword v35, v[12:13], off
	v_add_u32_e32 v12, s44, v80
	v_add_u32_e32 v20, s48, v80
	v_ashrrev_i32_e32 v13, 31, v12
	v_ashrrev_i32_e32 v21, 31, v20
	v_lshl_add_u64 v[12:13], v[12:13], 2, v[4:5]
	v_lshl_add_u64 v[20:21], v[20:21], 2, v[4:5]
	s_andn2_b64 vcc, exec, s[0:1]
	s_waitcnt vmcnt(17)
	ds_write_b32 v81, v26 offset:64
	s_waitcnt vmcnt(16)
	ds_write_b32 v81, v27 offset:328
	;; [unrolled: 2-line block ×16, first 2 shown]
	v_ashrrev_i32_e32 v15, 31, v14
	v_lshl_add_u64 v[10:11], v[14:15], 2, v[4:5]
	v_add_u32_e32 v14, s45, v80
	v_add_u32_e32 v16, s46, v80
	;; [unrolled: 1-line block ×5, first 2 shown]
	v_ashrrev_i32_e32 v15, 31, v14
	v_ashrrev_i32_e32 v17, 31, v16
	;; [unrolled: 1-line block ×5, first 2 shown]
	v_lshl_add_u64 v[14:15], v[14:15], 2, v[4:5]
	v_lshl_add_u64 v[16:17], v[16:17], 2, v[4:5]
	v_lshl_add_u64 v[18:19], v[18:19], 2, v[4:5]
	v_lshl_add_u64 v[22:23], v[22:23], 2, v[4:5]
	v_lshl_add_u64 v[24:25], v[24:25], 2, v[4:5]
	global_load_dword v28, v[10:11], off
	global_load_dword v29, v[12:13], off
	global_load_dword v30, v[14:15], off
	global_load_dword v31, v[16:17], off
	global_load_dword v36, v[18:19], off
	global_load_dword v37, v[20:21], off
	global_load_dword v40, v[22:23], off
	global_load_dword v41, v[24:25], off
	v_add_u32_e32 v10, s51, v80
	v_ashrrev_i32_e32 v11, 31, v10
	v_add_u32_e32 v12, s52, v80
	v_add_u32_e32 v14, s53, v80
	v_add_u32_e32 v16, s54, v80
	v_add_u32_e32 v18, s55, v80
	v_add_u32_e32 v20, s56, v80
	v_add_u32_e32 v22, s57, v80
	v_add_u32_e32 v24, s58, v80
	v_lshl_add_u64 v[10:11], v[10:11], 2, v[4:5]
	v_ashrrev_i32_e32 v13, 31, v12
	v_ashrrev_i32_e32 v15, 31, v14
	v_ashrrev_i32_e32 v17, 31, v16
	v_ashrrev_i32_e32 v19, 31, v18
	v_ashrrev_i32_e32 v21, 31, v20
	v_ashrrev_i32_e32 v23, 31, v22
	v_ashrrev_i32_e32 v25, 31, v24
	v_lshl_add_u64 v[12:13], v[12:13], 2, v[4:5]
	v_lshl_add_u64 v[14:15], v[14:15], 2, v[4:5]
	v_lshl_add_u64 v[16:17], v[16:17], 2, v[4:5]
	v_lshl_add_u64 v[18:19], v[18:19], 2, v[4:5]
	v_lshl_add_u64 v[20:21], v[20:21], 2, v[4:5]
	v_lshl_add_u64 v[22:23], v[22:23], 2, v[4:5]
	v_lshl_add_u64 v[24:25], v[24:25], 2, v[4:5]
	global_load_dword v42, v[10:11], off
	global_load_dword v43, v[12:13], off
	global_load_dword v44, v[14:15], off
	global_load_dword v45, v[16:17], off
	global_load_dword v46, v[18:19], off
	global_load_dword v47, v[20:21], off
	global_load_dword v48, v[22:23], off
	global_load_dword v49, v[24:25], off
	v_add_u32_e32 v10, s59, v80
	v_ashrrev_i32_e32 v11, 31, v10
	v_add_u32_e32 v12, s60, v80
	v_add_u32_e32 v14, s61, v80
	v_add_u32_e32 v16, s62, v80
	v_add_u32_e32 v18, s63, v80
	v_add_u32_e32 v20, s64, v80
	v_add_u32_e32 v22, s65, v80
	v_add_u32_e32 v24, s66, v80
	v_lshl_add_u64 v[10:11], v[10:11], 2, v[4:5]
	v_ashrrev_i32_e32 v13, 31, v12
	v_ashrrev_i32_e32 v15, 31, v14
	v_ashrrev_i32_e32 v17, 31, v16
	v_ashrrev_i32_e32 v19, 31, v18
	v_ashrrev_i32_e32 v21, 31, v20
	v_ashrrev_i32_e32 v23, 31, v22
	v_ashrrev_i32_e32 v25, 31, v24
	v_lshl_add_u64 v[12:13], v[12:13], 2, v[4:5]
	v_lshl_add_u64 v[14:15], v[14:15], 2, v[4:5]
	;; [unrolled: 32-line block ×4, first 2 shown]
	v_lshl_add_u64 v[16:17], v[16:17], 2, v[4:5]
	v_lshl_add_u64 v[18:19], v[18:19], 2, v[4:5]
	;; [unrolled: 1-line block ×5, first 2 shown]
	global_load_dword v68, v[10:11], off
	global_load_dword v69, v[12:13], off
	;; [unrolled: 1-line block ×8, first 2 shown]
	v_add_u32_e32 v10, s83, v80
	v_ashrrev_i32_e32 v11, 31, v10
	v_add_u32_e32 v12, s84, v80
	v_lshl_add_u64 v[10:11], v[10:11], 2, v[4:5]
	v_ashrrev_i32_e32 v13, 31, v12
	v_lshl_add_u64 v[12:13], v[12:13], 2, v[4:5]
	global_load_dword v85, v[10:11], off
	global_load_dword v86, v[12:13], off
	v_add_u32_e32 v10, s85, v80
	v_ashrrev_i32_e32 v11, 31, v10
	v_add_u32_e32 v12, s86, v80
	v_add_u32_e32 v14, s87, v80
	;; [unrolled: 1-line block ×3, first 2 shown]
	v_lshl_add_u64 v[10:11], v[10:11], 2, v[4:5]
	v_ashrrev_i32_e32 v13, 31, v12
	v_ashrrev_i32_e32 v15, 31, v14
	;; [unrolled: 1-line block ×3, first 2 shown]
	v_lshl_add_u64 v[12:13], v[12:13], 2, v[4:5]
	v_lshl_add_u64 v[14:15], v[14:15], 2, v[4:5]
	;; [unrolled: 1-line block ×3, first 2 shown]
	global_load_dword v87, v[10:11], off
	global_load_dword v88, v[12:13], off
	;; [unrolled: 1-line block ×4, first 2 shown]
	ds_read_b64 v[38:39], v82 offset:64
	ds_read_b64 v[32:33], v82 offset:96
	ds_read_b64 v[26:27], v82 offset:128
	ds_read_b64 v[22:23], v82 offset:160
	ds_read_b64 v[18:19], v82 offset:192
	ds_read_b64 v[14:15], v82 offset:224
	ds_read_b64 v[12:13], v82 offset:256
	ds_read_b64 v[10:11], v82 offset:288
	s_waitcnt vmcnt(47)
	ds_write_b32 v81, v34 offset:64
	s_waitcnt vmcnt(46)
	ds_write_b32 v81, v35 offset:328
	s_waitcnt vmcnt(45)
	ds_write_b32 v81, v28 offset:592
	s_waitcnt vmcnt(44)
	ds_write_b32 v81, v29 offset:856
	s_waitcnt vmcnt(43)
	ds_write_b32 v81, v30 offset:1120
	s_waitcnt vmcnt(42)
	ds_write_b32 v81, v31 offset:1384
	s_waitcnt vmcnt(41)
	ds_write_b32 v81, v36 offset:1648
	s_waitcnt vmcnt(40)
	ds_write_b32 v81, v37 offset:1912
	s_waitcnt vmcnt(39)
	ds_write_b32 v81, v40 offset:2176
	s_waitcnt vmcnt(38)
	ds_write_b32 v81, v41 offset:2440
	s_waitcnt vmcnt(37)
	ds_write_b32 v81, v42 offset:2704
	s_waitcnt vmcnt(36)
	ds_write_b32 v81, v43 offset:2968
	s_waitcnt vmcnt(35)
	ds_write_b32 v81, v44 offset:3232
	s_waitcnt vmcnt(34)
	ds_write_b32 v81, v45 offset:3496
	s_waitcnt vmcnt(33)
	ds_write_b32 v81, v46 offset:3760
	s_waitcnt vmcnt(32)
	ds_write_b32 v81, v47 offset:4024
	ds_read_b64 v[50:51], v82 offset:64
	ds_read_b64 v[46:47], v82 offset:96
	ds_read_b64 v[42:43], v82 offset:128
	ds_read_b64 v[36:37], v82 offset:160
	ds_read_b64 v[30:31], v82 offset:192
	ds_read_b64 v[24:25], v82 offset:224
	ds_read_b64 v[20:21], v82 offset:256
	ds_read_b64 v[16:17], v82 offset:288
	s_waitcnt vmcnt(31)
	ds_write_b32 v81, v48 offset:64
	s_waitcnt vmcnt(30)
	ds_write_b32 v81, v49 offset:328
	s_waitcnt vmcnt(29)
	ds_write_b32 v81, v52 offset:592
	s_waitcnt vmcnt(28)
	ds_write_b32 v81, v53 offset:856
	s_waitcnt vmcnt(27)
	ds_write_b32 v81, v54 offset:1120
	s_waitcnt vmcnt(26)
	ds_write_b32 v81, v55 offset:1384
	s_waitcnt vmcnt(25)
	ds_write_b32 v81, v56 offset:1648
	s_waitcnt vmcnt(24)
	ds_write_b32 v81, v57 offset:1912
	s_waitcnt vmcnt(23)
	ds_write_b32 v81, v58 offset:2176
	s_waitcnt vmcnt(22)
	ds_write_b32 v81, v59 offset:2440
	s_waitcnt vmcnt(21)
	ds_write_b32 v81, v60 offset:2704
	s_waitcnt vmcnt(20)
	ds_write_b32 v81, v61 offset:2968
	s_waitcnt vmcnt(19)
	ds_write_b32 v81, v62 offset:3232
	s_waitcnt vmcnt(18)
	ds_write_b32 v81, v63 offset:3496
	s_waitcnt vmcnt(17)
	ds_write_b32 v81, v64 offset:3760
	s_waitcnt vmcnt(16)
	ds_write_b32 v81, v65 offset:4024
	;; [unrolled: 40-line block ×3, first 2 shown]
	ds_read_b64 v[72:73], v82 offset:64
	ds_read_b64 v[70:71], v82 offset:96
	;; [unrolled: 1-line block ×8, first 2 shown]
	v_mov_b32_e32 v83, 0
	s_cbranch_vccnz .LBB85_26
; %bb.23:                               ;   in Loop: Header=BB85_22 Depth=1
	ds_read_b32 v83, v0
	s_waitcnt lgkmcnt(0)
	v_cmp_gt_i32_e32 vcc, 0, v83
	s_cbranch_vccnz .LBB85_25
; %bb.24:                               ;   in Loop: Header=BB85_22 Depth=1
	v_mul_lo_u32 v83, v83, s17
	v_add_u32_e32 v84, v80, v83
	v_ashrrev_i32_e32 v85, 31, v84
	v_lshl_add_u64 v[84:85], v[84:85], 2, v[6:7]
	global_load_dword v83, v[84:85], off
	s_branch .LBB85_26
.LBB85_25:                              ;   in Loop: Header=BB85_22 Depth=1
	v_mov_b32_e32 v83, 0
.LBB85_26:                              ;   in Loop: Header=BB85_22 Depth=1
	s_waitcnt vmcnt(0)
	ds_write_b32 v81, v83 offset:64
	v_mov_b32_e32 v83, 0
	s_andn2_b64 vcc, exec, s[2:3]
	v_mov_b32_e32 v84, 0
	s_cbranch_vccnz .LBB85_29
; %bb.27:                               ;   in Loop: Header=BB85_22 Depth=1
	ds_read_b32 v84, v0 offset:4
	s_waitcnt lgkmcnt(0)
	v_cmp_gt_i32_e32 vcc, 0, v84
	s_cbranch_vccnz .LBB85_32
; %bb.28:                               ;   in Loop: Header=BB85_22 Depth=1
	v_mul_lo_u32 v84, v84, s17
	v_add_u32_e32 v84, s12, v84
	v_add_u32_e32 v84, v84, v80
	v_ashrrev_i32_e32 v85, 31, v84
	v_lshl_add_u64 v[84:85], v[84:85], 2, v[6:7]
	global_load_dword v84, v[84:85], off
.LBB85_29:                              ;   in Loop: Header=BB85_22 Depth=1
	s_andn2_b64 vcc, exec, s[6:7]
	s_waitcnt vmcnt(0)
	ds_write_b32 v81, v84 offset:328
	s_cbranch_vccnz .LBB85_21
.LBB85_30:                              ;   in Loop: Header=BB85_22 Depth=1
	ds_read_b32 v83, v0 offset:8
	s_waitcnt lgkmcnt(0)
	v_cmp_gt_i32_e32 vcc, 0, v83
	s_cbranch_vccz .LBB85_20
; %bb.31:                               ;   in Loop: Header=BB85_22 Depth=1
	v_mov_b32_e32 v83, 0
	s_branch .LBB85_21
.LBB85_32:                              ;   in Loop: Header=BB85_22 Depth=1
	v_mov_b32_e32 v84, 0
	s_andn2_b64 vcc, exec, s[6:7]
	ds_write_b32 v81, v84 offset:328
	s_cbranch_vccnz .LBB85_21
	s_branch .LBB85_30
.LBB85_33:
	s_or_b64 exec, exec, s[10:11]
.LBB85_34:
	s_or_b64 exec, exec, s[14:15]
	v_mov_b32_e32 v0, 0x100
	v_lshl_add_u32 v0, v78, 2, v0
	v_mul_u32_u24_e32 v1, 0x408, v79
	v_and_b32_e32 v4, 0x3f0, v2
	v_add3_u32 v0, v0, v1, v4
	v_accvgpr_read_b32 v1, a13
	v_accvgpr_read_b32 v4, a12
	s_barrier
	ds_write2_b32 v0, v4, v1 offset0:16 offset1:17
	v_accvgpr_read_b32 v1, a15
	v_accvgpr_read_b32 v4, a14
	ds_write2_b32 v0, v4, v1 offset0:18 offset1:19
	v_accvgpr_read_b32 v1, a9
	v_accvgpr_read_b32 v4, a8
	;; [unrolled: 3-line block ×7, first 2 shown]
	v_cmp_gt_u32_e32 vcc, 3, v3
	ds_write2_b32 v0, v4, v1 offset0:66 offset1:67
	s_waitcnt lgkmcnt(0)
	s_barrier
	s_and_saveexec_b64 s[0:1], vcc
	s_cbranch_execz .LBB85_37
; %bb.35:
	v_add_u32_e32 v0, v74, v75
	ds_read_b32 v0, v0
	v_cmp_gt_i32_e64 s[0:1], s9, v77
	s_waitcnt lgkmcnt(0)
	v_cmp_lt_i32_e32 vcc, -1, v0
	s_and_b64 s[0:1], vcc, s[0:1]
	s_and_b64 exec, exec, s[0:1]
	s_cbranch_execz .LBB85_37
; %bb.36:
	v_lshlrev_b32_e32 v1, 2, v2
	s_movk_i32 s2, 0x100
	v_mul_u32_u24_e32 v6, 0x408, v3
	v_add3_u32 v1, s2, v1, v6
	ds_read2_b32 v[6:7], v1 offset0:16 offset1:80
	ds_read2_b32 v[8:9], v1 offset0:144 offset1:208
	s_mul_hi_i32 s1, s22, s4
	s_mul_i32 s0, s22, s4
	s_lshl_b64 s[0:1], s[0:1], 2
	s_waitcnt lgkmcnt(1)
	v_add_f32_e32 v1, 0, v6
	v_add_f32_e32 v1, v1, v7
	v_mul_hi_i32 v5, v76, s13
	v_mul_lo_u32 v4, v76, s13
	s_add_u32 s0, s24, s0
	s_waitcnt lgkmcnt(0)
	v_add_f32_e32 v1, v1, v8
	s_addc_u32 s1, s25, s1
	v_lshlrev_b64 v[4:5], 2, v[4:5]
	v_add_f32_e32 v6, v1, v9
	v_add_u32_e32 v1, s5, v2
	v_mul_lo_u32 v2, s13, v3
	v_mul_lo_u32 v0, v0, s18
	v_lshl_add_u64 v[4:5], s[0:1], 0, v[4:5]
	v_add3_u32 v0, v1, v2, v0
	v_mov_b32_e32 v1, 0
	v_lshl_add_u64 v[0:1], v[0:1], 2, v[4:5]
	global_store_dword v[0:1], v6, off
.LBB85_37:
	s_endpgm
	.section	.rodata,"a",@progbits
	.p2align	6, 0x0
	.amdhsa_kernel _ZL9mul_mat_fIfLi64ELi3ELi4ELb1EEvPKT_PKfPKiPfiiiiiiiiiiiiiiii
		.amdhsa_group_segment_fixed_size 256
		.amdhsa_private_segment_fixed_size 0
		.amdhsa_kernarg_size 352
		.amdhsa_user_sgpr_count 2
		.amdhsa_user_sgpr_dispatch_ptr 0
		.amdhsa_user_sgpr_queue_ptr 0
		.amdhsa_user_sgpr_kernarg_segment_ptr 1
		.amdhsa_user_sgpr_dispatch_id 0
		.amdhsa_user_sgpr_kernarg_preload_length 0
		.amdhsa_user_sgpr_kernarg_preload_offset 0
		.amdhsa_user_sgpr_private_segment_size 0
		.amdhsa_uses_dynamic_stack 0
		.amdhsa_enable_private_segment 0
		.amdhsa_system_sgpr_workgroup_id_x 1
		.amdhsa_system_sgpr_workgroup_id_y 1
		.amdhsa_system_sgpr_workgroup_id_z 1
		.amdhsa_system_sgpr_workgroup_info 0
		.amdhsa_system_vgpr_workitem_id 2
		.amdhsa_next_free_vgpr 108
		.amdhsa_next_free_sgpr 89
		.amdhsa_accum_offset 92
		.amdhsa_reserve_vcc 1
		.amdhsa_float_round_mode_32 0
		.amdhsa_float_round_mode_16_64 0
		.amdhsa_float_denorm_mode_32 3
		.amdhsa_float_denorm_mode_16_64 3
		.amdhsa_dx10_clamp 1
		.amdhsa_ieee_mode 1
		.amdhsa_fp16_overflow 0
		.amdhsa_tg_split 0
		.amdhsa_exception_fp_ieee_invalid_op 0
		.amdhsa_exception_fp_denorm_src 0
		.amdhsa_exception_fp_ieee_div_zero 0
		.amdhsa_exception_fp_ieee_overflow 0
		.amdhsa_exception_fp_ieee_underflow 0
		.amdhsa_exception_fp_ieee_inexact 0
		.amdhsa_exception_int_div_zero 0
	.end_amdhsa_kernel
	.section	.text._ZL9mul_mat_fIfLi64ELi3ELi4ELb1EEvPKT_PKfPKiPfiiiiiiiiiiiiiiii,"axG",@progbits,_ZL9mul_mat_fIfLi64ELi3ELi4ELb1EEvPKT_PKfPKiPfiiiiiiiiiiiiiiii,comdat
.Lfunc_end85:
	.size	_ZL9mul_mat_fIfLi64ELi3ELi4ELb1EEvPKT_PKfPKiPfiiiiiiiiiiiiiiii, .Lfunc_end85-_ZL9mul_mat_fIfLi64ELi3ELi4ELb1EEvPKT_PKfPKiPfiiiiiiiiiiiiiiii
                                        ; -- End function
	.set _ZL9mul_mat_fIfLi64ELi3ELi4ELb1EEvPKT_PKfPKiPfiiiiiiiiiiiiiiii.num_vgpr, 91
	.set _ZL9mul_mat_fIfLi64ELi3ELi4ELb1EEvPKT_PKfPKiPfiiiiiiiiiiiiiiii.num_agpr, 16
	.set _ZL9mul_mat_fIfLi64ELi3ELi4ELb1EEvPKT_PKfPKiPfiiiiiiiiiiiiiiii.numbered_sgpr, 89
	.set _ZL9mul_mat_fIfLi64ELi3ELi4ELb1EEvPKT_PKfPKiPfiiiiiiiiiiiiiiii.num_named_barrier, 0
	.set _ZL9mul_mat_fIfLi64ELi3ELi4ELb1EEvPKT_PKfPKiPfiiiiiiiiiiiiiiii.private_seg_size, 0
	.set _ZL9mul_mat_fIfLi64ELi3ELi4ELb1EEvPKT_PKfPKiPfiiiiiiiiiiiiiiii.uses_vcc, 1
	.set _ZL9mul_mat_fIfLi64ELi3ELi4ELb1EEvPKT_PKfPKiPfiiiiiiiiiiiiiiii.uses_flat_scratch, 0
	.set _ZL9mul_mat_fIfLi64ELi3ELi4ELb1EEvPKT_PKfPKiPfiiiiiiiiiiiiiiii.has_dyn_sized_stack, 0
	.set _ZL9mul_mat_fIfLi64ELi3ELi4ELb1EEvPKT_PKfPKiPfiiiiiiiiiiiiiiii.has_recursion, 0
	.set _ZL9mul_mat_fIfLi64ELi3ELi4ELb1EEvPKT_PKfPKiPfiiiiiiiiiiiiiiii.has_indirect_call, 0
	.section	.AMDGPU.csdata,"",@progbits
; Kernel info:
; codeLenInByte = 5888
; TotalNumSgprs: 95
; NumVgprs: 91
; NumAgprs: 16
; TotalNumVgprs: 108
; ScratchSize: 0
; MemoryBound: 0
; FloatMode: 240
; IeeeMode: 1
; LDSByteSize: 256 bytes/workgroup (compile time only)
; SGPRBlocks: 11
; VGPRBlocks: 13
; NumSGPRsForWavesPerEU: 95
; NumVGPRsForWavesPerEU: 108
; AccumOffset: 92
; Occupancy: 4
; WaveLimiterHint : 0
; COMPUTE_PGM_RSRC2:SCRATCH_EN: 0
; COMPUTE_PGM_RSRC2:USER_SGPR: 2
; COMPUTE_PGM_RSRC2:TRAP_HANDLER: 0
; COMPUTE_PGM_RSRC2:TGID_X_EN: 1
; COMPUTE_PGM_RSRC2:TGID_Y_EN: 1
; COMPUTE_PGM_RSRC2:TGID_Z_EN: 1
; COMPUTE_PGM_RSRC2:TIDIG_COMP_CNT: 2
; COMPUTE_PGM_RSRC3_GFX90A:ACCUM_OFFSET: 22
; COMPUTE_PGM_RSRC3_GFX90A:TG_SPLIT: 0
	.section	.text._ZL9mul_mat_fIfLi64ELi3ELi4ELb0EEvPKT_PKfPKiPfiiiiiiiiiiiiiiii,"axG",@progbits,_ZL9mul_mat_fIfLi64ELi3ELi4ELb0EEvPKT_PKfPKiPfiiiiiiiiiiiiiiii,comdat
	.globl	_ZL9mul_mat_fIfLi64ELi3ELi4ELb0EEvPKT_PKfPKiPfiiiiiiiiiiiiiiii ; -- Begin function _ZL9mul_mat_fIfLi64ELi3ELi4ELb0EEvPKT_PKfPKiPfiiiiiiiiiiiiiiii
	.p2align	8
	.type	_ZL9mul_mat_fIfLi64ELi3ELi4ELb0EEvPKT_PKfPKiPfiiiiiiiiiiiiiiii,@function
_ZL9mul_mat_fIfLi64ELi3ELi4ELb0EEvPKT_PKfPKiPfiiiiiiiiiiiiiiii: ; @_ZL9mul_mat_fIfLi64ELi3ELi4ELb0EEvPKT_PKfPKiPfiiiiiiiiiiiiiiii
; %bb.0:
	s_load_dword s5, s[0:1], 0x20
	s_load_dwordx4 s[16:19], s[0:1], 0x2c
	v_bfe_u32 v79, v0, 10, 10
	v_lshlrev_b32_e32 v80, 6, v79
	v_and_b32_e32 v78, 0x3ff, v0
	v_add_u32_e32 v82, v80, v78
	s_waitcnt lgkmcnt(0)
	s_ashr_i32 s19, s4, 31
	v_cmp_le_i32_e32 vcc, s5, v82
	v_and_b32_e32 v81, 15, v78
	s_and_saveexec_b64 s[6:7], vcc
	s_xor_b64 s[6:7], exec, s[6:7]
; %bb.1:
	v_and_b32_e32 v81, 15, v78
                                        ; implicit-def: $vgpr82
; %bb.2:
	s_or_saveexec_b64 s[24:25], s[6:7]
	s_load_dwordx8 s[8:15], s[0:1], 0x40
	s_load_dwordx2 s[6:7], s[0:1], 0x18
	s_lshl_b32 s2, s2, 6
	v_mov_b32_e32 v1, 0
	v_accvgpr_write_b32 a0, 0
	v_accvgpr_write_b32 a1, 0
	;; [unrolled: 1-line block ×16, first 2 shown]
	v_lshlrev_b32_e32 v0, 2, v78
	s_xor_b64 exec, exec, s[24:25]
	s_cbranch_execz .LBB86_6
; %bb.3:
	s_waitcnt lgkmcnt(0)
	s_abs_i32 s26, s8
	v_cvt_f32_u32_e32 v2, s26
	s_abs_i32 s27, s12
	v_cvt_f32_u32_e32 v3, s27
	s_sub_i32 s20, 0, s26
	v_rcp_iflag_f32_e32 v2, v2
	s_abs_i32 s28, s3
	v_rcp_iflag_f32_e32 v3, v3
	s_sub_i32 s21, 0, s27
	v_mul_f32_e32 v2, 0x4f7ffffe, v2
	v_cvt_u32_f32_e32 v2, v2
	v_mul_f32_e32 v3, 0x4f7ffffe, v3
	v_cvt_u32_f32_e32 v3, v3
	s_abs_i32 s29, s4
	v_mul_lo_u32 v4, s20, v2
	v_mul_hi_u32 v4, v2, v4
	v_add_u32_e32 v2, v2, v4
	v_mul_hi_u32 v2, s28, v2
	v_mul_lo_u32 v5, s21, v3
	v_mul_lo_u32 v4, v2, s26
	v_mul_hi_u32 v5, v3, v5
	v_sub_u32_e32 v4, s28, v4
	v_add_u32_e32 v3, v3, v5
	v_add_u32_e32 v5, 1, v2
	v_subrev_u32_e32 v6, s26, v4
	v_cmp_le_u32_e32 vcc, s26, v4
	s_load_dwordx4 s[20:23], s[0:1], 0x0
	s_ashr_i32 s0, s3, 31
	v_cndmask_b32_e32 v2, v2, v5, vcc
	v_cndmask_b32_e32 v4, v4, v6, vcc
	s_ashr_i32 s1, s8, 31
	v_add_u32_e32 v5, 1, v2
	v_cmp_le_u32_e32 vcc, s26, v4
	s_xor_b32 s0, s0, s1
	v_mul_hi_u32 v3, s29, v3
	v_cndmask_b32_e32 v2, v2, v5, vcc
	v_xor_b32_e32 v2, s0, v2
	v_subrev_u32_e32 v4, s0, v2
	v_mul_lo_u32 v2, v3, s27
	v_sub_u32_e32 v2, s29, v2
	v_add_u32_e32 v5, 1, v3
	v_subrev_u32_e32 v6, s27, v2
	v_cmp_le_u32_e32 vcc, s27, v2
	s_ashr_i32 s8, s12, 31
	s_xor_b32 s0, s19, s8
	v_cndmask_b32_e32 v3, v3, v5, vcc
	v_cndmask_b32_e32 v2, v2, v6, vcc
	v_add_u32_e32 v5, 1, v3
	v_cmp_le_u32_e32 vcc, s27, v2
	v_mul_lo_u32 v4, v4, s9
	s_mul_hi_i32 s9, s14, s4
	v_cndmask_b32_e32 v2, v3, v5, vcc
	s_mul_i32 s8, s14, s4
	v_xor_b32_e32 v2, s0, v2
	s_lshl_b64 s[8:9], s[8:9], 2
	v_subrev_u32_e32 v2, s0, v2
	s_mul_i32 s0, s16, s2
	s_mul_i32 s26, s10, s3
	s_waitcnt lgkmcnt(0)
	s_add_u32 s10, s22, s8
	s_addc_u32 s14, s23, s9
	s_ashr_i32 s1, s0, 31
	s_ashr_i32 s27, s26, 31
	v_mul_hi_i32 v3, v2, s13
	v_mul_lo_u32 v2, v2, s13
	s_lshl_b64 s[12:13], s[0:1], 2
	s_lshl_b64 s[26:27], s[26:27], 2
	s_add_u32 s0, s10, s26
	s_addc_u32 s1, s14, s27
	s_movk_i32 s10, 0x1080
	s_ashr_i32 s69, s16, 31
	s_mov_b32 s68, s16
	s_ashr_i32 s71, s17, 31
	s_mov_b32 s70, s17
	v_ashrrev_i32_e32 v5, 31, v4
	v_lshlrev_b64 v[8:9], 2, v[2:3]
	v_mad_u32_u24 v6, v79, s10, 0
	s_add_i32 s10, s16, s16
	s_add_i32 s14, s17, s17
	s_lshl_b32 s19, s16, 2
	s_lshl_b32 s31, s16, 3
	;; [unrolled: 1-line block ×4, first 2 shown]
	s_lshl_b64 s[72:73], s[68:69], 2
	s_lshl_b64 s[74:75], s[70:71], 2
	v_lshl_add_u64 v[2:3], s[20:21], 0, v[8:9]
	v_lshlrev_b64 v[4:5], 2, v[4:5]
	v_lshrrev_b32_e32 v10, 1, v78
	s_add_u32 s76, s22, s26
	v_lshl_add_u64 v[2:3], v[2:3], 0, v[4:5]
	v_mul_u32_u24_e32 v7, 0x108, v81
	v_and_b32_e32 v10, 0x1f8, v10
	s_addc_u32 s77, s23, s27
	v_lshl_add_u64 v[4:5], s[20:21], 0, v[4:5]
	v_lshlrev_b32_e32 v14, 8, v79
	v_mov_b32_e32 v15, v1
	v_add_u32_e32 v83, v6, v0
	v_add3_u32 v84, v6, v7, v10
	v_lshl_add_u64 v[10:11], v[4:5], 0, s[12:13]
	v_lshl_add_u64 v[6:7], s[8:9], 0, v[14:15]
	s_add_u32 s8, s76, s74
	v_lshl_add_u64 v[12:13], v[10:11], 0, s[72:73]
	s_addc_u32 s9, s77, s75
	v_lshl_add_u64 v[14:15], v[8:9], 0, v[14:15]
	v_lshl_add_u64 v[2:3], v[2:3], 0, s[12:13]
	s_mul_i32 s17, s16, 3
	s_mul_i32 s28, s16, 5
	;; [unrolled: 1-line block ×49, first 2 shown]
	v_lshl_add_u64 v[4:5], s[8:9], 0, v[6:7]
	s_mul_i32 s74, s16, 56
	s_mul_i32 s75, s16, 57
	v_lshl_add_u64 v[6:7], s[76:77], 0, v[6:7]
	s_mul_i32 s76, s16, 58
	s_mul_i32 s77, s16, 59
	v_accvgpr_write_b32 a15, 0
	v_accvgpr_write_b32 a14, 0
	;; [unrolled: 1-line block ×16, first 2 shown]
	v_lshl_add_u64 v[8:9], v[12:13], 0, v[14:15]
	v_lshl_add_u64 v[10:11], v[10:11], 0, v[14:15]
	s_mul_i32 s78, s16, 60
	s_mul_i32 s79, s16, 61
	;; [unrolled: 1-line block ×4, first 2 shown]
	s_mov_b64 s[8:9], 0
	s_mov_b64 s[12:13], 0x400
.LBB86_4:                               ; =>This Inner Loop Header: Depth=1
	v_add_u32_e32 v46, s10, v82
	v_add_u32_e32 v50, s17, v82
	;; [unrolled: 1-line block ×9, first 2 shown]
	v_lshl_add_u64 v[52:53], v[10:11], 0, v[0:1]
	v_add_u32_e32 v48, s28, v82
	v_add_u32_e32 v44, s30, v82
	;; [unrolled: 1-line block ×9, first 2 shown]
	v_lshl_add_u64 v[90:91], v[6:7], 0, v[0:1]
	v_ashrrev_i32_e32 v47, 31, v46
	v_ashrrev_i32_e32 v51, 31, v50
	;; [unrolled: 1-line block ×9, first 2 shown]
	v_lshl_add_u64 v[54:55], v[8:9], 0, v[0:1]
	v_add_u32_e32 v12, s44, v82
	v_add_u32_e32 v22, s45, v82
	v_lshl_add_u64 v[92:93], v[4:5], 0, v[0:1]
	global_load_dword v87, v[52:53], off
	global_load_dword v88, v[54:55], off
	;; [unrolled: 1-line block ×4, first 2 shown]
	v_lshl_add_u64 v[46:47], v[46:47], 2, v[2:3]
	v_lshl_add_u64 v[90:91], v[50:51], 2, v[2:3]
	v_ashrrev_i32_e32 v49, 31, v48
	v_lshl_add_u64 v[42:43], v[42:43], 2, v[2:3]
	v_ashrrev_i32_e32 v45, 31, v44
	v_lshl_add_u64 v[38:39], v[38:39], 2, v[2:3]
	v_ashrrev_i32_e32 v41, 31, v40
	v_lshl_add_u64 v[34:35], v[34:35], 2, v[2:3]
	v_ashrrev_i32_e32 v37, 31, v36
	v_lshl_add_u64 v[30:31], v[30:31], 2, v[2:3]
	v_ashrrev_i32_e32 v33, 31, v32
	v_lshl_add_u64 v[20:21], v[20:21], 2, v[2:3]
	v_lshl_add_u64 v[14:15], v[14:15], 2, v[2:3]
	v_lshl_add_u64 v[24:25], v[24:25], 2, v[2:3]
	v_ashrrev_i32_e32 v19, 31, v18
	v_ashrrev_i32_e32 v29, 31, v28
	;; [unrolled: 1-line block ×4, first 2 shown]
	v_add_u32_e32 v68, s46, v82
	v_add_u32_e32 v76, s47, v82
	global_load_dword v50, v[46:47], off
	global_load_dword v51, v[90:91], off
	v_lshl_add_u64 v[90:91], v[48:49], 2, v[2:3]
	global_load_dword v48, v[42:43], off
	global_load_dword v49, v[90:91], off
	v_lshl_add_u64 v[44:45], v[44:45], 2, v[2:3]
	global_load_dword v38, v[38:39], off
	s_nop 0
	global_load_dword v39, v[44:45], off
	v_lshl_add_u64 v[40:41], v[40:41], 2, v[2:3]
	global_load_dword v34, v[34:35], off
	s_nop 0
	;; [unrolled: 4-line block ×4, first 2 shown]
	global_load_dword v21, v[32:33], off
	s_nop 0
	global_load_dword v14, v[14:15], off
	s_nop 0
	global_load_dword v15, v[24:25], off
	v_lshl_add_u64 v[18:19], v[18:19], 2, v[2:3]
	v_lshl_add_u64 v[24:25], v[28:29], 2, v[2:3]
	;; [unrolled: 1-line block ×4, first 2 shown]
	v_ashrrev_i32_e32 v13, 31, v12
	v_ashrrev_i32_e32 v23, 31, v22
	v_add_u32_e32 v64, s48, v82
	v_add_u32_e32 v74, s49, v82
	global_load_dword v18, v[18:19], off
	s_nop 0
	global_load_dword v19, v[24:25], off
	s_nop 0
	global_load_dword v24, v[16:17], off
	global_load_dword v25, v[26:27], off
	v_lshl_add_u64 v[12:13], v[12:13], 2, v[2:3]
	v_lshl_add_u64 v[26:27], v[22:23], 2, v[2:3]
	v_ashrrev_i32_e32 v69, 31, v68
	v_ashrrev_i32_e32 v77, 31, v76
	v_add_u32_e32 v62, s50, v82
	v_add_u32_e32 v72, s51, v82
	global_load_dword v22, v[12:13], off
	global_load_dword v23, v[26:27], off
	v_lshl_add_u64 v[26:27], v[68:69], 2, v[2:3]
	v_lshl_add_u64 v[28:29], v[76:77], 2, v[2:3]
	v_ashrrev_i32_e32 v65, 31, v64
	v_ashrrev_i32_e32 v75, 31, v74
	v_add_u32_e32 v60, s52, v82
	v_add_u32_e32 v70, s53, v82
	global_load_dword v26, v[26:27], off
	s_nop 0
	global_load_dword v27, v[28:29], off
	v_lshl_add_u64 v[28:29], v[64:65], 2, v[2:3]
	v_lshl_add_u64 v[32:33], v[74:75], 2, v[2:3]
	v_ashrrev_i32_e32 v63, 31, v62
	v_ashrrev_i32_e32 v73, 31, v72
	v_add_u32_e32 v58, s54, v82
	v_add_u32_e32 v66, s55, v82
	global_load_dword v28, v[28:29], off
	s_nop 0
	global_load_dword v29, v[32:33], off
	v_lshl_add_u64 v[32:33], v[62:63], 2, v[2:3]
	v_lshl_add_u64 v[36:37], v[72:73], 2, v[2:3]
	v_ashrrev_i32_e32 v61, 31, v60
	v_ashrrev_i32_e32 v71, 31, v70
	v_add_u32_e32 v56, s56, v82
	v_add_u32_e32 v54, s57, v82
	;; [unrolled: 1-line block ×3, first 2 shown]
	global_load_dword v32, v[32:33], off
	s_nop 0
	global_load_dword v33, v[36:37], off
	v_lshl_add_u64 v[36:37], v[60:61], 2, v[2:3]
	v_lshl_add_u64 v[40:41], v[70:71], 2, v[2:3]
	v_ashrrev_i32_e32 v59, 31, v58
	v_ashrrev_i32_e32 v67, 31, v66
	v_add_u32_e32 v46, s59, v82
	v_add_u32_e32 v42, s60, v82
	;; [unrolled: 1-line block ×3, first 2 shown]
	global_load_dword v36, v[36:37], off
	s_nop 0
	global_load_dword v37, v[40:41], off
	v_lshl_add_u64 v[40:41], v[58:59], 2, v[2:3]
	v_lshl_add_u64 v[44:45], v[66:67], 2, v[2:3]
	v_ashrrev_i32_e32 v57, 31, v56
	v_ashrrev_i32_e32 v55, 31, v54
	;; [unrolled: 1-line block ×3, first 2 shown]
	v_add_u32_e32 v92, s62, v82
	v_add_u32_e32 v94, s63, v82
	global_load_dword v40, v[40:41], off
	s_nop 0
	global_load_dword v41, v[44:45], off
	v_lshl_add_u64 v[44:45], v[56:57], 2, v[2:3]
	v_lshl_add_u64 v[54:55], v[54:55], 2, v[2:3]
	v_ashrrev_i32_e32 v47, 31, v46
	v_lshl_add_u64 v[52:53], v[52:53], 2, v[2:3]
	v_ashrrev_i32_e32 v43, 31, v42
	v_ashrrev_i32_e32 v91, 31, v90
	v_add_u32_e32 v96, s64, v82
	v_add_u32_e32 v98, s65, v82
	global_load_dword v44, v[44:45], off
	s_nop 0
	global_load_dword v45, v[54:55], off
	v_lshl_add_u64 v[54:55], v[46:47], 2, v[2:3]
	global_load_dword v46, v[52:53], off
	global_load_dword v47, v[54:55], off
	v_lshl_add_u64 v[42:43], v[42:43], 2, v[2:3]
	v_lshl_add_u64 v[52:53], v[90:91], 2, v[2:3]
	v_ashrrev_i32_e32 v93, 31, v92
	v_ashrrev_i32_e32 v95, 31, v94
	v_add_u32_e32 v100, s66, v82
	v_add_u32_e32 v16, s67, v82
	;; [unrolled: 1-line block ×6, first 2 shown]
	global_load_dword v42, v[42:43], off
	s_nop 0
	global_load_dword v43, v[52:53], off
	v_lshl_add_u64 v[52:53], v[92:93], 2, v[2:3]
	v_lshl_add_u64 v[54:55], v[94:95], 2, v[2:3]
	v_ashrrev_i32_e32 v97, 31, v96
	v_ashrrev_i32_e32 v99, 31, v98
	v_add_u32_e32 v62, s21, v82
	v_add_u32_e32 v58, s27, v82
	;; [unrolled: 1-line block ×4, first 2 shown]
	global_load_dword v52, v[52:53], off
	s_nop 0
	global_load_dword v53, v[54:55], off
	v_lshl_add_u64 v[54:55], v[96:97], 2, v[2:3]
	v_lshl_add_u64 v[56:57], v[98:99], 2, v[2:3]
	v_ashrrev_i32_e32 v101, 31, v100
	v_ashrrev_i32_e32 v17, 31, v16
	;; [unrolled: 1-line block ×6, first 2 shown]
	v_add_u32_e32 v72, s70, v82
	v_add_u32_e32 v74, s71, v82
	global_load_dword v54, v[54:55], off
	s_nop 0
	global_load_dword v55, v[56:57], off
	v_lshl_add_u64 v[56:57], v[100:101], 2, v[2:3]
	v_lshl_add_u64 v[16:17], v[16:17], 2, v[2:3]
	;; [unrolled: 1-line block ×4, first 2 shown]
	v_ashrrev_i32_e32 v63, 31, v62
	v_lshl_add_u64 v[64:65], v[64:65], 2, v[2:3]
	v_ashrrev_i32_e32 v59, 31, v58
	v_lshl_add_u64 v[60:61], v[60:61], 2, v[2:3]
	v_ashrrev_i32_e32 v67, 31, v66
	v_ashrrev_i32_e32 v71, 31, v70
	v_add_u32_e32 v76, s72, v82
	global_load_dword v56, v[56:57], off
	s_nop 0
	global_load_dword v57, v[16:17], off
	v_add_u32_e32 v16, s73, v82
	global_load_dword v89, v[12:13], off
	s_nop 0
	global_load_dword v68, v[68:69], off
	v_lshl_add_u64 v[62:63], v[62:63], 2, v[2:3]
	global_load_dword v69, v[64:65], off
	global_load_dword v90, v[62:63], off
	v_lshl_add_u64 v[58:59], v[58:59], 2, v[2:3]
	global_load_dword v91, v[60:61], off
	global_load_dword v92, v[58:59], off
	v_lshl_add_u64 v[60:61], v[66:67], 2, v[2:3]
	v_lshl_add_u64 v[64:65], v[70:71], 2, v[2:3]
	v_ashrrev_i32_e32 v73, 31, v72
	v_ashrrev_i32_e32 v75, 31, v74
	global_load_dword v70, v[60:61], off
	global_load_dword v71, v[64:65], off
	v_lshl_add_u64 v[64:65], v[72:73], 2, v[2:3]
	v_lshl_add_u64 v[66:67], v[74:75], 2, v[2:3]
	v_ashrrev_i32_e32 v77, 31, v76
	v_ashrrev_i32_e32 v17, 31, v16
	v_add_u32_e32 v12, s74, v82
	v_add_u32_e32 v58, s76, v82
	;; [unrolled: 1-line block ×3, first 2 shown]
	global_load_dword v72, v[64:65], off
	global_load_dword v73, v[66:67], off
	v_lshl_add_u64 v[66:67], v[76:77], 2, v[2:3]
	v_lshl_add_u64 v[16:17], v[16:17], 2, v[2:3]
	v_add_u32_e32 v62, s75, v82
	v_add_u32_e32 v64, s78, v82
	global_load_dword v66, v[66:67], off
	s_nop 0
	global_load_dword v67, v[16:17], off
	v_add_u32_e32 v16, s79, v82
	v_ashrrev_i32_e32 v13, 31, v12
	v_ashrrev_i32_e32 v59, 31, v58
	;; [unrolled: 1-line block ×4, first 2 shown]
	v_lshl_add_u64 v[12:13], v[12:13], 2, v[2:3]
	v_lshl_add_u64 v[58:59], v[58:59], 2, v[2:3]
	;; [unrolled: 1-line block ×3, first 2 shown]
	v_ashrrev_i32_e32 v65, 31, v64
	v_ashrrev_i32_e32 v17, 31, v16
	v_lshl_add_u64 v[62:63], v[62:63], 2, v[2:3]
	global_load_dword v74, v[12:13], off
	global_load_dword v75, v[62:63], off
	v_add_u32_e32 v12, s80, v82
	global_load_dword v76, v[58:59], off
	global_load_dword v77, v[60:61], off
	v_lshl_add_u64 v[60:61], v[64:65], 2, v[2:3]
	v_lshl_add_u64 v[16:17], v[16:17], 2, v[2:3]
	v_add_u32_e32 v58, s16, v82
	global_load_dword v93, v[60:61], off
	global_load_dword v94, v[16:17], off
	v_add_u32_e32 v16, s14, v82
	v_ashrrev_i32_e32 v13, 31, v12
	v_ashrrev_i32_e32 v59, 31, v58
	;; [unrolled: 1-line block ×3, first 2 shown]
	v_lshl_add_u64 v[12:13], v[12:13], 2, v[2:3]
	v_lshl_add_u64 v[58:59], v[58:59], 2, v[2:3]
	v_lshl_add_u64 v[16:17], v[16:17], 2, s[0:1]
	global_load_dword v95, v[12:13], off
	global_load_dword v96, v[58:59], off
	global_load_dword v97, v[16:17], off
	s_waitcnt vmcnt(62)
	ds_write_b32 v83, v87
	ds_write_b32 v83, v88 offset:264
	ds_write_b32 v83, v50 offset:528
	s_waitcnt vmcnt(61)
	ds_write_b32 v83, v51 offset:792
	s_waitcnt vmcnt(60)
	ds_write_b32 v83, v48 offset:1056
	s_waitcnt vmcnt(59)
	ds_write_b32 v83, v49 offset:1320
	s_waitcnt vmcnt(58)
	ds_write_b32 v83, v38 offset:1584
	s_waitcnt vmcnt(57)
	ds_write_b32 v83, v39 offset:1848
	s_waitcnt vmcnt(56)
	ds_write_b32 v83, v34 offset:2112
	s_waitcnt vmcnt(55)
	ds_write_b32 v83, v35 offset:2376
	s_waitcnt vmcnt(54)
	ds_write_b32 v83, v30 offset:2640
	s_waitcnt vmcnt(53)
	ds_write_b32 v83, v31 offset:2904
	s_waitcnt vmcnt(52)
	ds_write_b32 v83, v20 offset:3168
	s_waitcnt vmcnt(51)
	ds_write_b32 v83, v21 offset:3432
	s_waitcnt vmcnt(50)
	ds_write_b32 v83, v14 offset:3696
	s_waitcnt vmcnt(49)
	ds_write_b32 v83, v15 offset:3960
	ds_read_b64 v[38:39], v84
	ds_read_b64 v[48:49], v84 offset:32
	ds_read_b64 v[50:51], v84 offset:64
	ds_read_b64 v[34:35], v84 offset:96
	ds_read_b64 v[30:31], v84 offset:128
	ds_read_b64 v[20:21], v84 offset:160
	ds_read_b64 v[16:17], v84 offset:192
	ds_read_b64 v[12:13], v84 offset:224
	s_waitcnt vmcnt(48)
	ds_write_b32 v83, v18
	s_waitcnt vmcnt(47)
	ds_write_b32 v83, v19 offset:264
	s_waitcnt vmcnt(46)
	ds_write_b32 v83, v24 offset:528
	s_waitcnt vmcnt(45)
	ds_write_b32 v83, v25 offset:792
	s_waitcnt vmcnt(44)
	ds_write_b32 v83, v22 offset:1056
	s_waitcnt vmcnt(43)
	ds_write_b32 v83, v23 offset:1320
	s_waitcnt vmcnt(42)
	ds_write_b32 v83, v26 offset:1584
	s_waitcnt vmcnt(41)
	ds_write_b32 v83, v27 offset:1848
	s_waitcnt vmcnt(40)
	ds_write_b32 v83, v28 offset:2112
	s_waitcnt vmcnt(39)
	ds_write_b32 v83, v29 offset:2376
	s_waitcnt vmcnt(38)
	ds_write_b32 v83, v32 offset:2640
	s_waitcnt vmcnt(37)
	ds_write_b32 v83, v33 offset:2904
	s_waitcnt vmcnt(36)
	ds_write_b32 v83, v36 offset:3168
	s_waitcnt vmcnt(35)
	ds_write_b32 v83, v37 offset:3432
	s_waitcnt vmcnt(34)
	ds_write_b32 v83, v40 offset:3696
	s_waitcnt vmcnt(33)
	ds_write_b32 v83, v41 offset:3960
	ds_read_b64 v[40:41], v84
	ds_read_b64 v[58:59], v84 offset:32
	ds_read_b64 v[60:61], v84 offset:64
	ds_read_b64 v[62:63], v84 offset:96
	ds_read_b64 v[64:65], v84 offset:128
	ds_read_b64 v[26:27], v84 offset:160
	ds_read_b64 v[22:23], v84 offset:192
	ds_read_b64 v[14:15], v84 offset:224
	s_waitcnt vmcnt(32)
	ds_write_b32 v83, v44
	s_waitcnt vmcnt(31)
	ds_write_b32 v83, v45 offset:264
	s_waitcnt vmcnt(30)
	;; [unrolled: 40-line block ×3, first 2 shown]
	ds_write_b32 v83, v70 offset:528
	s_waitcnt vmcnt(13)
	ds_write_b32 v83, v71 offset:792
	s_waitcnt vmcnt(12)
	;; [unrolled: 2-line block ×13, first 2 shown]
	ds_write_b32 v83, v96 offset:3960
	ds_read_b64 v[56:57], v84
	ds_read_b64 v[66:67], v84 offset:32
	ds_read_b64 v[68:69], v84 offset:64
	;; [unrolled: 1-line block ×7, first 2 shown]
	ds_write_b32 v83, v85
	ds_write_b32 v83, v86 offset:264
	s_waitcnt vmcnt(0)
	ds_write_b32 v83, v97 offset:528
	ds_write_b32 v83, v1 offset:792
	ds_write_b32 v83, v1 offset:1056
	ds_write_b32 v83, v1 offset:1320
	ds_write_b32 v83, v1 offset:1584
	ds_write_b32 v83, v1 offset:1848
	ds_write_b32 v83, v1 offset:2112
	ds_write_b32 v83, v1 offset:2376
	ds_write_b32 v83, v1 offset:2640
	ds_write_b32 v83, v1 offset:2904
	ds_write_b32 v83, v1 offset:3168
	ds_write_b32 v83, v1 offset:3432
	ds_write_b32 v83, v1 offset:3696
	ds_write_b32 v83, v1 offset:3960
	ds_read_b64 v[76:77], v84
	s_waitcnt lgkmcnt(0)
	v_mfma_f32_16x16x4_f32 a[12:15], v38, v76, a[12:15]
	v_add_u32_e32 v82, 0x100, v82
	v_cmp_le_i32_e32 vcc, s5, v82
	v_lshl_add_u64 v[8:9], v[8:9], 0, s[12:13]
	v_lshl_add_u64 v[10:11], v[10:11], 0, s[12:13]
	;; [unrolled: 1-line block ×3, first 2 shown]
	s_or_b64 s[8:9], vcc, s[8:9]
	v_lshl_add_u64 v[6:7], v[6:7], 0, s[12:13]
	v_mfma_f32_16x16x4_f32 a[8:11], v40, v76, a[8:11]
	v_mfma_f32_16x16x4_f32 a[4:7], v42, v76, a[4:7]
	;; [unrolled: 1-line block ×4, first 2 shown]
	ds_read_b64 v[38:39], v84 offset:32
	v_mfma_f32_16x16x4_f32 a[8:11], v41, v77, a[8:11]
	v_mfma_f32_16x16x4_f32 a[4:7], v43, v77, a[4:7]
	;; [unrolled: 1-line block ×3, first 2 shown]
	s_waitcnt lgkmcnt(0)
	v_mfma_f32_16x16x4_f32 a[12:15], v48, v38, a[12:15]
	v_mfma_f32_16x16x4_f32 a[8:11], v58, v38, a[8:11]
	;; [unrolled: 1-line block ×8, first 2 shown]
	ds_read_b64 v[38:39], v84 offset:64
	s_waitcnt lgkmcnt(0)
	v_mfma_f32_16x16x4_f32 a[12:15], v50, v38, a[12:15]
	v_mfma_f32_16x16x4_f32 a[8:11], v60, v38, a[8:11]
	v_mfma_f32_16x16x4_f32 a[4:7], v46, v38, a[4:7]
	v_mfma_f32_16x16x4_f32 a[0:3], v68, v38, a[0:3]
	v_mfma_f32_16x16x4_f32 a[12:15], v51, v39, a[12:15]
	v_mfma_f32_16x16x4_f32 a[8:11], v61, v39, a[8:11]
	v_mfma_f32_16x16x4_f32 a[4:7], v47, v39, a[4:7]
	v_mfma_f32_16x16x4_f32 a[0:3], v69, v39, a[0:3]
	ds_read_b64 v[38:39], v84 offset:96
	s_waitcnt lgkmcnt(0)
	v_mfma_f32_16x16x4_f32 a[12:15], v34, v38, a[12:15]
	v_mfma_f32_16x16x4_f32 a[8:11], v62, v38, a[8:11]
	v_mfma_f32_16x16x4_f32 a[4:7], v52, v38, a[4:7]
	v_mfma_f32_16x16x4_f32 a[0:3], v70, v38, a[0:3]
	v_mfma_f32_16x16x4_f32 a[12:15], v35, v39, a[12:15]
	ds_read_b64 v[34:35], v84 offset:128
	v_mfma_f32_16x16x4_f32 a[8:11], v63, v39, a[8:11]
	v_mfma_f32_16x16x4_f32 a[4:7], v53, v39, a[4:7]
	v_mfma_f32_16x16x4_f32 a[0:3], v71, v39, a[0:3]
	s_waitcnt lgkmcnt(0)
	v_mfma_f32_16x16x4_f32 a[12:15], v30, v34, a[12:15]
	v_mfma_f32_16x16x4_f32 a[8:11], v64, v34, a[8:11]
	v_mfma_f32_16x16x4_f32 a[4:7], v54, v34, a[4:7]
	v_mfma_f32_16x16x4_f32 a[0:3], v72, v34, a[0:3]
	v_mfma_f32_16x16x4_f32 a[12:15], v31, v35, a[12:15]
	ds_read_b64 v[30:31], v84 offset:160
	v_mfma_f32_16x16x4_f32 a[8:11], v65, v35, a[8:11]
	v_mfma_f32_16x16x4_f32 a[4:7], v55, v35, a[4:7]
	v_mfma_f32_16x16x4_f32 a[0:3], v73, v35, a[0:3]
	;; [unrolled: 10-line block ×4, first 2 shown]
	s_waitcnt lgkmcnt(0)
	v_mfma_f32_16x16x4_f32 a[12:15], v12, v16, a[12:15]
	v_mfma_f32_16x16x4_f32 a[8:11], v14, v16, a[8:11]
	;; [unrolled: 1-line block ×8, first 2 shown]
	s_andn2_b64 exec, exec, s[8:9]
	s_cbranch_execnz .LBB86_4
; %bb.5:
	s_or_b64 exec, exec, s[8:9]
.LBB86_6:
	s_or_b64 exec, exec, s[24:25]
	v_lshl_add_u32 v1, v80, 2, 0
	v_mul_u32_u24_e32 v2, 0x408, v81
	v_and_b32_e32 v3, 0x3f0, v78
	v_add3_u32 v1, v1, v2, v3
	v_accvgpr_read_b32 v2, a13
	v_accvgpr_read_b32 v3, a12
	s_waitcnt lgkmcnt(0)
	s_barrier
	ds_write2_b32 v1, v3, v2 offset1:1
	v_accvgpr_read_b32 v2, a15
	v_accvgpr_read_b32 v3, a14
	ds_write2_b32 v1, v3, v2 offset0:2 offset1:3
	v_accvgpr_read_b32 v2, a9
	v_accvgpr_read_b32 v3, a8
	ds_write2_b32 v1, v3, v2 offset0:16 offset1:17
	;; [unrolled: 3-line block ×6, first 2 shown]
	v_accvgpr_read_b32 v2, a3
	v_accvgpr_read_b32 v3, a2
	v_cmp_gt_u32_e32 vcc, 3, v79
	ds_write2_b32 v1, v3, v2 offset0:50 offset1:51
	s_waitcnt lgkmcnt(0)
	s_barrier
	s_and_saveexec_b64 s[0:1], vcc
	s_cbranch_execz .LBB86_8
; %bb.7:
	v_mul_u32_u24_e32 v1, 0x408, v79
	v_add3_u32 v2, 0, v0, v1
	ds_read2st64_b32 v[0:1], v2 offset1:1
	s_mul_hi_i32 s1, s15, s4
	s_mul_i32 s0, s15, s4
	s_lshl_b64 s[0:1], s[0:1], 2
	ds_read2st64_b32 v[2:3], v2 offset0:2 offset1:3
	s_mul_i32 s4, s11, s3
	s_add_u32 s3, s6, s0
	s_addc_u32 s6, s7, s1
	s_ashr_i32 s5, s4, 31
	s_lshl_b64 s[0:1], s[4:5], 2
	s_waitcnt lgkmcnt(1)
	v_add_f32_e32 v0, 0, v0
	s_add_u32 s0, s3, s0
	v_mul_lo_u32 v4, s18, v79
	v_add_f32_e32 v0, v0, v1
	s_addc_u32 s1, s6, s1
	v_add3_u32 v4, s2, v78, v4
	v_mov_b32_e32 v5, 0
	s_waitcnt lgkmcnt(0)
	v_add_f32_e32 v0, v0, v2
	v_add_f32_e32 v2, v0, v3
	v_lshl_add_u64 v[0:1], v[4:5], 2, s[0:1]
	global_store_dword v[0:1], v2, off
.LBB86_8:
	s_endpgm
	.section	.rodata,"a",@progbits
	.p2align	6, 0x0
	.amdhsa_kernel _ZL9mul_mat_fIfLi64ELi3ELi4ELb0EEvPKT_PKfPKiPfiiiiiiiiiiiiiiii
		.amdhsa_group_segment_fixed_size 0
		.amdhsa_private_segment_fixed_size 0
		.amdhsa_kernarg_size 96
		.amdhsa_user_sgpr_count 2
		.amdhsa_user_sgpr_dispatch_ptr 0
		.amdhsa_user_sgpr_queue_ptr 0
		.amdhsa_user_sgpr_kernarg_segment_ptr 1
		.amdhsa_user_sgpr_dispatch_id 0
		.amdhsa_user_sgpr_kernarg_preload_length 0
		.amdhsa_user_sgpr_kernarg_preload_offset 0
		.amdhsa_user_sgpr_private_segment_size 0
		.amdhsa_uses_dynamic_stack 0
		.amdhsa_enable_private_segment 0
		.amdhsa_system_sgpr_workgroup_id_x 1
		.amdhsa_system_sgpr_workgroup_id_y 1
		.amdhsa_system_sgpr_workgroup_id_z 1
		.amdhsa_system_sgpr_workgroup_info 0
		.amdhsa_system_vgpr_workitem_id 1
		.amdhsa_next_free_vgpr 120
		.amdhsa_next_free_sgpr 81
		.amdhsa_accum_offset 104
		.amdhsa_reserve_vcc 1
		.amdhsa_float_round_mode_32 0
		.amdhsa_float_round_mode_16_64 0
		.amdhsa_float_denorm_mode_32 3
		.amdhsa_float_denorm_mode_16_64 3
		.amdhsa_dx10_clamp 1
		.amdhsa_ieee_mode 1
		.amdhsa_fp16_overflow 0
		.amdhsa_tg_split 0
		.amdhsa_exception_fp_ieee_invalid_op 0
		.amdhsa_exception_fp_denorm_src 0
		.amdhsa_exception_fp_ieee_div_zero 0
		.amdhsa_exception_fp_ieee_overflow 0
		.amdhsa_exception_fp_ieee_underflow 0
		.amdhsa_exception_fp_ieee_inexact 0
		.amdhsa_exception_int_div_zero 0
	.end_amdhsa_kernel
	.section	.text._ZL9mul_mat_fIfLi64ELi3ELi4ELb0EEvPKT_PKfPKiPfiiiiiiiiiiiiiiii,"axG",@progbits,_ZL9mul_mat_fIfLi64ELi3ELi4ELb0EEvPKT_PKfPKiPfiiiiiiiiiiiiiiii,comdat
.Lfunc_end86:
	.size	_ZL9mul_mat_fIfLi64ELi3ELi4ELb0EEvPKT_PKfPKiPfiiiiiiiiiiiiiiii, .Lfunc_end86-_ZL9mul_mat_fIfLi64ELi3ELi4ELb0EEvPKT_PKfPKiPfiiiiiiiiiiiiiiii
                                        ; -- End function
	.set _ZL9mul_mat_fIfLi64ELi3ELi4ELb0EEvPKT_PKfPKiPfiiiiiiiiiiiiiiii.num_vgpr, 102
	.set _ZL9mul_mat_fIfLi64ELi3ELi4ELb0EEvPKT_PKfPKiPfiiiiiiiiiiiiiiii.num_agpr, 16
	.set _ZL9mul_mat_fIfLi64ELi3ELi4ELb0EEvPKT_PKfPKiPfiiiiiiiiiiiiiiii.numbered_sgpr, 81
	.set _ZL9mul_mat_fIfLi64ELi3ELi4ELb0EEvPKT_PKfPKiPfiiiiiiiiiiiiiiii.num_named_barrier, 0
	.set _ZL9mul_mat_fIfLi64ELi3ELi4ELb0EEvPKT_PKfPKiPfiiiiiiiiiiiiiiii.private_seg_size, 0
	.set _ZL9mul_mat_fIfLi64ELi3ELi4ELb0EEvPKT_PKfPKiPfiiiiiiiiiiiiiiii.uses_vcc, 1
	.set _ZL9mul_mat_fIfLi64ELi3ELi4ELb0EEvPKT_PKfPKiPfiiiiiiiiiiiiiiii.uses_flat_scratch, 0
	.set _ZL9mul_mat_fIfLi64ELi3ELi4ELb0EEvPKT_PKfPKiPfiiiiiiiiiiiiiiii.has_dyn_sized_stack, 0
	.set _ZL9mul_mat_fIfLi64ELi3ELi4ELb0EEvPKT_PKfPKiPfiiiiiiiiiiiiiiii.has_recursion, 0
	.set _ZL9mul_mat_fIfLi64ELi3ELi4ELb0EEvPKT_PKfPKiPfiiiiiiiiiiiiiiii.has_indirect_call, 0
	.section	.AMDGPU.csdata,"",@progbits
; Kernel info:
; codeLenInByte = 5036
; TotalNumSgprs: 87
; NumVgprs: 102
; NumAgprs: 16
; TotalNumVgprs: 120
; ScratchSize: 0
; MemoryBound: 0
; FloatMode: 240
; IeeeMode: 1
; LDSByteSize: 0 bytes/workgroup (compile time only)
; SGPRBlocks: 10
; VGPRBlocks: 14
; NumSGPRsForWavesPerEU: 87
; NumVGPRsForWavesPerEU: 120
; AccumOffset: 104
; Occupancy: 4
; WaveLimiterHint : 0
; COMPUTE_PGM_RSRC2:SCRATCH_EN: 0
; COMPUTE_PGM_RSRC2:USER_SGPR: 2
; COMPUTE_PGM_RSRC2:TRAP_HANDLER: 0
; COMPUTE_PGM_RSRC2:TGID_X_EN: 1
; COMPUTE_PGM_RSRC2:TGID_Y_EN: 1
; COMPUTE_PGM_RSRC2:TGID_Z_EN: 1
; COMPUTE_PGM_RSRC2:TIDIG_COMP_CNT: 1
; COMPUTE_PGM_RSRC3_GFX90A:ACCUM_OFFSET: 25
; COMPUTE_PGM_RSRC3_GFX90A:TG_SPLIT: 0
	.section	.text._ZL13mul_mat_f_idsIfLi64ELi3ELi5EEvPKT_PKfPKiS6_S6_Pfiiiiiiiiiiiiii15HIP_vector_typeIjLj3EES9_,"axG",@progbits,_ZL13mul_mat_f_idsIfLi64ELi3ELi5EEvPKT_PKfPKiS6_S6_Pfiiiiiiiiiiiiii15HIP_vector_typeIjLj3EES9_,comdat
	.globl	_ZL13mul_mat_f_idsIfLi64ELi3ELi5EEvPKT_PKfPKiS6_S6_Pfiiiiiiiiiiiiii15HIP_vector_typeIjLj3EES9_ ; -- Begin function _ZL13mul_mat_f_idsIfLi64ELi3ELi5EEvPKT_PKfPKiS6_S6_Pfiiiiiiiiiiiiii15HIP_vector_typeIjLj3EES9_
	.p2align	8
	.type	_ZL13mul_mat_f_idsIfLi64ELi3ELi5EEvPKT_PKfPKiS6_S6_Pfiiiiiiiiiiiiii15HIP_vector_typeIjLj3EES9_,@function
_ZL13mul_mat_f_idsIfLi64ELi3ELi5EEvPKT_PKfPKiS6_S6_Pfiiiiiiiiiiiiii15HIP_vector_typeIjLj3EES9_: ; @_ZL13mul_mat_f_idsIfLi64ELi3ELi5EEvPKT_PKfPKiS6_S6_Pfiiiiiiiiiiiiii15HIP_vector_typeIjLj3EES9_
; %bb.0:
	s_load_dwordx2 s[6:7], s[0:1], 0x20
	s_mov_b32 s34, s3
	s_ashr_i32 s35, s3, 31
	s_lshl_b64 s[8:9], s[34:35], 2
	s_waitcnt lgkmcnt(0)
	s_add_u32 s6, s6, s8
	s_addc_u32 s7, s7, s9
	s_load_dwordx2 s[26:27], s[6:7], 0x0
	s_waitcnt lgkmcnt(0)
	s_sub_i32 s33, s27, s26
	s_add_i32 s3, s33, 2
	s_mul_hi_i32 s3, s3, 0x55555556
	s_lshr_b32 s5, s3, 31
	s_add_i32 s3, s3, s5
	s_cmp_ge_i32 s4, s3
	s_cbranch_scc1 .LBB87_20
; %bb.1:
	v_bfe_u32 v85, v0, 10, 10
	v_lshlrev_b32_e32 v86, 6, v85
	v_and_b32_e32 v84, 0x3ff, v0
	s_load_dwordx4 s[12:15], s[0:1], 0x30
	s_load_dwordx2 s[20:21], s[0:1], 0x40
	s_load_dwordx4 s[8:11], s[0:1], 0x4c
	s_load_dwordx4 s[16:19], s[0:1], 0x68
	s_load_dwordx2 s[24:25], s[0:1], 0x78
	v_add_u32_e32 v88, v86, v84
	s_ashr_i32 s27, s26, 31
	s_waitcnt lgkmcnt(0)
	v_cmp_le_i32_e32 vcc, s12, v88
	v_and_b32_e32 v87, 15, v84
	s_and_saveexec_b64 s[6:7], vcc
	s_xor_b64 s[6:7], exec, s[6:7]
; %bb.2:
	v_and_b32_e32 v87, 15, v84
                                        ; implicit-def: $vgpr88
; %bb.3:
	s_or_saveexec_b64 s[30:31], s[6:7]
	s_load_dwordx2 s[28:29], s[0:1], 0x18
	s_load_dwordx2 s[6:7], s[0:1], 0x28
                                        ; implicit-def: $vgpr104 : SGPR spill to VGPR lane
	v_mov_b32_e32 v11, 0
	s_lshl_b32 s11, s2, 6
	s_mul_i32 s2, s4, 3
	v_mov_b32_e32 v10, v11
	s_waitcnt lgkmcnt(0)
	v_writelane_b32 v104, s6, 0
	v_mov_b32_e32 v9, v11
	v_mov_b32_e32 v8, v11
	;; [unrolled: 1-line block ×14, first 2 shown]
	v_writelane_b32 v104, s7, 1
	s_xor_b64 exec, exec, s[30:31]
	s_cbranch_execz .LBB87_16
; %bb.4:
	s_load_dwordx4 s[4:7], s[0:1], 0x0
	s_load_dwordx2 s[22:23], s[0:1], 0x10
	s_mul_i32 s0, s8, s34
	s_ashr_i32 s1, s0, 31
	v_writelane_b32 v104, s24, 2
	s_lshl_b64 s[44:45], s[0:1], 2
	s_waitcnt lgkmcnt(0)
	s_add_u32 s0, s4, s44
	v_writelane_b32 v104, s25, 3
	s_mul_i32 s24, s15, s11
	s_addc_u32 s1, s5, s45
	s_ashr_i32 s25, s24, 31
	s_lshl_b64 s[46:47], s[24:25], 2
	s_add_u32 s0, s0, s46
	s_addc_u32 s1, s1, s47
	s_lshl_b64 s[24:25], s[26:27], 2
	s_add_u32 s8, s22, s24
	s_addc_u32 s24, s23, s25
	s_movk_i32 s3, 0x1080
	s_cmp_lt_i32 s2, s33
	v_mad_u32_u24 v1, v85, s3, 0
	s_cselect_b64 s[34:35], -1, 0
	s_ashr_i32 s3, s2, 31
	s_lshl_b64 s[22:23], s[2:3], 2
	s_add_u32 s36, s8, s22
	s_addc_u32 s37, s24, s23
	s_add_i32 s3, s2, 1
	s_cmp_lt_i32 s3, s33
	s_cselect_b64 s[38:39], -1, 0
	s_add_i32 s3, s2, 2
	s_cmp_lt_i32 s3, s33
	s_cselect_b64 s[40:41], -1, 0
	s_ashr_i32 s23, s15, 31
	s_mov_b32 s22, s15
	s_add_i32 s3, s15, s15
	s_lshl_b32 s48, s15, 2
	s_lshl_b32 s52, s15, 3
	;; [unrolled: 1-line block ×4, first 2 shown]
	s_lshl_b64 s[42:43], s[22:23], 2
	v_lshrrev_b32_e32 v3, 1, v84
	s_add_u32 s22, s44, s46
	v_lshlrev_b32_e32 v0, 2, v84
	v_mul_u32_u24_e32 v2, 0x108, v87
	v_and_b32_e32 v3, 0x1f8, v3
	s_addc_u32 s23, s45, s47
	v_lshlrev_b32_e32 v16, 8, v85
	v_mov_b32_e32 v17, 0
	v_add_u32_e32 v89, v1, v0
	v_add3_u32 v90, v1, v2, v3
	v_lshl_add_u64 v[2:3], s[22:23], 0, v[16:17]
	v_mov_b32_e32 v1, v17
	v_lshl_add_u64 v[0:1], v[2:3], 0, v[0:1]
	s_mul_i32 s8, s15, 3
	s_mul_i32 s49, s15, 5
	;; [unrolled: 1-line block ×43, first 2 shown]
	v_lshl_add_u64 v[18:19], s[4:5], 0, v[0:1]
	v_mov_b32_e32 v12, 0
	v_mov_b32_e32 v13, v17
	;; [unrolled: 1-line block ×16, first 2 shown]
	s_mul_i32 s90, s15, 50
	s_mul_i32 s91, s15, 51
	;; [unrolled: 1-line block ×14, first 2 shown]
	s_mov_b64 s[4:5], 0
	s_branch .LBB87_6
.LBB87_5:                               ;   in Loop: Header=BB87_6 Depth=1
	s_waitcnt vmcnt(0)
	ds_write2_b32 v89, v16, v92 offset1:66
	ds_write2_b32 v89, v91, v17 offset0:132 offset1:198
	v_add_u32_e32 v16, 0x400, v89
	ds_write2_b32 v16, v17, v17 offset0:8 offset1:74
	ds_write2_b32 v16, v17, v17 offset0:140 offset1:206
	v_add_u32_e32 v16, 0x800, v89
	ds_write2_b32 v16, v17, v17 offset0:16 offset1:82
	;; [unrolled: 3-line block ×3, first 2 shown]
	ds_write2_b32 v16, v17, v17 offset0:156 offset1:222
	ds_read2_b64 v[92:95], v90 offset1:4
	v_add_u32_e32 v88, 0x140, v88
	s_waitcnt lgkmcnt(0)
	v_mfma_f32_16x16x4_f32 v[8:11], v50, v92, v[8:11]
	s_mov_b64 vcc, 0x500
	v_lshl_add_u64 v[18:19], v[18:19], 0, vcc
	v_cmp_le_i32_e32 vcc, s12, v88
	s_or_b64 s[4:5], vcc, s[4:5]
	v_mfma_f32_16x16x4_f32 v[4:7], v62, v92, v[4:7]
	v_mfma_f32_16x16x4_f32 v[0:3], v76, v92, v[0:3]
	;; [unrolled: 1-line block ×15, first 2 shown]
	ds_read2_b64 v[80:83], v90 offset0:8 offset1:12
	s_waitcnt lgkmcnt(0)
	v_mfma_f32_16x16x4_f32 v[8:11], v36, v80, v[8:11]
	v_mfma_f32_16x16x4_f32 v[4:7], v54, v80, v[4:7]
	;; [unrolled: 1-line block ×14, first 2 shown]
	ds_read2_b64 v[48:51], v90 offset0:16 offset1:20
	v_mfma_f32_16x16x4_f32 v[0:3], v61, v83, v[0:3]
	v_mfma_f32_16x16x4_f32 v[12:15], v75, v83, v[12:15]
	s_waitcnt lgkmcnt(0)
	v_mfma_f32_16x16x4_f32 v[8:11], v28, v48, v[8:11]
	v_mfma_f32_16x16x4_f32 v[4:7], v40, v48, v[4:7]
	;; [unrolled: 1-line block ×14, first 2 shown]
	ds_read2_b64 v[32:35], v90 offset0:24 offset1:28
	v_mfma_f32_16x16x4_f32 v[0:3], v53, v51, v[0:3]
	v_mfma_f32_16x16x4_f32 v[12:15], v69, v51, v[12:15]
	s_waitcnt lgkmcnt(0)
	v_mfma_f32_16x16x4_f32 v[8:11], v22, v32, v[8:11]
	v_mfma_f32_16x16x4_f32 v[4:7], v30, v32, v[4:7]
	v_mfma_f32_16x16x4_f32 v[0:3], v44, v32, v[0:3]
	v_mfma_f32_16x16x4_f32 v[12:15], v64, v32, v[12:15]
	v_mfma_f32_16x16x4_f32 v[8:11], v23, v33, v[8:11]
	v_mfma_f32_16x16x4_f32 v[4:7], v31, v33, v[4:7]
	v_mfma_f32_16x16x4_f32 v[0:3], v45, v33, v[0:3]
	v_mfma_f32_16x16x4_f32 v[12:15], v65, v33, v[12:15]
	v_mfma_f32_16x16x4_f32 v[8:11], v20, v34, v[8:11]
	v_mfma_f32_16x16x4_f32 v[4:7], v26, v34, v[4:7]
	v_mfma_f32_16x16x4_f32 v[0:3], v38, v34, v[0:3]
	v_mfma_f32_16x16x4_f32 v[12:15], v46, v34, v[12:15]
	v_mfma_f32_16x16x4_f32 v[8:11], v21, v35, v[8:11]
	v_mfma_f32_16x16x4_f32 v[4:7], v27, v35, v[4:7]
	v_mfma_f32_16x16x4_f32 v[0:3], v39, v35, v[0:3]
	v_mfma_f32_16x16x4_f32 v[12:15], v47, v35, v[12:15]
	s_andn2_b64 exec, exec, s[4:5]
	s_cbranch_execz .LBB87_15
.LBB87_6:                               ; =>This Inner Loop Header: Depth=1
	v_lshl_add_u64 v[20:21], v[18:19], 0, s[42:43]
	global_load_dword v16, v[18:19], off
	global_load_dword v46, v[20:21], off
	v_add_u32_e32 v20, s3, v88
	v_ashrrev_i32_e32 v21, 31, v20
	v_add_u32_e32 v22, s8, v88
	v_add_u32_e32 v24, s48, v88
	;; [unrolled: 1-line block ×5, first 2 shown]
	v_lshl_add_u64 v[20:21], v[20:21], 2, s[0:1]
	v_ashrrev_i32_e32 v23, 31, v22
	v_ashrrev_i32_e32 v25, 31, v24
	;; [unrolled: 1-line block ×5, first 2 shown]
	v_lshl_add_u64 v[22:23], v[22:23], 2, s[0:1]
	v_lshl_add_u64 v[24:25], v[24:25], 2, s[0:1]
	;; [unrolled: 1-line block ×5, first 2 shown]
	global_load_dword v47, v[20:21], off
	global_load_dword v48, v[22:23], off
	;; [unrolled: 1-line block ×6, first 2 shown]
	v_add_u32_e32 v20, s52, v88
	v_add_u32_e32 v38, s61, v88
	;; [unrolled: 1-line block ×10, first 2 shown]
	v_ashrrev_i32_e32 v21, 31, v20
	v_ashrrev_i32_e32 v39, 31, v38
	;; [unrolled: 1-line block ×10, first 2 shown]
	v_lshl_add_u64 v[20:21], v[20:21], 2, s[0:1]
	v_lshl_add_u64 v[38:39], v[38:39], 2, s[0:1]
	v_add_u32_e32 v40, s62, v88
	v_add_u32_e32 v44, s64, v88
	v_lshl_add_u64 v[22:23], v[22:23], 2, s[0:1]
	v_lshl_add_u64 v[24:25], v[24:25], 2, s[0:1]
	;; [unrolled: 1-line block ×8, first 2 shown]
	global_load_dword v53, v[20:21], off
	global_load_dword v54, v[22:23], off
	;; [unrolled: 1-line block ×9, first 2 shown]
	s_nop 0
	global_load_dword v38, v[38:39], off
	v_add_u32_e32 v20, s65, v88
	v_add_u32_e32 v42, s63, v88
	v_ashrrev_i32_e32 v41, 31, v40
	v_ashrrev_i32_e32 v45, 31, v44
	;; [unrolled: 1-line block ×3, first 2 shown]
	v_add_u32_e32 v22, s66, v88
	v_add_u32_e32 v24, s67, v88
	;; [unrolled: 1-line block ×4, first 2 shown]
	v_ashrrev_i32_e32 v43, 31, v42
	v_lshl_add_u64 v[40:41], v[40:41], 2, s[0:1]
	v_lshl_add_u64 v[44:45], v[44:45], 2, s[0:1]
	v_lshl_add_u64 v[20:21], v[20:21], 2, s[0:1]
	v_ashrrev_i32_e32 v23, 31, v22
	v_ashrrev_i32_e32 v25, 31, v24
	;; [unrolled: 1-line block ×4, first 2 shown]
	v_lshl_add_u64 v[42:43], v[42:43], 2, s[0:1]
	v_lshl_add_u64 v[22:23], v[22:23], 2, s[0:1]
	;; [unrolled: 1-line block ×5, first 2 shown]
	v_add_u32_e32 v30, s75, v88
	v_add_u32_e32 v32, s76, v88
	;; [unrolled: 1-line block ×3, first 2 shown]
	v_ashrrev_i32_e32 v31, 31, v30
	v_ashrrev_i32_e32 v33, 31, v32
	;; [unrolled: 1-line block ×3, first 2 shown]
	v_lshl_add_u64 v[30:31], v[30:31], 2, s[0:1]
	s_waitcnt vmcnt(17)
	ds_write_b32 v89, v16
	s_waitcnt vmcnt(16)
	ds_write_b32 v89, v46 offset:264
	s_waitcnt vmcnt(15)
	ds_write_b32 v89, v47 offset:528
	;; [unrolled: 2-line block ×7, first 2 shown]
	global_load_dword v16, v[40:41], off
	global_load_dword v39, v[42:43], off
	s_nop 0
	global_load_dword v40, v[44:45], off
	global_load_dword v41, v[20:21], off
	s_nop 0
	global_load_dword v44, v[22:23], off
	global_load_dword v45, v[24:25], off
	global_load_dword v46, v[26:27], off
	global_load_dword v47, v[28:29], off
	v_add_u32_e32 v20, s70, v88
	v_ashrrev_i32_e32 v21, 31, v20
	v_add_u32_e32 v22, s71, v88
	v_add_u32_e32 v24, s72, v88
	;; [unrolled: 1-line block ×4, first 2 shown]
	v_lshl_add_u64 v[20:21], v[20:21], 2, s[0:1]
	v_ashrrev_i32_e32 v23, 31, v22
	v_ashrrev_i32_e32 v25, 31, v24
	;; [unrolled: 1-line block ×4, first 2 shown]
	v_lshl_add_u64 v[22:23], v[22:23], 2, s[0:1]
	v_lshl_add_u64 v[24:25], v[24:25], 2, s[0:1]
	v_lshl_add_u64 v[26:27], v[26:27], 2, s[0:1]
	v_lshl_add_u64 v[28:29], v[28:29], 2, s[0:1]
	v_lshl_add_u64 v[32:33], v[32:33], 2, s[0:1]
	v_lshl_add_u64 v[34:35], v[34:35], 2, s[0:1]
	global_load_dword v48, v[20:21], off
	global_load_dword v49, v[22:23], off
	global_load_dword v52, v[24:25], off
	global_load_dword v62, v[26:27], off
	global_load_dword v63, v[28:29], off
	global_load_dword v64, v[30:31], off
	global_load_dword v65, v[32:33], off
	global_load_dword v66, v[34:35], off
	v_add_u32_e32 v20, s78, v88
	v_ashrrev_i32_e32 v21, 31, v20
	v_add_u32_e32 v22, s79, v88
	v_add_u32_e32 v24, s80, v88
	v_add_u32_e32 v26, s81, v88
	v_add_u32_e32 v28, s82, v88
	v_add_u32_e32 v30, s83, v88
	v_add_u32_e32 v32, s84, v88
	v_add_u32_e32 v34, s85, v88
	v_lshl_add_u64 v[20:21], v[20:21], 2, s[0:1]
	v_ashrrev_i32_e32 v23, 31, v22
	v_ashrrev_i32_e32 v25, 31, v24
	v_ashrrev_i32_e32 v27, 31, v26
	v_ashrrev_i32_e32 v29, 31, v28
	v_ashrrev_i32_e32 v31, 31, v30
	v_ashrrev_i32_e32 v33, 31, v32
	v_ashrrev_i32_e32 v35, 31, v34
	v_lshl_add_u64 v[22:23], v[22:23], 2, s[0:1]
	v_lshl_add_u64 v[24:25], v[24:25], 2, s[0:1]
	v_lshl_add_u64 v[26:27], v[26:27], 2, s[0:1]
	v_lshl_add_u64 v[28:29], v[28:29], 2, s[0:1]
	v_lshl_add_u64 v[30:31], v[30:31], 2, s[0:1]
	v_lshl_add_u64 v[32:33], v[32:33], 2, s[0:1]
	v_lshl_add_u64 v[34:35], v[34:35], 2, s[0:1]
	global_load_dword v67, v[20:21], off
	global_load_dword v68, v[22:23], off
	global_load_dword v69, v[24:25], off
	global_load_dword v70, v[26:27], off
	global_load_dword v71, v[28:29], off
	global_load_dword v72, v[30:31], off
	global_load_dword v73, v[32:33], off
	global_load_dword v74, v[34:35], off
	v_add_u32_e32 v20, s44, v88
	v_ashrrev_i32_e32 v21, 31, v20
	v_add_u32_e32 v22, s45, v88
	v_add_u32_e32 v24, s46, v88
	v_add_u32_e32 v26, s47, v88
	v_add_u32_e32 v28, s86, v88
	v_add_u32_e32 v30, s87, v88
	v_add_u32_e32 v32, s88, v88
	v_add_u32_e32 v34, s89, v88
	v_lshl_add_u64 v[20:21], v[20:21], 2, s[0:1]
	v_ashrrev_i32_e32 v23, 31, v22
	v_ashrrev_i32_e32 v25, 31, v24
	v_ashrrev_i32_e32 v27, 31, v26
	v_ashrrev_i32_e32 v29, 31, v28
	v_ashrrev_i32_e32 v31, 31, v30
	v_ashrrev_i32_e32 v33, 31, v32
	v_ashrrev_i32_e32 v35, 31, v34
	v_lshl_add_u64 v[22:23], v[22:23], 2, s[0:1]
	;; [unrolled: 32-line block ×3, first 2 shown]
	v_lshl_add_u64 v[24:25], v[24:25], 2, s[0:1]
	v_lshl_add_u64 v[26:27], v[26:27], 2, s[0:1]
	v_lshl_add_u64 v[28:29], v[28:29], 2, s[0:1]
	v_lshl_add_u64 v[30:31], v[30:31], 2, s[0:1]
	v_lshl_add_u64 v[32:33], v[32:33], 2, s[0:1]
	v_lshl_add_u64 v[34:35], v[34:35], 2, s[0:1]
	global_load_dword v83, v[20:21], off
	global_load_dword v91, v[22:23], off
	;; [unrolled: 1-line block ×8, first 2 shown]
	v_add_u32_e32 v20, s98, v88
	v_ashrrev_i32_e32 v21, 31, v20
	v_add_u32_e32 v22, s99, v88
	v_add_u32_e32 v24, s24, v88
	;; [unrolled: 1-line block ×5, first 2 shown]
	v_lshl_add_u64 v[20:21], v[20:21], 2, s[0:1]
	v_ashrrev_i32_e32 v23, 31, v22
	v_ashrrev_i32_e32 v25, 31, v24
	;; [unrolled: 1-line block ×5, first 2 shown]
	v_lshl_add_u64 v[22:23], v[22:23], 2, s[0:1]
	v_lshl_add_u64 v[24:25], v[24:25], 2, s[0:1]
	;; [unrolled: 1-line block ×5, first 2 shown]
	global_load_dword v98, v[20:21], off
	global_load_dword v99, v[22:23], off
	;; [unrolled: 1-line block ×6, first 2 shown]
	s_waitcnt vmcnt(55)
	ds_write_b32 v89, v53 offset:2112
	s_waitcnt vmcnt(54)
	ds_write_b32 v89, v54 offset:2376
	s_waitcnt vmcnt(53)
	ds_write_b32 v89, v55 offset:2640
	s_waitcnt vmcnt(52)
	ds_write_b32 v89, v56 offset:2904
	s_waitcnt vmcnt(51)
	ds_write_b32 v89, v57 offset:3168
	s_waitcnt vmcnt(50)
	ds_write_b32 v89, v58 offset:3432
	s_waitcnt vmcnt(49)
	ds_write_b32 v89, v59 offset:3696
	s_waitcnt vmcnt(48)
	ds_write_b32 v89, v60 offset:3960
	ds_read_b64 v[50:51], v90
	ds_read_b64 v[42:43], v90 offset:32
	ds_read_b64 v[36:37], v90 offset:64
	ds_read_b64 v[32:33], v90 offset:96
	ds_read_b64 v[28:29], v90 offset:128
	ds_read_b64 v[24:25], v90 offset:160
	ds_read_b64 v[22:23], v90 offset:192
	ds_read_b64 v[20:21], v90 offset:224
	s_waitcnt vmcnt(47)
	ds_write_b32 v89, v61
	s_waitcnt vmcnt(46)
	ds_write_b32 v89, v38 offset:264
	s_waitcnt vmcnt(45)
	ds_write_b32 v89, v16 offset:528
	s_waitcnt vmcnt(44)
	ds_write_b32 v89, v39 offset:792
	s_waitcnt vmcnt(43)
	ds_write_b32 v89, v40 offset:1056
	s_waitcnt vmcnt(42)
	ds_write_b32 v89, v41 offset:1320
	s_waitcnt vmcnt(41)
	ds_write_b32 v89, v44 offset:1584
	s_waitcnt vmcnt(40)
	ds_write_b32 v89, v45 offset:1848
	s_waitcnt vmcnt(39)
	ds_write_b32 v89, v46 offset:2112
	s_waitcnt vmcnt(38)
	ds_write_b32 v89, v47 offset:2376
	s_waitcnt vmcnt(37)
	ds_write_b32 v89, v48 offset:2640
	s_waitcnt vmcnt(36)
	ds_write_b32 v89, v49 offset:2904
	s_waitcnt vmcnt(35)
	ds_write_b32 v89, v52 offset:3168
	s_waitcnt vmcnt(34)
	ds_write_b32 v89, v62 offset:3432
	s_waitcnt vmcnt(33)
	ds_write_b32 v89, v63 offset:3696
	s_waitcnt vmcnt(32)
	ds_write_b32 v89, v64 offset:3960
	ds_read_b64 v[62:63], v90
	ds_read_b64 v[58:59], v90 offset:32
	ds_read_b64 v[54:55], v90 offset:64
	ds_read_b64 v[48:49], v90 offset:96
	ds_read_b64 v[40:41], v90 offset:128
	ds_read_b64 v[34:35], v90 offset:160
	ds_read_b64 v[30:31], v90 offset:192
	ds_read_b64 v[26:27], v90 offset:224
	s_waitcnt vmcnt(31)
	ds_write_b32 v89, v65
	s_waitcnt vmcnt(30)
	ds_write_b32 v89, v66 offset:264
	s_waitcnt vmcnt(29)
	ds_write_b32 v89, v67 offset:528
	s_waitcnt vmcnt(28)
	ds_write_b32 v89, v68 offset:792
	s_waitcnt vmcnt(27)
	ds_write_b32 v89, v69 offset:1056
	s_waitcnt vmcnt(26)
	ds_write_b32 v89, v70 offset:1320
	s_waitcnt vmcnt(25)
	ds_write_b32 v89, v71 offset:1584
	s_waitcnt vmcnt(24)
	ds_write_b32 v89, v72 offset:1848
	;; [unrolled: 40-line block ×3, first 2 shown]
	s_waitcnt vmcnt(7)
	ds_write_b32 v89, v96 offset:2112
	s_waitcnt vmcnt(6)
	ds_write_b32 v89, v97 offset:2376
	;; [unrolled: 2-line block ×8, first 2 shown]
	ds_read_b64 v[82:83], v90
	ds_read_b64 v[80:81], v90 offset:32
	ds_read_b64 v[78:79], v90 offset:64
	;; [unrolled: 1-line block ×7, first 2 shown]
	s_andn2_b64 vcc, exec, s[34:35]
	v_mov_b32_e32 v16, 0
	s_cbranch_vccnz .LBB87_9
; %bb.7:                                ;   in Loop: Header=BB87_6 Depth=1
	s_load_dword s23, s[36:37], 0x0
	v_mov_b32_e32 v16, 0
	s_waitcnt lgkmcnt(0)
	s_mul_hi_u32 vcc_lo, s23, s16
	s_add_i32 vcc_lo, s23, vcc_lo
	s_lshr_b32 vcc_lo, vcc_lo, s17
	s_cmp_ge_i32 vcc_lo, s13
	s_cbranch_scc1 .LBB87_9
; %bb.8:                                ;   in Loop: Header=BB87_6 Depth=1
	s_mul_i32 vcc_hi, vcc_lo, s18
	s_sub_i32 s23, s23, vcc_hi
	s_mul_i32 s23, s23, s9
	s_mul_i32 vcc_lo, vcc_lo, s20
	s_add_i32 vcc_lo, vcc_lo, s23
	v_add_u32_e32 v92, vcc_lo, v88
	v_ashrrev_i32_e32 v93, 31, v92
	v_lshl_add_u64 v[92:93], v[92:93], 2, s[6:7]
	global_load_dword v16, v[92:93], off
.LBB87_9:                               ;   in Loop: Header=BB87_6 Depth=1
	v_mov_b32_e32 v91, 0
	s_andn2_b64 vcc, exec, s[38:39]
	v_mov_b32_e32 v92, 0
	s_cbranch_vccnz .LBB87_12
; %bb.10:                               ;   in Loop: Header=BB87_6 Depth=1
	s_load_dword s23, s[36:37], 0x4
	v_mov_b32_e32 v92, 0
	s_waitcnt lgkmcnt(0)
	s_mul_hi_u32 vcc_lo, s23, s16
	s_add_i32 vcc_lo, s23, vcc_lo
	s_lshr_b32 vcc_lo, vcc_lo, s17
	s_cmp_ge_i32 vcc_lo, s13
	s_cbranch_scc1 .LBB87_12
; %bb.11:                               ;   in Loop: Header=BB87_6 Depth=1
	s_mul_i32 vcc_hi, vcc_lo, s18
	s_sub_i32 s23, s23, vcc_hi
	s_mul_i32 s23, s23, s9
	s_mul_i32 vcc_lo, vcc_lo, s20
	s_add_i32 vcc_lo, vcc_lo, s23
	v_add_u32_e32 v92, vcc_lo, v88
	v_ashrrev_i32_e32 v93, 31, v92
	v_lshl_add_u64 v[92:93], v[92:93], 2, s[6:7]
	global_load_dword v92, v[92:93], off
.LBB87_12:                              ;   in Loop: Header=BB87_6 Depth=1
	s_andn2_b64 vcc, exec, s[40:41]
	s_cbranch_vccnz .LBB87_5
; %bb.13:                               ;   in Loop: Header=BB87_6 Depth=1
	s_load_dword s23, s[36:37], 0x8
	v_mov_b32_e32 v91, 0
	s_waitcnt lgkmcnt(0)
	s_mul_hi_u32 vcc_lo, s23, s16
	s_add_i32 vcc_lo, s23, vcc_lo
	s_lshr_b32 vcc_lo, vcc_lo, s17
	s_cmp_ge_i32 vcc_lo, s13
	s_cbranch_scc1 .LBB87_5
; %bb.14:                               ;   in Loop: Header=BB87_6 Depth=1
	s_mul_i32 vcc_hi, vcc_lo, s18
	s_sub_i32 s23, s23, vcc_hi
	s_mul_i32 s23, s23, s9
	s_mul_i32 vcc_lo, vcc_lo, s20
	s_add_i32 vcc_lo, vcc_lo, s23
	v_add_u32_e32 v94, vcc_lo, v88
	v_ashrrev_i32_e32 v95, 31, v94
	v_lshl_add_u64 v[94:95], v[94:95], 2, s[6:7]
	global_load_dword v91, v[94:95], off
	s_branch .LBB87_5
.LBB87_15:
	s_or_b64 exec, exec, s[4:5]
	v_readlane_b32 s24, v104, 2
	v_readlane_b32 s25, v104, 3
.LBB87_16:
	s_or_b64 exec, exec, s[30:31]
	v_lshl_add_u32 v16, v86, 2, 0
	v_mul_u32_u24_e32 v17, 0x508, v87
	v_and_b32_e32 v18, 0x3f0, v84
	v_add3_u32 v16, v16, v17, v18
	v_cmp_gt_u32_e32 vcc, 3, v85
	s_barrier
	ds_write2_b32 v16, v8, v9 offset1:1
	ds_write2_b32 v16, v10, v11 offset0:2 offset1:3
	ds_write2_b32 v16, v4, v5 offset0:16 offset1:17
	;; [unrolled: 1-line block ×7, first 2 shown]
	s_waitcnt lgkmcnt(0)
	s_barrier
	s_and_saveexec_b64 s[0:1], vcc
	s_cbranch_execz .LBB87_20
; %bb.17:
	s_cmp_gt_i32 s14, 0
	v_add_u32_e32 v0, s2, v85
	s_cselect_b64 s[0:1], -1, 0
	v_cmp_gt_i32_e32 vcc, s33, v0
	s_and_b64 s[0:1], s[0:1], vcc
	s_and_b64 exec, exec, s[0:1]
	s_cbranch_execz .LBB87_20
; %bb.18:
	s_lshl_b64 s[0:1], s[26:27], 2
	s_add_u32 s0, s28, s0
	s_addc_u32 s1, s29, s1
	v_ashrrev_i32_e32 v1, 31, v0
	v_lshl_add_u64 v[0:1], v[0:1], 2, s[0:1]
	global_load_dword v0, v[0:1], off
	s_waitcnt vmcnt(0)
	v_mul_hi_u32 v1, v0, s19
	v_add_u32_e32 v1, v0, v1
	v_lshrrev_b32_e32 v1, s24, v1
	v_cmp_gt_i32_e32 vcc, s13, v1
	s_and_b64 exec, exec, vcc
	s_cbranch_execz .LBB87_20
; %bb.19:
	v_lshlrev_b32_e32 v2, 2, v84
	v_mul_u32_u24_e32 v3, 0x508, v85
	v_add3_u32 v6, 0, v2, v3
	ds_read2st64_b32 v[2:3], v6 offset1:1
	ds_read2st64_b32 v[4:5], v6 offset0:2 offset1:3
	ds_read_b32 v6, v6 offset:1024
	v_add_u32_e32 v7, s11, v84
	v_readlane_b32 s0, v104, 0
	s_waitcnt lgkmcnt(2)
	v_add_f32_e32 v2, 0, v2
	v_add_f32_e32 v2, v2, v3
	v_mul_lo_u32 v3, v1, s25
	v_sub_u32_e32 v0, v0, v3
	s_waitcnt lgkmcnt(1)
	v_add_f32_e32 v2, v2, v4
	v_mul_lo_u32 v0, v0, s10
	v_mul_lo_u32 v1, v1, s21
	v_add_f32_e32 v2, v2, v5
	v_add3_u32 v0, v7, v1, v0
	v_mov_b32_e32 v1, 0
	v_readlane_b32 s1, v104, 1
	s_waitcnt lgkmcnt(0)
	v_add_f32_e32 v2, v2, v6
	v_lshl_add_u64 v[0:1], v[0:1], 2, s[0:1]
	global_store_dword v[0:1], v2, off
.LBB87_20:
	s_endpgm
	.section	.rodata,"a",@progbits
	.p2align	6, 0x0
	.amdhsa_kernel _ZL13mul_mat_f_idsIfLi64ELi3ELi5EEvPKT_PKfPKiS6_S6_Pfiiiiiiiiiiiiii15HIP_vector_typeIjLj3EES9_
		.amdhsa_group_segment_fixed_size 0
		.amdhsa_private_segment_fixed_size 0
		.amdhsa_kernarg_size 128
		.amdhsa_user_sgpr_count 2
		.amdhsa_user_sgpr_dispatch_ptr 0
		.amdhsa_user_sgpr_queue_ptr 0
		.amdhsa_user_sgpr_kernarg_segment_ptr 1
		.amdhsa_user_sgpr_dispatch_id 0
		.amdhsa_user_sgpr_kernarg_preload_length 0
		.amdhsa_user_sgpr_kernarg_preload_offset 0
		.amdhsa_user_sgpr_private_segment_size 0
		.amdhsa_uses_dynamic_stack 0
		.amdhsa_enable_private_segment 0
		.amdhsa_system_sgpr_workgroup_id_x 1
		.amdhsa_system_sgpr_workgroup_id_y 1
		.amdhsa_system_sgpr_workgroup_id_z 1
		.amdhsa_system_sgpr_workgroup_info 0
		.amdhsa_system_vgpr_workitem_id 1
		.amdhsa_next_free_vgpr 105
		.amdhsa_next_free_sgpr 100
		.amdhsa_accum_offset 108
		.amdhsa_reserve_vcc 1
		.amdhsa_float_round_mode_32 0
		.amdhsa_float_round_mode_16_64 0
		.amdhsa_float_denorm_mode_32 3
		.amdhsa_float_denorm_mode_16_64 3
		.amdhsa_dx10_clamp 1
		.amdhsa_ieee_mode 1
		.amdhsa_fp16_overflow 0
		.amdhsa_tg_split 0
		.amdhsa_exception_fp_ieee_invalid_op 0
		.amdhsa_exception_fp_denorm_src 0
		.amdhsa_exception_fp_ieee_div_zero 0
		.amdhsa_exception_fp_ieee_overflow 0
		.amdhsa_exception_fp_ieee_underflow 0
		.amdhsa_exception_fp_ieee_inexact 0
		.amdhsa_exception_int_div_zero 0
	.end_amdhsa_kernel
	.section	.text._ZL13mul_mat_f_idsIfLi64ELi3ELi5EEvPKT_PKfPKiS6_S6_Pfiiiiiiiiiiiiii15HIP_vector_typeIjLj3EES9_,"axG",@progbits,_ZL13mul_mat_f_idsIfLi64ELi3ELi5EEvPKT_PKfPKiS6_S6_Pfiiiiiiiiiiiiii15HIP_vector_typeIjLj3EES9_,comdat
.Lfunc_end87:
	.size	_ZL13mul_mat_f_idsIfLi64ELi3ELi5EEvPKT_PKfPKiS6_S6_Pfiiiiiiiiiiiiii15HIP_vector_typeIjLj3EES9_, .Lfunc_end87-_ZL13mul_mat_f_idsIfLi64ELi3ELi5EEvPKT_PKfPKiS6_S6_Pfiiiiiiiiiiiiii15HIP_vector_typeIjLj3EES9_
                                        ; -- End function
	.set _ZL13mul_mat_f_idsIfLi64ELi3ELi5EEvPKT_PKfPKiS6_S6_Pfiiiiiiiiiiiiii15HIP_vector_typeIjLj3EES9_.num_vgpr, 105
	.set _ZL13mul_mat_f_idsIfLi64ELi3ELi5EEvPKT_PKfPKiS6_S6_Pfiiiiiiiiiiiiii15HIP_vector_typeIjLj3EES9_.num_agpr, 0
	.set _ZL13mul_mat_f_idsIfLi64ELi3ELi5EEvPKT_PKfPKiS6_S6_Pfiiiiiiiiiiiiii15HIP_vector_typeIjLj3EES9_.numbered_sgpr, 100
	.set _ZL13mul_mat_f_idsIfLi64ELi3ELi5EEvPKT_PKfPKiS6_S6_Pfiiiiiiiiiiiiii15HIP_vector_typeIjLj3EES9_.num_named_barrier, 0
	.set _ZL13mul_mat_f_idsIfLi64ELi3ELi5EEvPKT_PKfPKiS6_S6_Pfiiiiiiiiiiiiii15HIP_vector_typeIjLj3EES9_.private_seg_size, 0
	.set _ZL13mul_mat_f_idsIfLi64ELi3ELi5EEvPKT_PKfPKiS6_S6_Pfiiiiiiiiiiiiii15HIP_vector_typeIjLj3EES9_.uses_vcc, 1
	.set _ZL13mul_mat_f_idsIfLi64ELi3ELi5EEvPKT_PKfPKiS6_S6_Pfiiiiiiiiiiiiii15HIP_vector_typeIjLj3EES9_.uses_flat_scratch, 0
	.set _ZL13mul_mat_f_idsIfLi64ELi3ELi5EEvPKT_PKfPKiS6_S6_Pfiiiiiiiiiiiiii15HIP_vector_typeIjLj3EES9_.has_dyn_sized_stack, 0
	.set _ZL13mul_mat_f_idsIfLi64ELi3ELi5EEvPKT_PKfPKiS6_S6_Pfiiiiiiiiiiiiii15HIP_vector_typeIjLj3EES9_.has_recursion, 0
	.set _ZL13mul_mat_f_idsIfLi64ELi3ELi5EEvPKT_PKfPKiS6_S6_Pfiiiiiiiiiiiiii15HIP_vector_typeIjLj3EES9_.has_indirect_call, 0
	.section	.AMDGPU.csdata,"",@progbits
; Kernel info:
; codeLenInByte = 4760
; TotalNumSgprs: 106
; NumVgprs: 105
; NumAgprs: 0
; TotalNumVgprs: 105
; ScratchSize: 0
; MemoryBound: 0
; FloatMode: 240
; IeeeMode: 1
; LDSByteSize: 0 bytes/workgroup (compile time only)
; SGPRBlocks: 13
; VGPRBlocks: 13
; NumSGPRsForWavesPerEU: 106
; NumVGPRsForWavesPerEU: 105
; AccumOffset: 108
; Occupancy: 4
; WaveLimiterHint : 1
; COMPUTE_PGM_RSRC2:SCRATCH_EN: 0
; COMPUTE_PGM_RSRC2:USER_SGPR: 2
; COMPUTE_PGM_RSRC2:TRAP_HANDLER: 0
; COMPUTE_PGM_RSRC2:TGID_X_EN: 1
; COMPUTE_PGM_RSRC2:TGID_Y_EN: 1
; COMPUTE_PGM_RSRC2:TGID_Z_EN: 1
; COMPUTE_PGM_RSRC2:TIDIG_COMP_CNT: 1
; COMPUTE_PGM_RSRC3_GFX90A:ACCUM_OFFSET: 26
; COMPUTE_PGM_RSRC3_GFX90A:TG_SPLIT: 0
	.section	.text._ZL9mul_mat_fIfLi64ELi3ELi5ELb1EEvPKT_PKfPKiPfiiiiiiiiiiiiiiii,"axG",@progbits,_ZL9mul_mat_fIfLi64ELi3ELi5ELb1EEvPKT_PKfPKiPfiiiiiiiiiiiiiiii,comdat
	.globl	_ZL9mul_mat_fIfLi64ELi3ELi5ELb1EEvPKT_PKfPKiPfiiiiiiiiiiiiiiii ; -- Begin function _ZL9mul_mat_fIfLi64ELi3ELi5ELb1EEvPKT_PKfPKiPfiiiiiiiiiiiiiiii
	.p2align	8
	.type	_ZL9mul_mat_fIfLi64ELi3ELi5ELb1EEvPKT_PKfPKiPfiiiiiiiiiiiiiiii,@function
_ZL9mul_mat_fIfLi64ELi3ELi5ELb1EEvPKT_PKfPKiPfiiiiiiiiiiiiiiii: ; @_ZL9mul_mat_fIfLi64ELi3ELi5ELb1EEvPKT_PKfPKiPfiiiiiiiiiiiiiiii
; %bb.0:
	s_load_dwordx8 s[12:19], s[0:1], 0x20
	v_and_b32_e32 v16, 0x3ff, v0
	v_bfe_u32 v17, v0, 10, 10
	s_waitcnt lgkmcnt(0)
	s_add_i32 s5, s13, 2
	s_mul_hi_i32 s5, s5, 0x55555556
	s_lshr_b32 s6, s5, 31
	s_add_i32 s5, s5, s6
	v_cvt_f32_u32_e32 v1, s5
	s_load_dwordx4 s[20:23], s[0:1], 0x44
	s_load_dword s6, s[0:1], 0x64
	s_add_u32 s30, s0, 0x60
	s_addc_u32 s31, s1, 0
	v_rcp_iflag_f32_e32 v1, v1
	s_sub_i32 s7, 0, s5
	s_waitcnt lgkmcnt(0)
	s_abs_i32 s33, s23
	v_mul_f32_e32 v1, 0x4f7ffffe, v1
	v_cvt_u32_f32_e32 v1, v1
	v_mul_lo_u32 v2, s7, v1
	v_mul_hi_u32 v2, v1, v2
	v_add_u32_e32 v1, v1, v2
	v_mul_hi_u32 v1, s6, v1
	v_mul_lo_u32 v2, v1, s5
	v_sub_u32_e32 v2, s6, v2
	v_add_u32_e32 v3, 1, v1
	v_subrev_u32_e32 v4, s5, v2
	v_cmp_le_u32_e32 vcc, s5, v2
	s_nop 1
	v_cndmask_b32_e32 v1, v1, v3, vcc
	v_cndmask_b32_e32 v2, v2, v4, vcc
	v_add_u32_e32 v3, 1, v1
	v_cmp_le_u32_e32 vcc, s5, v2
	v_cvt_f32_u32_e32 v4, s33
	s_sub_i32 s5, 0, s33
	v_cndmask_b32_e32 v2, v1, v3, vcc
	v_cvt_f32_u32_e32 v1, v2
	v_rcp_iflag_f32_e32 v3, v4
	v_sub_u32_e32 v5, 0, v2
	v_cmp_eq_u32_e32 vcc, 0, v16
	v_rcp_iflag_f32_e32 v4, v1
	v_mul_f32_e32 v1, 0x4f7ffffe, v3
	v_cvt_u32_f32_e32 v1, v1
	v_mul_f32_e32 v3, 0x4f7ffffe, v4
	v_cvt_u32_f32_e32 v3, v3
	v_mul_lo_u32 v4, s5, v1
	v_mul_hi_u32 v4, v1, v4
	v_mul_lo_u32 v5, v5, v3
	v_mul_hi_u32 v5, v3, v5
	v_add_u32_e32 v3, v3, v5
	v_mul_hi_u32 v3, s3, v3
	s_and_saveexec_b64 s[6:7], vcc
; %bb.1:
	v_mov_b32_e32 v5, 0x100
	v_lshl_add_u32 v5, v17, 2, v5
	v_mov_b32_e32 v6, -1
	ds_write_b32 v5, v6
; %bb.2:
	s_or_b64 exec, exec, s[6:7]
	v_add_u32_e32 v1, v1, v4
	v_mul_lo_u32 v4, v3, v2
	v_sub_u32_e32 v4, s3, v4
	v_add_u32_e32 v5, 1, v3
	v_sub_u32_e32 v6, v4, v2
	v_cmp_ge_u32_e32 vcc, v4, v2
	s_load_dwordx4 s[24:27], s[0:1], 0x54
	s_waitcnt lgkmcnt(0)
	s_abs_i32 s27, s4
	v_cndmask_b32_e32 v3, v3, v5, vcc
	v_cndmask_b32_e32 v4, v4, v6, vcc
	v_add_u32_e32 v5, 1, v3
	v_cmp_ge_u32_e32 vcc, v4, v2
	v_mov_b32_e32 v6, 0
	s_nop 0
	v_cndmask_b32_e32 v3, v3, v5, vcc
	v_mul_lo_u32 v2, v3, v2
	v_mul_lo_u32 v90, v3, 3
	v_sub_u32_e32 v18, s3, v2
	v_add_u32_e32 v2, v17, v90
	v_cmp_gt_i32_e64 s[8:9], s13, v2
	s_and_saveexec_b64 s[10:11], s[8:9]
	s_cbranch_execz .LBB88_10
; %bb.3:
	v_cmp_gt_i32_e32 vcc, s14, v16
	v_mov_b32_e32 v6, 0
	s_and_saveexec_b64 s[28:29], vcc
	s_cbranch_execz .LBB88_9
; %bb.4:
	s_load_dwordx2 s[6:7], s[0:1], 0x10
	v_mul_hi_i32 v3, v90, s19
	v_mul_lo_u32 v2, v90, s19
	v_mul_lo_u32 v4, v17, s19
	v_lshlrev_b64 v[2:3], 2, v[2:3]
	s_waitcnt lgkmcnt(0)
	v_lshl_add_u64 v[2:3], s[6:7], 0, v[2:3]
	v_ashrrev_i32_e32 v5, 31, v4
	v_lshl_add_u64 v[2:3], v[4:5], 2, v[2:3]
	v_mov_b32_e32 v4, 0x100
	v_lshl_add_u32 v7, v17, 2, v4
	v_mul_lo_u32 v4, v16, s18
	s_lshl_b32 s3, s18, 6
	v_mov_b32_e32 v6, 0
	s_mov_b64 s[18:19], 0
	v_mov_b32_e32 v8, v16
	s_branch .LBB88_6
.LBB88_5:                               ;   in Loop: Header=BB88_6 Depth=1
	s_or_b64 exec, exec, s[34:35]
	v_add_u32_e32 v8, 64, v8
	v_cmp_le_i32_e64 s[6:7], s14, v8
	s_xor_b64 s[34:35], vcc, -1
	s_or_b64 s[6:7], s[34:35], s[6:7]
	s_and_b64 s[6:7], exec, s[6:7]
	s_or_b64 s[18:19], s[6:7], s[18:19]
	v_add_u32_e32 v4, s3, v4
	s_andn2_b64 exec, exec, s[18:19]
	s_cbranch_execz .LBB88_8
.LBB88_6:                               ; =>This Inner Loop Header: Depth=1
	v_ashrrev_i32_e32 v5, 31, v4
	v_lshl_add_u64 v[10:11], v[4:5], 2, v[2:3]
	global_load_dword v5, v[10:11], off
	s_waitcnt vmcnt(0)
	v_cmp_ne_u32_e32 vcc, v5, v18
	v_cmp_eq_u32_e64 s[6:7], v5, v18
	s_and_saveexec_b64 s[34:35], s[6:7]
	s_cbranch_execz .LBB88_5
; %bb.7:                                ;   in Loop: Header=BB88_6 Depth=1
	v_mov_b32_e32 v6, 1
	ds_write_b32 v7, v8
	s_branch .LBB88_5
.LBB88_8:
	s_or_b64 exec, exec, s[18:19]
.LBB88_9:
	s_or_b64 exec, exec, s[28:29]
.LBB88_10:
	s_or_b64 exec, exec, s[10:11]
	s_load_dwordx2 s[18:19], s[30:31], 0xc
	s_load_dwordx2 s[28:29], s[0:1], 0x8
	;; [unrolled: 1-line block ×3, first 2 shown]
	v_mul_hi_u32 v19, s27, v1
	v_or_b32_dpp v1, v6, v6 row_shl:1 row_mask:0xf bank_mask:0xf bound_ctrl:1
	s_waitcnt lgkmcnt(0)
	s_lshr_b32 s6, s18, 16
	s_and_b32 s5, s18, 0xffff
	v_or_b32_dpp v1, v1, v1 row_shl:2 row_mask:0xf bank_mask:0xf bound_ctrl:1
	s_mul_i32 s7, s6, s5
	s_and_b32 s3, s19, 0xffff
	v_or_b32_dpp v1, v1, v1 row_shl:4 row_mask:0xf bank_mask:0xf bound_ctrl:1
	s_bfe_i32 s7, s7, 0x180000
	s_mul_i32 s3, s7, s3
	v_or_b32_dpp v1, v1, v1 row_shl:8 row_mask:0xf bank_mask:0xf bound_ctrl:1
	s_add_i32 s7, s3, 63
	s_bitcmp1_b32 exec_hi, 0
	v_mov_b32_dpp v2, v1 wave_shl:1 row_mask:0xf bank_mask:0xf bound_ctrl:1
	s_nop 1
	v_or_b32_dpp v1, v2, v1 row_mirror row_mask:0xf bank_mask:0xf bound_ctrl:1
	s_nop 0
	v_readlane_b32 s3, v1, 32
	s_cselect_b32 s3, s3, 0
	v_readlane_b32 s14, v1, 0
	s_or_b32 s3, s3, s14
	s_andn2_b32 s7, s7, 63
	s_cmp_lg_u32 s7, 64
	v_mov_b32_e32 v1, s3
	s_cbranch_scc0 .LBB88_17
; %bb.11:
	v_bfe_u32 v0, v0, 20, 10
	v_mbcnt_lo_u32_b32 v1, -1, 0
	v_mad_u32_u24 v0, v0, s6, v17
	v_mbcnt_hi_u32_b32 v2, -1, v1
	v_mad_u64_u32 v[0:1], s[6:7], v0, s5, v[16:17]
	v_lshrrev_b32_e32 v1, 6, v0
	v_or_b32_e32 v1, v2, v1
	v_cmp_eq_u32_e32 vcc, 0, v1
	s_and_saveexec_b64 s[6:7], vcc
; %bb.12:
	v_mov_b32_e32 v1, 0
	v_mov_b32_e32 v3, s3
	ds_write_b32 v1, v3
; %bb.13:
	s_or_b64 exec, exec, s[6:7]
	v_cmp_eq_u32_e32 vcc, 0, v2
	v_cmp_lt_u32_e64 s[6:7], 63, v0
	s_and_b64 s[18:19], s[6:7], vcc
	s_waitcnt lgkmcnt(0)
	s_barrier
	s_and_saveexec_b64 s[6:7], s[18:19]
	s_cbranch_execz .LBB88_16
; %bb.14:
	v_mbcnt_lo_u32_b32 v0, exec_lo, 0
	v_mbcnt_hi_u32_b32 v0, exec_hi, v0
	v_cmp_eq_u32_e32 vcc, 0, v0
	s_and_b64 exec, exec, vcc
; %bb.15:
	v_mov_b32_e32 v0, 0
	v_mov_b32_e32 v1, s3
	ds_or_b32 v0, v1
.LBB88_16:
	s_or_b64 exec, exec, s[6:7]
	v_mov_b32_e32 v0, 0
	s_waitcnt lgkmcnt(0)
	s_barrier
	ds_read_b32 v1, v0
	s_waitcnt lgkmcnt(0)
	s_barrier
.LBB88_17:
	s_load_dwordx2 s[0:1], s[0:1], 0x0
	v_cmp_ne_u32_e32 vcc, 0, v1
	s_ashr_i32 s3, s4, 31
	s_ashr_i32 s14, s23, 31
	s_cbranch_vccz .LBB88_39
; %bb.18:
	v_lshlrev_b32_e32 v91, 6, v17
	v_add_u32_e32 v93, v91, v16
	v_cmp_le_i32_e32 vcc, s12, v93
	v_and_b32_e32 v92, 15, v16
	s_and_saveexec_b64 s[6:7], vcc
	s_xor_b64 s[6:7], exec, s[6:7]
; %bb.19:
	v_and_b32_e32 v92, 15, v16
                                        ; implicit-def: $vgpr93
                                        ; implicit-def: $vgpr19
                                        ; implicit-def: $vgpr18
; %bb.20:
	s_or_saveexec_b64 s[18:19], s[6:7]
	v_mov_b32_e32 v11, 0
	s_lshl_b32 s5, s2, 6
	v_mov_b32_e32 v10, v11
	v_mov_b32_e32 v9, v11
	v_mov_b32_e32 v8, v11
	v_mov_b32_e32 v7, v11
	v_mov_b32_e32 v6, v11
	v_mov_b32_e32 v5, v11
	v_mov_b32_e32 v4, v11
	v_mov_b32_e32 v3, v11
	v_mov_b32_e32 v2, v11
	v_mov_b32_e32 v1, v11
	v_mov_b32_e32 v0, v11
	v_mov_b32_e32 v15, v11
	v_mov_b32_e32 v14, v11
	v_mov_b32_e32 v13, v11
	v_mov_b32_e32 v12, v11
	s_xor_b64 exec, exec, s[18:19]
	s_cbranch_execz .LBB88_36
; %bb.21:
	v_mul_lo_u32 v0, v19, s33
	v_sub_u32_e32 v0, s27, v0
	v_add_u32_e32 v1, 1, v19
	v_subrev_u32_e32 v2, s33, v0
	v_cmp_le_u32_e32 vcc, s33, v0
	s_xor_b32 s2, s3, s14
	s_movk_i32 s6, 0x1080
	v_cndmask_b32_e32 v1, v19, v1, vcc
	v_cndmask_b32_e32 v0, v0, v2, vcc
	v_add_u32_e32 v2, 1, v1
	v_cmp_le_u32_e32 vcc, s33, v0
	v_mov_b32_e32 v94, 0x100
	v_mad_u32_u24 v6, v17, s6, v94
	v_cndmask_b32_e32 v0, v1, v2, vcc
	v_xor_b32_e32 v0, s2, v0
	v_subrev_u32_e32 v0, s2, v0
	v_mul_hi_i32 v1, v0, s24
	v_mul_lo_u32 v0, v0, s24
	v_mul_lo_u32 v2, v18, s20
	v_ashrrev_i32_e32 v3, 31, v2
	s_mul_i32 s2, s15, s5
	v_lshlrev_b64 v[0:1], 2, v[0:1]
	s_waitcnt lgkmcnt(0)
	v_lshl_add_u64 v[4:5], s[0:1], 0, v[0:1]
	v_lshlrev_b64 v[2:3], 2, v[2:3]
	s_ashr_i32 s3, s2, 31
	s_mul_hi_i32 s7, s25, s4
	s_mul_i32 s6, s25, s4
	v_lshl_add_u64 v[4:5], v[4:5], 0, v[2:3]
	s_lshl_b64 s[2:3], s[2:3], 2
	s_lshl_b64 s[6:7], s[6:7], 2
	v_lshl_add_u64 v[18:19], v[4:5], 0, s[2:3]
	v_mul_hi_i32 v5, v90, s16
	v_mul_lo_u32 v4, v90, s16
	s_add_u32 s6, s28, s6
	s_addc_u32 s7, s29, s7
	v_lshlrev_b64 v[4:5], 2, v[4:5]
	v_lshl_add_u64 v[0:1], v[0:1], 0, s[2:3]
	v_lshl_add_u64 v[20:21], s[6:7], 0, v[4:5]
	v_lshrrev_b32_e32 v5, 1, v16
	v_lshl_add_u64 v[0:1], v[0:1], 0, v[2:3]
	v_mul_u32_u24_e32 v4, 0x108, v92
	v_and_b32_e32 v5, 0x1f8, v5
	v_add_u32_e32 v26, 1, v90
	v_add_u32_e32 v27, 2, v90
	s_ashr_i32 s7, s15, 31
	s_mov_b32 s6, s15
	v_lshl_add_u64 v[0:1], s[0:1], 0, v[0:1]
	v_lshlrev_b32_e32 v22, 2, v93
	v_mov_b32_e32 v23, 0
	v_lshl_add_u32 v95, v16, 2, v6
	v_add3_u32 v96, v6, v4, v5
	s_lshl_b32 s20, s16, 1
	s_add_i32 s23, s15, s15
	s_mul_i32 s27, s15, 3
	s_lshl_b32 s30, s15, 2
	s_mul_i32 s31, s15, 5
	s_mul_i32 s33, s15, 6
	;; [unrolled: 1-line block ×3, first 2 shown]
	s_lshl_b32 s35, s15, 3
	s_mul_i32 s36, s15, 9
	s_mul_i32 s37, s15, 10
	s_mul_i32 s38, s15, 11
	s_mul_i32 s39, s15, 12
	s_mul_i32 s40, s15, 13
	s_mul_i32 s41, s15, 14
	s_mul_i32 s42, s15, 15
	s_lshl_b32 s43, s15, 4
	s_mul_i32 s44, s15, 17
	s_mul_i32 s45, s15, 18
	;; [unrolled: 1-line block ×15, first 2 shown]
	s_lshl_b32 s59, s15, 5
	s_mul_i32 s60, s15, 33
	s_mul_i32 s61, s15, 34
	;; [unrolled: 1-line block ×22, first 2 shown]
	v_cmp_gt_i32_e64 s[2:3], s13, v90
	s_mul_i32 s82, s15, 55
	s_mul_i32 s83, s15, 56
	s_lshl_b64 s[24:25], s[6:7], 2
	v_lshl_add_u64 v[24:25], v[0:1], 0, v[22:23]
	v_mov_b32_e32 v12, 0
	v_mov_b32_e32 v13, v23
	;; [unrolled: 1-line block ×16, first 2 shown]
	s_mul_i32 s84, s15, 57
	s_mul_i32 s85, s15, 58
	;; [unrolled: 1-line block ×7, first 2 shown]
	v_cmp_gt_i32_e64 s[0:1], s13, v26
	v_cmp_gt_i32_e64 s[6:7], s13, v27
	s_mov_b64 s[14:15], 0
	s_mov_b64 s[28:29], 0x500
	s_branch .LBB88_24
.LBB88_22:                              ;   in Loop: Header=BB88_24 Depth=1
	v_mul_lo_u32 v22, v22, s21
	v_add_u32_e32 v22, s20, v22
	v_add_u32_e32 v98, v22, v93
	v_ashrrev_i32_e32 v99, 31, v98
	v_lshl_add_u64 v[98:99], v[98:99], 2, v[20:21]
	global_load_dword v22, v[98:99], off
.LBB88_23:                              ;   in Loop: Header=BB88_24 Depth=1
	s_waitcnt vmcnt(0)
	ds_write2_b32 v95, v22, v23 offset0:148 offset1:214
	v_add_u32_e32 v22, 0x400, v95
	ds_write2_b32 v22, v23, v23 offset0:24 offset1:90
	ds_write2_b32 v22, v23, v23 offset0:156 offset1:222
	v_add_u32_e32 v22, 0x800, v95
	ds_write2_b32 v22, v23, v23 offset0:32 offset1:98
	ds_write2_b32 v22, v23, v23 offset0:164 offset1:230
	v_add_u32_e32 v22, 0xc00, v95
	ds_write2_b32 v22, v23, v23 offset0:40 offset1:106
	ds_write2_b32 v22, v23, v23 offset0:172 offset1:238
	ds_read2_b64 v[98:101], v96 offset0:8 offset1:12
	v_add_u32_e32 v93, 0x140, v93
	s_waitcnt lgkmcnt(0)
	v_mfma_f32_16x16x4_f32 v[8:11], v56, v98, v[8:11]
	v_cmp_le_i32_e32 vcc, s12, v93
	v_lshl_add_u64 v[24:25], v[24:25], 0, s[28:29]
	s_or_b64 s[14:15], vcc, s[14:15]
	v_mfma_f32_16x16x4_f32 v[4:7], v68, v98, v[4:7]
	v_mfma_f32_16x16x4_f32 v[0:3], v80, v98, v[0:3]
	;; [unrolled: 1-line block ×15, first 2 shown]
	ds_read2_b64 v[86:89], v96 offset0:16 offset1:20
	s_waitcnt lgkmcnt(0)
	v_mfma_f32_16x16x4_f32 v[8:11], v42, v86, v[8:11]
	v_mfma_f32_16x16x4_f32 v[4:7], v60, v86, v[4:7]
	;; [unrolled: 1-line block ×15, first 2 shown]
	ds_read2_b64 v[64:67], v96 offset0:24 offset1:28
	v_mfma_f32_16x16x4_f32 v[12:15], v83, v89, v[12:15]
	s_waitcnt lgkmcnt(0)
	v_mfma_f32_16x16x4_f32 v[8:11], v34, v64, v[8:11]
	v_mfma_f32_16x16x4_f32 v[4:7], v46, v64, v[4:7]
	v_mfma_f32_16x16x4_f32 v[0:3], v62, v64, v[0:3]
	v_mfma_f32_16x16x4_f32 v[12:15], v78, v64, v[12:15]
	v_mfma_f32_16x16x4_f32 v[8:11], v35, v65, v[8:11]
	v_mfma_f32_16x16x4_f32 v[4:7], v47, v65, v[4:7]
	v_mfma_f32_16x16x4_f32 v[0:3], v63, v65, v[0:3]
	v_mfma_f32_16x16x4_f32 v[12:15], v79, v65, v[12:15]
	v_mfma_f32_16x16x4_f32 v[8:11], v30, v66, v[8:11]
	v_mfma_f32_16x16x4_f32 v[4:7], v40, v66, v[4:7]
	v_mfma_f32_16x16x4_f32 v[0:3], v58, v66, v[0:3]
	v_mfma_f32_16x16x4_f32 v[12:15], v74, v66, v[12:15]
	v_mfma_f32_16x16x4_f32 v[8:11], v31, v67, v[8:11]
	v_mfma_f32_16x16x4_f32 v[4:7], v41, v67, v[4:7]
	ds_read2_b64 v[38:41], v96 offset0:32 offset1:36
	v_mfma_f32_16x16x4_f32 v[0:3], v59, v67, v[0:3]
	v_mfma_f32_16x16x4_f32 v[12:15], v75, v67, v[12:15]
	s_waitcnt lgkmcnt(0)
	v_mfma_f32_16x16x4_f32 v[8:11], v28, v38, v[8:11]
	v_mfma_f32_16x16x4_f32 v[4:7], v36, v38, v[4:7]
	;; [unrolled: 1-line block ×16, first 2 shown]
	s_andn2_b64 exec, exec, s[14:15]
	s_cbranch_execz .LBB88_35
.LBB88_24:                              ; =>This Inner Loop Header: Depth=1
	v_lshl_add_u64 v[26:27], v[24:25], 0, s[24:25]
	global_load_dword v22, v[24:25], off
	global_load_dword v52, v[26:27], off
	v_add_u32_e32 v26, s23, v93
	v_ashrrev_i32_e32 v27, 31, v26
	v_add_u32_e32 v28, s27, v93
	v_add_u32_e32 v30, s30, v93
	;; [unrolled: 1-line block ×5, first 2 shown]
	v_lshl_add_u64 v[26:27], v[26:27], 2, v[18:19]
	v_ashrrev_i32_e32 v29, 31, v28
	v_ashrrev_i32_e32 v31, 31, v30
	;; [unrolled: 1-line block ×5, first 2 shown]
	v_lshl_add_u64 v[28:29], v[28:29], 2, v[18:19]
	v_lshl_add_u64 v[30:31], v[30:31], 2, v[18:19]
	v_lshl_add_u64 v[32:33], v[32:33], 2, v[18:19]
	v_lshl_add_u64 v[34:35], v[34:35], 2, v[18:19]
	v_lshl_add_u64 v[36:37], v[36:37], 2, v[18:19]
	global_load_dword v53, v[26:27], off
	global_load_dword v54, v[28:29], off
	;; [unrolled: 1-line block ×6, first 2 shown]
	v_add_u32_e32 v26, s35, v93
	v_add_u32_e32 v44, s44, v93
	;; [unrolled: 1-line block ×10, first 2 shown]
	v_ashrrev_i32_e32 v27, 31, v26
	v_ashrrev_i32_e32 v45, 31, v44
	;; [unrolled: 1-line block ×10, first 2 shown]
	v_lshl_add_u64 v[26:27], v[26:27], 2, v[18:19]
	v_lshl_add_u64 v[44:45], v[44:45], 2, v[18:19]
	v_add_u32_e32 v46, s45, v93
	v_add_u32_e32 v50, s47, v93
	v_lshl_add_u64 v[28:29], v[28:29], 2, v[18:19]
	v_lshl_add_u64 v[30:31], v[30:31], 2, v[18:19]
	;; [unrolled: 1-line block ×8, first 2 shown]
	global_load_dword v59, v[26:27], off
	global_load_dword v60, v[28:29], off
	;; [unrolled: 1-line block ×9, first 2 shown]
	s_nop 0
	global_load_dword v44, v[44:45], off
	v_add_u32_e32 v26, s48, v93
	v_add_u32_e32 v48, s46, v93
	v_ashrrev_i32_e32 v47, 31, v46
	v_ashrrev_i32_e32 v51, 31, v50
	v_ashrrev_i32_e32 v27, 31, v26
	v_add_u32_e32 v28, s49, v93
	v_add_u32_e32 v30, s50, v93
	;; [unrolled: 1-line block ×4, first 2 shown]
	v_ashrrev_i32_e32 v49, 31, v48
	v_lshl_add_u64 v[46:47], v[46:47], 2, v[18:19]
	v_lshl_add_u64 v[50:51], v[50:51], 2, v[18:19]
	;; [unrolled: 1-line block ×3, first 2 shown]
	v_ashrrev_i32_e32 v29, 31, v28
	v_ashrrev_i32_e32 v31, 31, v30
	;; [unrolled: 1-line block ×4, first 2 shown]
	v_lshl_add_u64 v[48:49], v[48:49], 2, v[18:19]
	v_lshl_add_u64 v[28:29], v[28:29], 2, v[18:19]
	;; [unrolled: 1-line block ×5, first 2 shown]
	v_add_u32_e32 v36, s58, v93
	v_add_u32_e32 v38, s59, v93
	;; [unrolled: 1-line block ×3, first 2 shown]
	v_ashrrev_i32_e32 v37, 31, v36
	v_ashrrev_i32_e32 v39, 31, v38
	;; [unrolled: 1-line block ×3, first 2 shown]
	v_lshl_add_u64 v[36:37], v[36:37], 2, v[18:19]
	s_waitcnt vmcnt(17)
	ds_write_b32 v95, v22 offset:64
	s_waitcnt vmcnt(16)
	ds_write_b32 v95, v52 offset:328
	;; [unrolled: 2-line block ×8, first 2 shown]
	global_load_dword v22, v[46:47], off
	global_load_dword v45, v[48:49], off
	s_nop 0
	global_load_dword v46, v[50:51], off
	global_load_dword v47, v[26:27], off
	s_nop 0
	global_load_dword v50, v[28:29], off
	global_load_dword v51, v[30:31], off
	;; [unrolled: 1-line block ×4, first 2 shown]
	v_add_u32_e32 v26, s53, v93
	v_ashrrev_i32_e32 v27, 31, v26
	v_add_u32_e32 v28, s54, v93
	v_add_u32_e32 v30, s55, v93
	;; [unrolled: 1-line block ×4, first 2 shown]
	v_lshl_add_u64 v[26:27], v[26:27], 2, v[18:19]
	v_ashrrev_i32_e32 v29, 31, v28
	v_ashrrev_i32_e32 v31, 31, v30
	;; [unrolled: 1-line block ×4, first 2 shown]
	v_lshl_add_u64 v[28:29], v[28:29], 2, v[18:19]
	v_lshl_add_u64 v[30:31], v[30:31], 2, v[18:19]
	v_lshl_add_u64 v[32:33], v[32:33], 2, v[18:19]
	v_lshl_add_u64 v[34:35], v[34:35], 2, v[18:19]
	v_lshl_add_u64 v[38:39], v[38:39], 2, v[18:19]
	v_lshl_add_u64 v[40:41], v[40:41], 2, v[18:19]
	global_load_dword v54, v[26:27], off
	global_load_dword v55, v[28:29], off
	global_load_dword v58, v[30:31], off
	global_load_dword v68, v[32:33], off
	global_load_dword v69, v[34:35], off
	global_load_dword v70, v[36:37], off
	global_load_dword v71, v[38:39], off
	global_load_dword v72, v[40:41], off
	v_add_u32_e32 v26, s61, v93
	v_ashrrev_i32_e32 v27, 31, v26
	v_add_u32_e32 v28, s62, v93
	v_add_u32_e32 v30, s63, v93
	v_add_u32_e32 v32, s64, v93
	v_add_u32_e32 v34, s65, v93
	v_add_u32_e32 v36, s66, v93
	v_add_u32_e32 v38, s67, v93
	v_add_u32_e32 v40, s68, v93
	v_lshl_add_u64 v[26:27], v[26:27], 2, v[18:19]
	v_ashrrev_i32_e32 v29, 31, v28
	v_ashrrev_i32_e32 v31, 31, v30
	v_ashrrev_i32_e32 v33, 31, v32
	v_ashrrev_i32_e32 v35, 31, v34
	v_ashrrev_i32_e32 v37, 31, v36
	v_ashrrev_i32_e32 v39, 31, v38
	v_ashrrev_i32_e32 v41, 31, v40
	v_lshl_add_u64 v[28:29], v[28:29], 2, v[18:19]
	v_lshl_add_u64 v[30:31], v[30:31], 2, v[18:19]
	v_lshl_add_u64 v[32:33], v[32:33], 2, v[18:19]
	v_lshl_add_u64 v[34:35], v[34:35], 2, v[18:19]
	v_lshl_add_u64 v[36:37], v[36:37], 2, v[18:19]
	v_lshl_add_u64 v[38:39], v[38:39], 2, v[18:19]
	v_lshl_add_u64 v[40:41], v[40:41], 2, v[18:19]
	global_load_dword v73, v[26:27], off
	global_load_dword v74, v[28:29], off
	global_load_dword v75, v[30:31], off
	global_load_dword v76, v[32:33], off
	global_load_dword v77, v[34:35], off
	global_load_dword v78, v[36:37], off
	global_load_dword v79, v[38:39], off
	global_load_dword v80, v[40:41], off
	v_add_u32_e32 v26, s69, v93
	v_ashrrev_i32_e32 v27, 31, v26
	v_add_u32_e32 v28, s70, v93
	v_add_u32_e32 v30, s71, v93
	v_add_u32_e32 v32, s72, v93
	v_add_u32_e32 v34, s73, v93
	v_add_u32_e32 v36, s74, v93
	v_add_u32_e32 v38, s75, v93
	v_add_u32_e32 v40, s76, v93
	v_lshl_add_u64 v[26:27], v[26:27], 2, v[18:19]
	v_ashrrev_i32_e32 v29, 31, v28
	v_ashrrev_i32_e32 v31, 31, v30
	v_ashrrev_i32_e32 v33, 31, v32
	v_ashrrev_i32_e32 v35, 31, v34
	v_ashrrev_i32_e32 v37, 31, v36
	v_ashrrev_i32_e32 v39, 31, v38
	v_ashrrev_i32_e32 v41, 31, v40
	v_lshl_add_u64 v[28:29], v[28:29], 2, v[18:19]
	;; [unrolled: 32-line block ×3, first 2 shown]
	v_lshl_add_u64 v[30:31], v[30:31], 2, v[18:19]
	v_lshl_add_u64 v[32:33], v[32:33], 2, v[18:19]
	;; [unrolled: 1-line block ×6, first 2 shown]
	global_load_dword v89, v[26:27], off
	global_load_dword v97, v[28:29], off
	;; [unrolled: 1-line block ×8, first 2 shown]
	v_add_u32_e32 v26, s85, v93
	v_ashrrev_i32_e32 v27, 31, v26
	v_add_u32_e32 v28, s86, v93
	v_add_u32_e32 v30, s87, v93
	;; [unrolled: 1-line block ×5, first 2 shown]
	v_lshl_add_u64 v[26:27], v[26:27], 2, v[18:19]
	v_ashrrev_i32_e32 v29, 31, v28
	v_ashrrev_i32_e32 v31, 31, v30
	;; [unrolled: 1-line block ×5, first 2 shown]
	v_lshl_add_u64 v[28:29], v[28:29], 2, v[18:19]
	v_lshl_add_u64 v[30:31], v[30:31], 2, v[18:19]
	;; [unrolled: 1-line block ×5, first 2 shown]
	global_load_dword v104, v[26:27], off
	global_load_dword v105, v[28:29], off
	;; [unrolled: 1-line block ×6, first 2 shown]
	s_waitcnt vmcnt(55)
	ds_write_b32 v95, v59 offset:2176
	s_waitcnt vmcnt(54)
	ds_write_b32 v95, v60 offset:2440
	s_waitcnt vmcnt(53)
	ds_write_b32 v95, v61 offset:2704
	s_waitcnt vmcnt(52)
	ds_write_b32 v95, v62 offset:2968
	s_waitcnt vmcnt(51)
	ds_write_b32 v95, v63 offset:3232
	s_waitcnt vmcnt(50)
	ds_write_b32 v95, v64 offset:3496
	s_waitcnt vmcnt(49)
	ds_write_b32 v95, v65 offset:3760
	s_waitcnt vmcnt(48)
	ds_write_b32 v95, v66 offset:4024
	ds_read_b64 v[56:57], v96 offset:64
	ds_read_b64 v[48:49], v96 offset:96
	ds_read_b64 v[42:43], v96 offset:128
	ds_read_b64 v[38:39], v96 offset:160
	ds_read_b64 v[34:35], v96 offset:192
	ds_read_b64 v[30:31], v96 offset:224
	ds_read_b64 v[28:29], v96 offset:256
	ds_read_b64 v[26:27], v96 offset:288
	s_waitcnt vmcnt(47)
	ds_write_b32 v95, v67 offset:64
	s_waitcnt vmcnt(46)
	ds_write_b32 v95, v44 offset:328
	s_waitcnt vmcnt(45)
	ds_write_b32 v95, v22 offset:592
	s_waitcnt vmcnt(44)
	ds_write_b32 v95, v45 offset:856
	s_waitcnt vmcnt(43)
	ds_write_b32 v95, v46 offset:1120
	s_waitcnt vmcnt(42)
	ds_write_b32 v95, v47 offset:1384
	s_waitcnt vmcnt(41)
	ds_write_b32 v95, v50 offset:1648
	s_waitcnt vmcnt(40)
	ds_write_b32 v95, v51 offset:1912
	s_waitcnt vmcnt(39)
	ds_write_b32 v95, v52 offset:2176
	s_waitcnt vmcnt(38)
	ds_write_b32 v95, v53 offset:2440
	s_waitcnt vmcnt(37)
	ds_write_b32 v95, v54 offset:2704
	s_waitcnt vmcnt(36)
	ds_write_b32 v95, v55 offset:2968
	s_waitcnt vmcnt(35)
	ds_write_b32 v95, v58 offset:3232
	s_waitcnt vmcnt(34)
	ds_write_b32 v95, v68 offset:3496
	s_waitcnt vmcnt(33)
	ds_write_b32 v95, v69 offset:3760
	s_waitcnt vmcnt(32)
	ds_write_b32 v95, v70 offset:4024
	ds_read_b64 v[68:69], v96 offset:64
	ds_read_b64 v[64:65], v96 offset:96
	ds_read_b64 v[60:61], v96 offset:128
	ds_read_b64 v[52:53], v96 offset:160
	ds_read_b64 v[46:47], v96 offset:192
	ds_read_b64 v[40:41], v96 offset:224
	ds_read_b64 v[36:37], v96 offset:256
	ds_read_b64 v[32:33], v96 offset:288
	s_waitcnt vmcnt(31)
	ds_write_b32 v95, v71 offset:64
	s_waitcnt vmcnt(30)
	ds_write_b32 v95, v72 offset:328
	s_waitcnt vmcnt(29)
	ds_write_b32 v95, v73 offset:592
	s_waitcnt vmcnt(28)
	ds_write_b32 v95, v74 offset:856
	s_waitcnt vmcnt(27)
	ds_write_b32 v95, v75 offset:1120
	s_waitcnt vmcnt(26)
	ds_write_b32 v95, v76 offset:1384
	s_waitcnt vmcnt(25)
	ds_write_b32 v95, v77 offset:1648
	s_waitcnt vmcnt(24)
	ds_write_b32 v95, v78 offset:1912
	;; [unrolled: 40-line block ×3, first 2 shown]
	s_waitcnt vmcnt(7)
	ds_write_b32 v95, v102 offset:2176
	s_waitcnt vmcnt(6)
	ds_write_b32 v95, v103 offset:2440
	;; [unrolled: 2-line block ×8, first 2 shown]
	ds_read_b64 v[88:89], v96 offset:64
	ds_read_b64 v[86:87], v96 offset:96
	;; [unrolled: 1-line block ×8, first 2 shown]
	s_andn2_b64 vcc, exec, s[2:3]
	v_mov_b32_e32 v22, 0
	s_cbranch_vccnz .LBB88_28
; %bb.25:                               ;   in Loop: Header=BB88_24 Depth=1
	ds_read_b32 v22, v94
	s_waitcnt lgkmcnt(0)
	v_cmp_gt_i32_e32 vcc, 0, v22
	s_cbranch_vccnz .LBB88_27
; %bb.26:                               ;   in Loop: Header=BB88_24 Depth=1
	v_mul_lo_u32 v22, v22, s21
	v_add_u32_e32 v98, v93, v22
	v_ashrrev_i32_e32 v99, 31, v98
	v_lshl_add_u64 v[98:99], v[98:99], 2, v[20:21]
	global_load_dword v22, v[98:99], off
	s_branch .LBB88_28
.LBB88_27:                              ;   in Loop: Header=BB88_24 Depth=1
	v_mov_b32_e32 v22, 0
.LBB88_28:                              ;   in Loop: Header=BB88_24 Depth=1
	s_waitcnt vmcnt(0)
	ds_write_b32 v95, v22 offset:64
	v_mov_b32_e32 v22, 0
	s_andn2_b64 vcc, exec, s[0:1]
	v_mov_b32_e32 v97, 0
	s_cbranch_vccnz .LBB88_31
; %bb.29:                               ;   in Loop: Header=BB88_24 Depth=1
	ds_read_b32 v97, v94 offset:4
	s_waitcnt lgkmcnt(0)
	v_cmp_gt_i32_e32 vcc, 0, v97
	s_cbranch_vccnz .LBB88_34
; %bb.30:                               ;   in Loop: Header=BB88_24 Depth=1
	v_mul_lo_u32 v97, v97, s21
	v_add_u32_e32 v97, s16, v97
	v_add_u32_e32 v98, v97, v93
	v_ashrrev_i32_e32 v99, 31, v98
	v_lshl_add_u64 v[98:99], v[98:99], 2, v[20:21]
	global_load_dword v97, v[98:99], off
.LBB88_31:                              ;   in Loop: Header=BB88_24 Depth=1
	s_andn2_b64 vcc, exec, s[6:7]
	s_waitcnt vmcnt(0)
	ds_write_b32 v95, v97 offset:328
	s_cbranch_vccnz .LBB88_23
.LBB88_32:                              ;   in Loop: Header=BB88_24 Depth=1
	ds_read_b32 v22, v94 offset:8
	s_waitcnt lgkmcnt(0)
	v_cmp_gt_i32_e32 vcc, 0, v22
	s_cbranch_vccz .LBB88_22
; %bb.33:                               ;   in Loop: Header=BB88_24 Depth=1
	v_mov_b32_e32 v22, 0
	s_branch .LBB88_23
.LBB88_34:                              ;   in Loop: Header=BB88_24 Depth=1
	v_mov_b32_e32 v97, 0
	s_andn2_b64 vcc, exec, s[6:7]
	ds_write_b32 v95, v97 offset:328
	s_cbranch_vccnz .LBB88_23
	s_branch .LBB88_32
.LBB88_35:
	s_or_b64 exec, exec, s[14:15]
.LBB88_36:
	s_or_b64 exec, exec, s[18:19]
	v_mov_b32_e32 v18, 0x100
	v_lshl_add_u32 v18, v91, 2, v18
	v_mul_u32_u24_e32 v19, 0x508, v92
	v_and_b32_e32 v20, 0x3f0, v16
	v_add3_u32 v19, v18, v19, v20
	v_cmp_gt_u32_e32 vcc, 3, v17
	s_waitcnt lgkmcnt(0)
	s_barrier
	ds_write2_b32 v19, v8, v9 offset0:16 offset1:17
	ds_write2_b32 v19, v10, v11 offset0:18 offset1:19
	ds_write2_b32 v19, v4, v5 offset0:32 offset1:33
	ds_write2_b32 v19, v6, v7 offset0:34 offset1:35
	ds_write2_b32 v19, v0, v1 offset0:48 offset1:49
	ds_write2_b32 v19, v2, v3 offset0:50 offset1:51
	ds_write2_b32 v19, v12, v13 offset0:64 offset1:65
	ds_write2_b32 v19, v14, v15 offset0:66 offset1:67
	s_waitcnt lgkmcnt(0)
	s_barrier
	s_and_saveexec_b64 s[0:1], vcc
	s_cbranch_execz .LBB88_39
; %bb.37:
	s_movk_i32 s0, 0xff04
	v_mad_i32_i24 v0, v17, s0, v18
	ds_read_b32 v0, v0
	s_waitcnt lgkmcnt(0)
	v_cmp_lt_i32_e32 vcc, -1, v0
	s_and_b64 s[0:1], vcc, s[8:9]
	s_and_b64 exec, exec, s[0:1]
	s_cbranch_execz .LBB88_39
; %bb.38:
	v_lshlrev_b32_e32 v4, 2, v16
	s_movk_i32 s2, 0x100
	v_mul_u32_u24_e32 v5, 0x508, v17
	v_add3_u32 v8, s2, v4, v5
	ds_read2_b32 v[4:5], v8 offset0:16 offset1:80
	ds_read2_b32 v[6:7], v8 offset0:144 offset1:208
	s_mul_hi_i32 s1, s26, s4
	s_mul_i32 s0, s26, s4
	ds_read_b32 v8, v8 offset:1088
	s_lshl_b64 s[0:1], s[0:1], 2
	s_waitcnt lgkmcnt(2)
	v_add_f32_e32 v4, 0, v4
	v_mul_hi_i32 v3, v90, s17
	v_mul_lo_u32 v2, v90, s17
	s_add_u32 s0, s10, s0
	v_add_f32_e32 v4, v4, v5
	v_add_u32_e32 v1, s5, v16
	s_addc_u32 s1, s11, s1
	v_lshlrev_b64 v[2:3], 2, v[2:3]
	s_waitcnt lgkmcnt(1)
	v_add_f32_e32 v4, v4, v6
	v_mul_lo_u32 v0, v0, s22
	v_mul_lo_u32 v5, v17, s17
	v_lshl_add_u64 v[2:3], s[0:1], 0, v[2:3]
	v_add_f32_e32 v4, v4, v7
	v_add3_u32 v0, v1, v5, v0
	v_mov_b32_e32 v1, 0
	s_waitcnt lgkmcnt(0)
	v_add_f32_e32 v4, v4, v8
	v_lshl_add_u64 v[0:1], v[0:1], 2, v[2:3]
	global_store_dword v[0:1], v4, off
.LBB88_39:
	s_endpgm
	.section	.rodata,"a",@progbits
	.p2align	6, 0x0
	.amdhsa_kernel _ZL9mul_mat_fIfLi64ELi3ELi5ELb1EEvPKT_PKfPKiPfiiiiiiiiiiiiiiii
		.amdhsa_group_segment_fixed_size 256
		.amdhsa_private_segment_fixed_size 0
		.amdhsa_kernarg_size 352
		.amdhsa_user_sgpr_count 2
		.amdhsa_user_sgpr_dispatch_ptr 0
		.amdhsa_user_sgpr_queue_ptr 0
		.amdhsa_user_sgpr_kernarg_segment_ptr 1
		.amdhsa_user_sgpr_dispatch_id 0
		.amdhsa_user_sgpr_kernarg_preload_length 0
		.amdhsa_user_sgpr_kernarg_preload_offset 0
		.amdhsa_user_sgpr_private_segment_size 0
		.amdhsa_uses_dynamic_stack 0
		.amdhsa_enable_private_segment 0
		.amdhsa_system_sgpr_workgroup_id_x 1
		.amdhsa_system_sgpr_workgroup_id_y 1
		.amdhsa_system_sgpr_workgroup_id_z 1
		.amdhsa_system_sgpr_workgroup_info 0
		.amdhsa_system_vgpr_workitem_id 2
		.amdhsa_next_free_vgpr 110
		.amdhsa_next_free_sgpr 91
		.amdhsa_accum_offset 112
		.amdhsa_reserve_vcc 1
		.amdhsa_float_round_mode_32 0
		.amdhsa_float_round_mode_16_64 0
		.amdhsa_float_denorm_mode_32 3
		.amdhsa_float_denorm_mode_16_64 3
		.amdhsa_dx10_clamp 1
		.amdhsa_ieee_mode 1
		.amdhsa_fp16_overflow 0
		.amdhsa_tg_split 0
		.amdhsa_exception_fp_ieee_invalid_op 0
		.amdhsa_exception_fp_denorm_src 0
		.amdhsa_exception_fp_ieee_div_zero 0
		.amdhsa_exception_fp_ieee_overflow 0
		.amdhsa_exception_fp_ieee_underflow 0
		.amdhsa_exception_fp_ieee_inexact 0
		.amdhsa_exception_int_div_zero 0
	.end_amdhsa_kernel
	.section	.text._ZL9mul_mat_fIfLi64ELi3ELi5ELb1EEvPKT_PKfPKiPfiiiiiiiiiiiiiiii,"axG",@progbits,_ZL9mul_mat_fIfLi64ELi3ELi5ELb1EEvPKT_PKfPKiPfiiiiiiiiiiiiiiii,comdat
.Lfunc_end88:
	.size	_ZL9mul_mat_fIfLi64ELi3ELi5ELb1EEvPKT_PKfPKiPfiiiiiiiiiiiiiiii, .Lfunc_end88-_ZL9mul_mat_fIfLi64ELi3ELi5ELb1EEvPKT_PKfPKiPfiiiiiiiiiiiiiiii
                                        ; -- End function
	.set _ZL9mul_mat_fIfLi64ELi3ELi5ELb1EEvPKT_PKfPKiPfiiiiiiiiiiiiiiii.num_vgpr, 110
	.set _ZL9mul_mat_fIfLi64ELi3ELi5ELb1EEvPKT_PKfPKiPfiiiiiiiiiiiiiiii.num_agpr, 0
	.set _ZL9mul_mat_fIfLi64ELi3ELi5ELb1EEvPKT_PKfPKiPfiiiiiiiiiiiiiiii.numbered_sgpr, 91
	.set _ZL9mul_mat_fIfLi64ELi3ELi5ELb1EEvPKT_PKfPKiPfiiiiiiiiiiiiiiii.num_named_barrier, 0
	.set _ZL9mul_mat_fIfLi64ELi3ELi5ELb1EEvPKT_PKfPKiPfiiiiiiiiiiiiiiii.private_seg_size, 0
	.set _ZL9mul_mat_fIfLi64ELi3ELi5ELb1EEvPKT_PKfPKiPfiiiiiiiiiiiiiiii.uses_vcc, 1
	.set _ZL9mul_mat_fIfLi64ELi3ELi5ELb1EEvPKT_PKfPKiPfiiiiiiiiiiiiiiii.uses_flat_scratch, 0
	.set _ZL9mul_mat_fIfLi64ELi3ELi5ELb1EEvPKT_PKfPKiPfiiiiiiiiiiiiiiii.has_dyn_sized_stack, 0
	.set _ZL9mul_mat_fIfLi64ELi3ELi5ELb1EEvPKT_PKfPKiPfiiiiiiiiiiiiiiii.has_recursion, 0
	.set _ZL9mul_mat_fIfLi64ELi3ELi5ELb1EEvPKT_PKfPKiPfiiiiiiiiiiiiiiii.has_indirect_call, 0
	.section	.AMDGPU.csdata,"",@progbits
; Kernel info:
; codeLenInByte = 5672
; TotalNumSgprs: 97
; NumVgprs: 110
; NumAgprs: 0
; TotalNumVgprs: 110
; ScratchSize: 0
; MemoryBound: 0
; FloatMode: 240
; IeeeMode: 1
; LDSByteSize: 256 bytes/workgroup (compile time only)
; SGPRBlocks: 12
; VGPRBlocks: 13
; NumSGPRsForWavesPerEU: 97
; NumVGPRsForWavesPerEU: 110
; AccumOffset: 112
; Occupancy: 4
; WaveLimiterHint : 0
; COMPUTE_PGM_RSRC2:SCRATCH_EN: 0
; COMPUTE_PGM_RSRC2:USER_SGPR: 2
; COMPUTE_PGM_RSRC2:TRAP_HANDLER: 0
; COMPUTE_PGM_RSRC2:TGID_X_EN: 1
; COMPUTE_PGM_RSRC2:TGID_Y_EN: 1
; COMPUTE_PGM_RSRC2:TGID_Z_EN: 1
; COMPUTE_PGM_RSRC2:TIDIG_COMP_CNT: 2
; COMPUTE_PGM_RSRC3_GFX90A:ACCUM_OFFSET: 27
; COMPUTE_PGM_RSRC3_GFX90A:TG_SPLIT: 0
	.section	.text._ZL9mul_mat_fIfLi64ELi3ELi5ELb0EEvPKT_PKfPKiPfiiiiiiiiiiiiiiii,"axG",@progbits,_ZL9mul_mat_fIfLi64ELi3ELi5ELb0EEvPKT_PKfPKiPfiiiiiiiiiiiiiiii,comdat
	.globl	_ZL9mul_mat_fIfLi64ELi3ELi5ELb0EEvPKT_PKfPKiPfiiiiiiiiiiiiiiii ; -- Begin function _ZL9mul_mat_fIfLi64ELi3ELi5ELb0EEvPKT_PKfPKiPfiiiiiiiiiiiiiiii
	.p2align	8
	.type	_ZL9mul_mat_fIfLi64ELi3ELi5ELb0EEvPKT_PKfPKiPfiiiiiiiiiiiiiiii,@function
_ZL9mul_mat_fIfLi64ELi3ELi5ELb0EEvPKT_PKfPKiPfiiiiiiiiiiiiiiii: ; @_ZL9mul_mat_fIfLi64ELi3ELi5ELb0EEvPKT_PKfPKiPfiiiiiiiiiiiiiiii
; %bb.0:
	s_load_dword s5, s[0:1], 0x20
	s_load_dwordx4 s[16:19], s[0:1], 0x2c
	v_bfe_u32 v56, v0, 10, 10
	v_lshlrev_b32_e32 v58, 6, v56
	v_and_b32_e32 v57, 0x3ff, v0
	v_add_u32_e32 v60, v58, v57
	s_waitcnt lgkmcnt(0)
	s_ashr_i32 s19, s4, 31
	v_cmp_le_i32_e32 vcc, s5, v60
	v_and_b32_e32 v59, 15, v57
	s_and_saveexec_b64 s[6:7], vcc
	s_xor_b64 s[6:7], exec, s[6:7]
; %bb.1:
	v_and_b32_e32 v59, 15, v57
                                        ; implicit-def: $vgpr60
; %bb.2:
	s_or_saveexec_b64 s[24:25], s[6:7]
	s_load_dwordx8 s[8:15], s[0:1], 0x40
	s_load_dwordx2 s[6:7], s[0:1], 0x18
	v_mov_b32_e32 v15, 0
	s_lshl_b32 s2, s2, 6
	v_lshlrev_b32_e32 v16, 2, v57
	v_mov_b32_e32 v14, v15
	v_mov_b32_e32 v13, v15
	;; [unrolled: 1-line block ×15, first 2 shown]
	s_xor_b64 exec, exec, s[24:25]
	s_cbranch_execz .LBB89_6
; %bb.3:
	s_waitcnt lgkmcnt(0)
	s_abs_i32 s26, s8
	v_cvt_f32_u32_e32 v0, s26
	s_abs_i32 s27, s12
	v_cvt_f32_u32_e32 v1, s27
	s_sub_i32 s20, 0, s26
	v_rcp_iflag_f32_e32 v0, v0
	s_abs_i32 s28, s3
	v_rcp_iflag_f32_e32 v1, v1
	s_sub_i32 s21, 0, s27
	v_mul_f32_e32 v0, 0x4f7ffffe, v0
	v_cvt_u32_f32_e32 v0, v0
	v_mul_f32_e32 v1, 0x4f7ffffe, v1
	v_cvt_u32_f32_e32 v1, v1
	s_abs_i32 s29, s4
	v_mul_lo_u32 v2, s20, v0
	v_mul_hi_u32 v2, v0, v2
	v_add_u32_e32 v0, v0, v2
	v_mul_hi_u32 v0, s28, v0
	v_mul_lo_u32 v3, s21, v1
	v_mul_lo_u32 v2, v0, s26
	v_mul_hi_u32 v3, v1, v3
	v_sub_u32_e32 v2, s28, v2
	v_add_u32_e32 v1, v1, v3
	v_add_u32_e32 v3, 1, v0
	v_subrev_u32_e32 v4, s26, v2
	v_cmp_le_u32_e32 vcc, s26, v2
	s_load_dwordx4 s[20:23], s[0:1], 0x0
	s_ashr_i32 s0, s3, 31
	v_cndmask_b32_e32 v0, v0, v3, vcc
	v_cndmask_b32_e32 v2, v2, v4, vcc
	s_ashr_i32 s1, s8, 31
	v_add_u32_e32 v3, 1, v0
	v_cmp_le_u32_e32 vcc, s26, v2
	s_xor_b32 s0, s0, s1
	v_mul_hi_u32 v1, s29, v1
	v_cndmask_b32_e32 v0, v0, v3, vcc
	v_xor_b32_e32 v0, s0, v0
	v_subrev_u32_e32 v2, s0, v0
	v_mul_lo_u32 v0, v1, s27
	v_sub_u32_e32 v0, s29, v0
	v_add_u32_e32 v3, 1, v1
	v_subrev_u32_e32 v4, s27, v0
	v_cmp_le_u32_e32 vcc, s27, v0
	s_ashr_i32 s8, s12, 31
	s_xor_b32 s0, s19, s8
	v_cndmask_b32_e32 v1, v1, v3, vcc
	v_cndmask_b32_e32 v0, v0, v4, vcc
	v_add_u32_e32 v3, 1, v1
	v_cmp_le_u32_e32 vcc, s27, v0
	v_mul_lo_u32 v2, v2, s9
	s_mul_hi_i32 s9, s14, s4
	v_cndmask_b32_e32 v0, v1, v3, vcc
	s_mul_i32 s8, s14, s4
	v_xor_b32_e32 v0, s0, v0
	s_lshl_b64 s[8:9], s[8:9], 2
	v_subrev_u32_e32 v0, s0, v0
	s_mul_i32 s0, s16, s2
	s_mul_i32 s26, s10, s3
	s_waitcnt lgkmcnt(0)
	s_add_u32 s10, s22, s8
	v_mul_hi_i32 v1, v0, s13
	v_mul_lo_u32 v0, v0, s13
	s_addc_u32 s14, s23, s9
	s_ashr_i32 s1, s0, 31
	s_ashr_i32 s27, s26, 31
	v_ashrrev_i32_e32 v3, 31, v2
	v_lshlrev_b64 v[0:1], 2, v[0:1]
	s_lshl_b64 s[12:13], s[0:1], 2
	s_lshl_b64 s[66:67], s[26:27], 2
	v_lshl_add_u64 v[4:5], s[20:21], 0, v[0:1]
	v_lshlrev_b64 v[2:3], 2, v[2:3]
	s_add_u32 s0, s10, s66
	v_lshl_add_u64 v[4:5], v[4:5], 0, v[2:3]
	s_addc_u32 s1, s14, s67
	s_movk_i32 s10, 0x1080
	s_ashr_i32 s69, s16, 31
	s_mov_b32 s68, s16
	s_ashr_i32 s71, s17, 31
	s_mov_b32 s70, s17
	v_lshl_add_u64 v[18:19], v[4:5], 0, s[12:13]
	v_mad_u32_u24 v4, v56, s10, 0
	v_lshrrev_b32_e32 v6, 1, v57
	s_add_i32 s10, s16, s16
	s_add_i32 s14, s17, s17
	s_lshl_b32 s19, s16, 2
	s_lshl_b32 s29, s16, 3
	;; [unrolled: 1-line block ×4, first 2 shown]
	s_lshl_b64 s[72:73], s[68:69], 2
	s_lshl_b64 s[74:75], s[70:71], 2
	v_mul_u32_u24_e32 v5, 0x108, v59
	v_and_b32_e32 v6, 0x1f8, v6
	s_add_u32 s76, s22, s66
	v_mov_b32_e32 v17, 0
	v_add3_u32 v62, v4, v5, v6
	s_addc_u32 s77, s23, s67
	v_lshl_add_u64 v[2:3], s[20:21], 0, v[2:3]
	v_lshlrev_b32_e32 v6, 8, v56
	v_mov_b32_e32 v7, v17
	v_lshl_add_u64 v[2:3], v[2:3], 0, s[12:13]
	v_lshl_add_u64 v[8:9], s[8:9], 0, v[6:7]
	s_add_u32 s8, s76, s74
	v_add_u32_e32 v61, v4, v16
	v_lshl_add_u64 v[4:5], v[2:3], 0, s[72:73]
	s_addc_u32 s9, s77, s75
	v_lshl_add_u64 v[0:1], v[0:1], 0, v[6:7]
	s_mul_i32 s17, s16, 3
	s_mul_i32 s26, s16, 5
	;; [unrolled: 1-line block ×49, first 2 shown]
	v_lshl_add_u64 v[20:21], s[8:9], 0, v[8:9]
	s_mul_i32 s74, s16, 56
	s_mul_i32 s75, s16, 57
	v_lshl_add_u64 v[22:23], s[76:77], 0, v[8:9]
	s_mul_i32 s76, s16, 58
	s_mul_i32 s77, s16, 59
	v_lshl_add_u64 v[24:25], v[4:5], 0, v[0:1]
	v_lshl_add_u64 v[26:27], v[2:3], 0, v[0:1]
	v_mov_b32_e32 v0, v17
	v_mov_b32_e32 v1, v17
	;; [unrolled: 1-line block ×15, first 2 shown]
	s_mul_i32 s78, s16, 60
	s_mul_i32 s79, s16, 61
	s_mul_i32 s80, s16, 62
	s_mul_i32 s16, s16, 63
	s_mov_b64 s[8:9], 0
	s_mov_b64 s[12:13], 0x500
.LBB89_4:                               ; =>This Inner Loop Header: Depth=1
	v_add_u32_e32 v42, s10, v60
	v_add_u32_e32 v38, s19, v60
	;; [unrolled: 1-line block ×14, first 2 shown]
	v_ashrrev_i32_e32 v43, 31, v42
	v_ashrrev_i32_e32 v39, 31, v38
	;; [unrolled: 1-line block ×8, first 2 shown]
	v_lshl_add_u64 v[52:53], v[26:27], 0, v[16:17]
	v_lshl_add_u64 v[54:55], v[24:25], 0, v[16:17]
	;; [unrolled: 1-line block ×3, first 2 shown]
	v_add_u32_e32 v72, s38, v60
	v_add_u32_e32 v74, s39, v60
	v_ashrrev_i32_e32 v51, 31, v50
	v_lshl_add_u64 v[42:43], v[42:43], 2, v[18:19]
	v_ashrrev_i32_e32 v49, 31, v48
	v_lshl_add_u64 v[38:39], v[38:39], 2, v[18:19]
	;; [unrolled: 2-line block ×4, first 2 shown]
	v_lshl_add_u64 v[30:31], v[30:31], 2, v[18:19]
	v_lshl_add_u64 v[40:41], v[40:41], 2, v[18:19]
	;; [unrolled: 1-line block ×4, first 2 shown]
	v_ashrrev_i32_e32 v69, 31, v68
	v_ashrrev_i32_e32 v71, 31, v70
	v_lshl_add_u64 v[66:67], v[20:21], 0, v[16:17]
	v_add_u32_e32 v76, s40, v60
	v_add_u32_e32 v78, s41, v60
	global_load_dword v63, v[52:53], off
	s_nop 0
	global_load_dword v54, v[54:55], off
	s_nop 0
	global_load_dword v52, v[64:65], off
	global_load_dword v53, v[66:67], off
	v_lshl_add_u64 v[50:51], v[50:51], 2, v[18:19]
	global_load_dword v42, v[42:43], off
	s_nop 0
	global_load_dword v43, v[50:51], off
	v_lshl_add_u64 v[48:49], v[48:49], 2, v[18:19]
	global_load_dword v38, v[38:39], off
	s_nop 0
	;; [unrolled: 4-line block ×4, first 2 shown]
	global_load_dword v33, v[44:45], off
	s_nop 0
	global_load_dword v30, v[30:31], off
	s_nop 0
	;; [unrolled: 2-line block ×4, first 2 shown]
	global_load_dword v29, v[36:37], off
	v_lshl_add_u64 v[36:37], v[68:69], 2, v[18:19]
	v_lshl_add_u64 v[40:41], v[70:71], 2, v[18:19]
	v_ashrrev_i32_e32 v73, 31, v72
	v_ashrrev_i32_e32 v75, 31, v74
	v_add_u32_e32 v80, s42, v60
	v_add_u32_e32 v82, s43, v60
	global_load_dword v36, v[36:37], off
	s_nop 0
	global_load_dword v37, v[40:41], off
	v_lshl_add_u64 v[40:41], v[72:73], 2, v[18:19]
	v_lshl_add_u64 v[44:45], v[74:75], 2, v[18:19]
	v_ashrrev_i32_e32 v77, 31, v76
	v_ashrrev_i32_e32 v79, 31, v78
	v_add_u32_e32 v84, s44, v60
	v_add_u32_e32 v86, s45, v60
	global_load_dword v40, v[40:41], off
	s_nop 0
	global_load_dword v41, v[44:45], off
	v_lshl_add_u64 v[44:45], v[76:77], 2, v[18:19]
	v_lshl_add_u64 v[46:47], v[78:79], 2, v[18:19]
	v_ashrrev_i32_e32 v81, 31, v80
	v_ashrrev_i32_e32 v83, 31, v82
	v_add_u32_e32 v88, s46, v60
	v_add_u32_e32 v64, s48, v60
	;; [unrolled: 1-line block ×4, first 2 shown]
	global_load_dword v44, v[44:45], off
	s_nop 0
	global_load_dword v45, v[46:47], off
	v_lshl_add_u64 v[46:47], v[80:81], 2, v[18:19]
	v_lshl_add_u64 v[48:49], v[82:83], 2, v[18:19]
	v_ashrrev_i32_e32 v85, 31, v84
	v_ashrrev_i32_e32 v87, 31, v86
	v_add_u32_e32 v90, s47, v60
	v_add_u32_e32 v66, s49, v60
	;; [unrolled: 1-line block ×4, first 2 shown]
	global_load_dword v46, v[46:47], off
	s_nop 0
	global_load_dword v47, v[48:49], off
	v_lshl_add_u64 v[48:49], v[84:85], 2, v[18:19]
	v_lshl_add_u64 v[50:51], v[86:87], 2, v[18:19]
	v_ashrrev_i32_e32 v89, 31, v88
	v_ashrrev_i32_e32 v65, 31, v64
	;; [unrolled: 1-line block ×4, first 2 shown]
	v_add_u32_e32 v100, s54, v60
	v_add_u32_e32 v68, s55, v60
	v_add_u32_e32 v70, s56, v60
	v_add_u32_e32 v72, s57, v60
	global_load_dword v48, v[48:49], off
	s_nop 0
	global_load_dword v49, v[50:51], off
	v_ashrrev_i32_e32 v91, 31, v90
	v_lshl_add_u64 v[50:51], v[88:89], 2, v[18:19]
	v_ashrrev_i32_e32 v67, 31, v66
	v_lshl_add_u64 v[64:65], v[64:65], 2, v[18:19]
	v_lshl_add_u64 v[80:81], v[92:93], 2, v[18:19]
	;; [unrolled: 1-line block ×3, first 2 shown]
	v_ashrrev_i32_e32 v97, 31, v96
	v_ashrrev_i32_e32 v99, 31, v98
	v_add_u32_e32 v74, s58, v60
	v_add_u32_e32 v76, s59, v60
	v_lshl_add_u64 v[78:79], v[90:91], 2, v[18:19]
	global_load_dword v50, v[50:51], off
	s_nop 0
	global_load_dword v51, v[78:79], off
	v_lshl_add_u64 v[66:67], v[66:67], 2, v[18:19]
	global_load_dword v55, v[64:65], off
	s_nop 0
	global_load_dword v64, v[66:67], off
	global_load_dword v65, v[80:81], off
	;; [unrolled: 1-line block ×3, first 2 shown]
	v_lshl_add_u64 v[82:83], v[96:97], 2, v[18:19]
	v_lshl_add_u64 v[84:85], v[98:99], 2, v[18:19]
	v_ashrrev_i32_e32 v101, 31, v100
	v_ashrrev_i32_e32 v69, 31, v68
	;; [unrolled: 1-line block ×4, first 2 shown]
	v_add_u32_e32 v78, s60, v60
	v_add_u32_e32 v66, s61, v60
	global_load_dword v87, v[82:83], off
	global_load_dword v88, v[84:85], off
	v_lshl_add_u64 v[84:85], v[100:101], 2, v[18:19]
	v_lshl_add_u64 v[68:69], v[68:69], 2, v[18:19]
	;; [unrolled: 1-line block ×4, first 2 shown]
	v_ashrrev_i32_e32 v75, 31, v74
	v_ashrrev_i32_e32 v77, 31, v76
	v_add_u32_e32 v80, s62, v60
	v_add_u32_e32 v82, s63, v60
	global_load_dword v84, v[84:85], off
	s_nop 0
	global_load_dword v85, v[68:69], off
	v_add_u32_e32 v68, s64, v60
	global_load_dword v89, v[70:71], off
	global_load_dword v90, v[72:73], off
	v_lshl_add_u64 v[72:73], v[74:75], 2, v[18:19]
	v_lshl_add_u64 v[74:75], v[76:77], 2, v[18:19]
	v_ashrrev_i32_e32 v79, 31, v78
	v_ashrrev_i32_e32 v67, 31, v66
	v_add_u32_e32 v70, s65, v60
	global_load_dword v91, v[72:73], off
	global_load_dword v92, v[74:75], off
	v_lshl_add_u64 v[74:75], v[78:79], 2, v[18:19]
	v_lshl_add_u64 v[66:67], v[66:67], 2, v[18:19]
	v_ashrrev_i32_e32 v81, 31, v80
	v_ashrrev_i32_e32 v83, 31, v82
	;; [unrolled: 1-line block ×3, first 2 shown]
	v_add_u32_e32 v72, s22, v60
	global_load_dword v78, v[74:75], off
	global_load_dword v79, v[66:67], off
	v_add_u32_e32 v66, s23, v60
	v_lshl_add_u64 v[74:75], v[80:81], 2, v[18:19]
	v_lshl_add_u64 v[76:77], v[82:83], 2, v[18:19]
	v_ashrrev_i32_e32 v71, 31, v70
	v_lshl_add_u64 v[68:69], v[68:69], 2, v[18:19]
	global_load_dword v80, v[74:75], off
	s_nop 0
	global_load_dword v76, v[76:77], off
	v_add_u32_e32 v74, s20, v60
	v_lshl_add_u64 v[70:71], v[70:71], 2, v[18:19]
	global_load_dword v77, v[68:69], off
	global_load_dword v81, v[70:71], off
	v_add_u32_e32 v68, s21, v60
	v_ashrrev_i32_e32 v73, 31, v72
	v_ashrrev_i32_e32 v67, 31, v66
	v_lshl_add_u64 v[70:71], v[72:73], 2, v[18:19]
	v_lshl_add_u64 v[66:67], v[66:67], 2, v[18:19]
	v_ashrrev_i32_e32 v75, 31, v74
	v_ashrrev_i32_e32 v69, 31, v68
	global_load_dword v72, v[70:71], off
	global_load_dword v73, v[66:67], off
	v_add_u32_e32 v66, s66, v60
	v_lshl_add_u64 v[70:71], v[74:75], 2, v[18:19]
	v_lshl_add_u64 v[68:69], v[68:69], 2, v[18:19]
	global_load_dword v74, v[70:71], off
	global_load_dword v75, v[68:69], off
	v_add_u32_e32 v68, s67, v60
	v_ashrrev_i32_e32 v67, 31, v66
	v_ashrrev_i32_e32 v69, 31, v68
	v_lshl_add_u64 v[66:67], v[66:67], 2, v[18:19]
	v_lshl_add_u64 v[68:69], v[68:69], 2, v[18:19]
	global_load_dword v93, v[66:67], off
	global_load_dword v94, v[68:69], off
	v_add_u32_e32 v66, s68, v60
	v_ashrrev_i32_e32 v67, 31, v66
	v_lshl_add_u64 v[66:67], v[66:67], 2, v[18:19]
	global_load_dword v95, v[66:67], off
	v_add_u32_e32 v66, s69, v60
	v_ashrrev_i32_e32 v67, 31, v66
	v_lshl_add_u64 v[66:67], v[66:67], 2, v[18:19]
	;; [unrolled: 4-line block ×15, first 2 shown]
	global_load_dword v109, v[66:67], off
	s_waitcnt vmcnt(62)
	ds_write_b32 v61, v63
	ds_write_b32 v61, v54 offset:264
	ds_write_b32 v61, v42 offset:528
	s_waitcnt vmcnt(61)
	ds_write_b32 v61, v43 offset:792
	s_waitcnt vmcnt(60)
	ds_write_b32 v61, v38 offset:1056
	s_waitcnt vmcnt(59)
	ds_write_b32 v61, v39 offset:1320
	s_waitcnt vmcnt(58)
	ds_write_b32 v61, v34 offset:1584
	s_waitcnt vmcnt(57)
	ds_write_b32 v61, v35 offset:1848
	s_waitcnt vmcnt(56)
	ds_write_b32 v61, v32 offset:2112
	s_waitcnt vmcnt(55)
	ds_write_b32 v61, v33 offset:2376
	s_waitcnt vmcnt(54)
	ds_write_b32 v61, v30 offset:2640
	s_waitcnt vmcnt(53)
	ds_write_b32 v61, v31 offset:2904
	s_waitcnt vmcnt(52)
	ds_write_b32 v61, v28 offset:3168
	s_waitcnt vmcnt(51)
	ds_write_b32 v61, v29 offset:3432
	s_waitcnt vmcnt(50)
	ds_write_b32 v61, v36 offset:3696
	s_waitcnt vmcnt(49)
	ds_write_b32 v61, v37 offset:3960
	ds_read_b64 v[38:39], v62
	ds_read_b64 v[42:43], v62 offset:32
	ds_read_b64 v[66:67], v62 offset:64
	ds_read_b64 v[68:69], v62 offset:96
	ds_read_b64 v[70:71], v62 offset:128
	ds_read_b64 v[36:37], v62 offset:160
	ds_read_b64 v[32:33], v62 offset:192
	ds_read_b64 v[28:29], v62 offset:224
	s_waitcnt vmcnt(48)
	ds_write_b32 v61, v40
	s_waitcnt vmcnt(47)
	ds_write_b32 v61, v41 offset:264
	s_waitcnt vmcnt(46)
	ds_write_b32 v61, v44 offset:528
	s_waitcnt vmcnt(45)
	ds_write_b32 v61, v45 offset:792
	s_waitcnt vmcnt(44)
	ds_write_b32 v61, v46 offset:1056
	s_waitcnt vmcnt(43)
	ds_write_b32 v61, v47 offset:1320
	s_waitcnt vmcnt(42)
	ds_write_b32 v61, v48 offset:1584
	s_waitcnt vmcnt(41)
	ds_write_b32 v61, v49 offset:1848
	s_waitcnt vmcnt(40)
	ds_write_b32 v61, v50 offset:2112
	s_waitcnt vmcnt(39)
	ds_write_b32 v61, v51 offset:2376
	s_waitcnt vmcnt(38)
	ds_write_b32 v61, v55 offset:2640
	s_waitcnt vmcnt(37)
	ds_write_b32 v61, v64 offset:2904
	s_waitcnt vmcnt(36)
	ds_write_b32 v61, v65 offset:3168
	s_waitcnt vmcnt(35)
	ds_write_b32 v61, v86 offset:3432
	s_waitcnt vmcnt(34)
	ds_write_b32 v61, v87 offset:3696
	s_waitcnt vmcnt(33)
	ds_write_b32 v61, v88 offset:3960
	ds_read_b64 v[40:41], v62
	ds_read_b64 v[44:45], v62 offset:32
	ds_read_b64 v[46:47], v62 offset:64
	ds_read_b64 v[48:49], v62 offset:96
	ds_read_b64 v[50:51], v62 offset:128
	ds_read_b64 v[54:55], v62 offset:160
	ds_read_b64 v[64:65], v62 offset:192
	ds_read_b64 v[30:31], v62 offset:224
	s_waitcnt vmcnt(32)
	ds_write_b32 v61, v84
	s_waitcnt vmcnt(31)
	ds_write_b32 v61, v85 offset:264
	s_waitcnt vmcnt(30)
	;; [unrolled: 40-line block ×3, first 2 shown]
	ds_write_b32 v61, v95 offset:528
	s_waitcnt vmcnt(13)
	ds_write_b32 v61, v96 offset:792
	s_waitcnt vmcnt(12)
	ds_write_b32 v61, v97 offset:1056
	s_waitcnt vmcnt(11)
	ds_write_b32 v61, v98 offset:1320
	s_waitcnt vmcnt(10)
	ds_write_b32 v61, v99 offset:1584
	s_waitcnt vmcnt(9)
	ds_write_b32 v61, v100 offset:1848
	s_waitcnt vmcnt(8)
	ds_write_b32 v61, v101 offset:2112
	s_waitcnt vmcnt(7)
	ds_write_b32 v61, v102 offset:2376
	s_waitcnt vmcnt(6)
	ds_write_b32 v61, v103 offset:2640
	s_waitcnt vmcnt(5)
	ds_write_b32 v61, v104 offset:2904
	s_waitcnt vmcnt(4)
	ds_write_b32 v61, v105 offset:3168
	s_waitcnt vmcnt(3)
	ds_write_b32 v61, v106 offset:3432
	s_waitcnt vmcnt(2)
	ds_write_b32 v61, v107 offset:3696
	s_waitcnt vmcnt(1)
	ds_write_b32 v61, v108 offset:3960
	ds_read_b64 v[86:87], v62
	ds_read_b64 v[88:89], v62 offset:32
	ds_read_b64 v[90:91], v62 offset:64
	;; [unrolled: 1-line block ×7, first 2 shown]
	ds_write_b32 v61, v52
	ds_write_b32 v61, v53 offset:264
	s_waitcnt vmcnt(0)
	ds_write_b32 v61, v109 offset:528
	ds_write_b32 v61, v17 offset:792
	;; [unrolled: 1-line block ×14, first 2 shown]
	ds_read_b64 v[52:53], v62
	s_waitcnt lgkmcnt(0)
	v_mfma_f32_16x16x4_f32 v[12:15], v38, v52, v[12:15]
	v_add_u32_e32 v60, 0x140, v60
	v_cmp_le_i32_e32 vcc, s5, v60
	v_lshl_add_u64 v[24:25], v[24:25], 0, s[12:13]
	v_lshl_add_u64 v[26:27], v[26:27], 0, s[12:13]
	;; [unrolled: 1-line block ×3, first 2 shown]
	s_or_b64 s[8:9], vcc, s[8:9]
	v_lshl_add_u64 v[22:23], v[22:23], 0, s[12:13]
	v_mfma_f32_16x16x4_f32 v[8:11], v40, v52, v[8:11]
	v_mfma_f32_16x16x4_f32 v[4:7], v72, v52, v[4:7]
	v_mfma_f32_16x16x4_f32 v[0:3], v86, v52, v[0:3]
	v_mfma_f32_16x16x4_f32 v[12:15], v39, v53, v[12:15]
	ds_read_b64 v[38:39], v62 offset:32
	v_mfma_f32_16x16x4_f32 v[8:11], v41, v53, v[8:11]
	v_mfma_f32_16x16x4_f32 v[4:7], v73, v53, v[4:7]
	;; [unrolled: 1-line block ×3, first 2 shown]
	s_waitcnt lgkmcnt(0)
	v_mfma_f32_16x16x4_f32 v[12:15], v42, v38, v[12:15]
	v_mfma_f32_16x16x4_f32 v[8:11], v44, v38, v[8:11]
	v_mfma_f32_16x16x4_f32 v[4:7], v74, v38, v[4:7]
	v_mfma_f32_16x16x4_f32 v[0:3], v88, v38, v[0:3]
	v_mfma_f32_16x16x4_f32 v[12:15], v43, v39, v[12:15]
	v_mfma_f32_16x16x4_f32 v[8:11], v45, v39, v[8:11]
	v_mfma_f32_16x16x4_f32 v[4:7], v75, v39, v[4:7]
	v_mfma_f32_16x16x4_f32 v[0:3], v89, v39, v[0:3]
	ds_read_b64 v[38:39], v62 offset:64
	s_waitcnt lgkmcnt(0)
	v_mfma_f32_16x16x4_f32 v[12:15], v66, v38, v[12:15]
	v_mfma_f32_16x16x4_f32 v[8:11], v46, v38, v[8:11]
	v_mfma_f32_16x16x4_f32 v[4:7], v76, v38, v[4:7]
	v_mfma_f32_16x16x4_f32 v[0:3], v90, v38, v[0:3]
	v_mfma_f32_16x16x4_f32 v[12:15], v67, v39, v[12:15]
	v_mfma_f32_16x16x4_f32 v[8:11], v47, v39, v[8:11]
	v_mfma_f32_16x16x4_f32 v[4:7], v77, v39, v[4:7]
	v_mfma_f32_16x16x4_f32 v[0:3], v91, v39, v[0:3]
	ds_read_b64 v[38:39], v62 offset:96
	;; [unrolled: 10-line block ×4, first 2 shown]
	s_waitcnt lgkmcnt(0)
	v_mfma_f32_16x16x4_f32 v[12:15], v36, v38, v[12:15]
	v_mfma_f32_16x16x4_f32 v[8:11], v54, v38, v[8:11]
	;; [unrolled: 1-line block ×5, first 2 shown]
	ds_read_b64 v[36:37], v62 offset:192
	v_mfma_f32_16x16x4_f32 v[8:11], v55, v39, v[8:11]
	v_mfma_f32_16x16x4_f32 v[4:7], v83, v39, v[4:7]
	;; [unrolled: 1-line block ×3, first 2 shown]
	s_waitcnt lgkmcnt(0)
	v_mfma_f32_16x16x4_f32 v[12:15], v32, v36, v[12:15]
	v_mfma_f32_16x16x4_f32 v[8:11], v64, v36, v[8:11]
	;; [unrolled: 1-line block ×5, first 2 shown]
	ds_read_b64 v[32:33], v62 offset:224
	v_mfma_f32_16x16x4_f32 v[8:11], v65, v37, v[8:11]
	v_mfma_f32_16x16x4_f32 v[4:7], v85, v37, v[4:7]
	;; [unrolled: 1-line block ×3, first 2 shown]
	s_waitcnt lgkmcnt(0)
	v_mfma_f32_16x16x4_f32 v[12:15], v28, v32, v[12:15]
	v_mfma_f32_16x16x4_f32 v[8:11], v30, v32, v[8:11]
	;; [unrolled: 1-line block ×8, first 2 shown]
	s_andn2_b64 exec, exec, s[8:9]
	s_cbranch_execnz .LBB89_4
; %bb.5:
	s_or_b64 exec, exec, s[8:9]
.LBB89_6:
	s_or_b64 exec, exec, s[24:25]
	v_lshl_add_u32 v17, v58, 2, 0
	v_mul_u32_u24_e32 v18, 0x508, v59
	v_and_b32_e32 v19, 0x3f0, v57
	v_add3_u32 v17, v17, v18, v19
	v_cmp_gt_u32_e32 vcc, 3, v56
	s_waitcnt lgkmcnt(0)
	s_barrier
	ds_write2_b32 v17, v12, v13 offset1:1
	ds_write2_b32 v17, v14, v15 offset0:2 offset1:3
	ds_write2_b32 v17, v8, v9 offset0:16 offset1:17
	;; [unrolled: 1-line block ×7, first 2 shown]
	s_waitcnt lgkmcnt(0)
	s_barrier
	s_and_saveexec_b64 s[0:1], vcc
	s_cbranch_execz .LBB89_8
; %bb.7:
	v_mul_u32_u24_e32 v0, 0x508, v56
	v_add3_u32 v4, 0, v16, v0
	ds_read2st64_b32 v[0:1], v4 offset1:1
	ds_read2st64_b32 v[2:3], v4 offset0:2 offset1:3
	s_mul_hi_i32 s1, s15, s4
	s_mul_i32 s0, s15, s4
	ds_read_b32 v4, v4 offset:1024
	s_lshl_b64 s[0:1], s[0:1], 2
	s_waitcnt lgkmcnt(2)
	v_add_f32_e32 v0, 0, v0
	s_mul_i32 s4, s11, s3
	s_add_u32 s3, s6, s0
	v_add_f32_e32 v0, v0, v1
	s_addc_u32 s6, s7, s1
	s_ashr_i32 s5, s4, 31
	s_waitcnt lgkmcnt(1)
	v_add_f32_e32 v0, v0, v2
	s_lshl_b64 s[0:1], s[4:5], 2
	v_add_f32_e32 v0, v0, v3
	s_add_u32 s0, s3, s0
	s_waitcnt lgkmcnt(0)
	v_add_f32_e32 v2, v0, v4
	v_mul_lo_u32 v0, v56, s18
	s_addc_u32 s1, s6, s1
	v_add3_u32 v0, s2, v57, v0
	v_mov_b32_e32 v1, 0
	v_lshl_add_u64 v[0:1], v[0:1], 2, s[0:1]
	global_store_dword v[0:1], v2, off
.LBB89_8:
	s_endpgm
	.section	.rodata,"a",@progbits
	.p2align	6, 0x0
	.amdhsa_kernel _ZL9mul_mat_fIfLi64ELi3ELi5ELb0EEvPKT_PKfPKiPfiiiiiiiiiiiiiiii
		.amdhsa_group_segment_fixed_size 0
		.amdhsa_private_segment_fixed_size 0
		.amdhsa_kernarg_size 96
		.amdhsa_user_sgpr_count 2
		.amdhsa_user_sgpr_dispatch_ptr 0
		.amdhsa_user_sgpr_queue_ptr 0
		.amdhsa_user_sgpr_kernarg_segment_ptr 1
		.amdhsa_user_sgpr_dispatch_id 0
		.amdhsa_user_sgpr_kernarg_preload_length 0
		.amdhsa_user_sgpr_kernarg_preload_offset 0
		.amdhsa_user_sgpr_private_segment_size 0
		.amdhsa_uses_dynamic_stack 0
		.amdhsa_enable_private_segment 0
		.amdhsa_system_sgpr_workgroup_id_x 1
		.amdhsa_system_sgpr_workgroup_id_y 1
		.amdhsa_system_sgpr_workgroup_id_z 1
		.amdhsa_system_sgpr_workgroup_info 0
		.amdhsa_system_vgpr_workitem_id 1
		.amdhsa_next_free_vgpr 110
		.amdhsa_next_free_sgpr 81
		.amdhsa_accum_offset 112
		.amdhsa_reserve_vcc 1
		.amdhsa_float_round_mode_32 0
		.amdhsa_float_round_mode_16_64 0
		.amdhsa_float_denorm_mode_32 3
		.amdhsa_float_denorm_mode_16_64 3
		.amdhsa_dx10_clamp 1
		.amdhsa_ieee_mode 1
		.amdhsa_fp16_overflow 0
		.amdhsa_tg_split 0
		.amdhsa_exception_fp_ieee_invalid_op 0
		.amdhsa_exception_fp_denorm_src 0
		.amdhsa_exception_fp_ieee_div_zero 0
		.amdhsa_exception_fp_ieee_overflow 0
		.amdhsa_exception_fp_ieee_underflow 0
		.amdhsa_exception_fp_ieee_inexact 0
		.amdhsa_exception_int_div_zero 0
	.end_amdhsa_kernel
	.section	.text._ZL9mul_mat_fIfLi64ELi3ELi5ELb0EEvPKT_PKfPKiPfiiiiiiiiiiiiiiii,"axG",@progbits,_ZL9mul_mat_fIfLi64ELi3ELi5ELb0EEvPKT_PKfPKiPfiiiiiiiiiiiiiiii,comdat
.Lfunc_end89:
	.size	_ZL9mul_mat_fIfLi64ELi3ELi5ELb0EEvPKT_PKfPKiPfiiiiiiiiiiiiiiii, .Lfunc_end89-_ZL9mul_mat_fIfLi64ELi3ELi5ELb0EEvPKT_PKfPKiPfiiiiiiiiiiiiiiii
                                        ; -- End function
	.set _ZL9mul_mat_fIfLi64ELi3ELi5ELb0EEvPKT_PKfPKiPfiiiiiiiiiiiiiiii.num_vgpr, 110
	.set _ZL9mul_mat_fIfLi64ELi3ELi5ELb0EEvPKT_PKfPKiPfiiiiiiiiiiiiiiii.num_agpr, 0
	.set _ZL9mul_mat_fIfLi64ELi3ELi5ELb0EEvPKT_PKfPKiPfiiiiiiiiiiiiiiii.numbered_sgpr, 81
	.set _ZL9mul_mat_fIfLi64ELi3ELi5ELb0EEvPKT_PKfPKiPfiiiiiiiiiiiiiiii.num_named_barrier, 0
	.set _ZL9mul_mat_fIfLi64ELi3ELi5ELb0EEvPKT_PKfPKiPfiiiiiiiiiiiiiiii.private_seg_size, 0
	.set _ZL9mul_mat_fIfLi64ELi3ELi5ELb0EEvPKT_PKfPKiPfiiiiiiiiiiiiiiii.uses_vcc, 1
	.set _ZL9mul_mat_fIfLi64ELi3ELi5ELb0EEvPKT_PKfPKiPfiiiiiiiiiiiiiiii.uses_flat_scratch, 0
	.set _ZL9mul_mat_fIfLi64ELi3ELi5ELb0EEvPKT_PKfPKiPfiiiiiiiiiiiiiiii.has_dyn_sized_stack, 0
	.set _ZL9mul_mat_fIfLi64ELi3ELi5ELb0EEvPKT_PKfPKiPfiiiiiiiiiiiiiiii.has_recursion, 0
	.set _ZL9mul_mat_fIfLi64ELi3ELi5ELb0EEvPKT_PKfPKiPfiiiiiiiiiiiiiiii.has_indirect_call, 0
	.section	.AMDGPU.csdata,"",@progbits
; Kernel info:
; codeLenInByte = 4788
; TotalNumSgprs: 87
; NumVgprs: 110
; NumAgprs: 0
; TotalNumVgprs: 110
; ScratchSize: 0
; MemoryBound: 0
; FloatMode: 240
; IeeeMode: 1
; LDSByteSize: 0 bytes/workgroup (compile time only)
; SGPRBlocks: 10
; VGPRBlocks: 13
; NumSGPRsForWavesPerEU: 87
; NumVGPRsForWavesPerEU: 110
; AccumOffset: 112
; Occupancy: 4
; WaveLimiterHint : 0
; COMPUTE_PGM_RSRC2:SCRATCH_EN: 0
; COMPUTE_PGM_RSRC2:USER_SGPR: 2
; COMPUTE_PGM_RSRC2:TRAP_HANDLER: 0
; COMPUTE_PGM_RSRC2:TGID_X_EN: 1
; COMPUTE_PGM_RSRC2:TGID_Y_EN: 1
; COMPUTE_PGM_RSRC2:TGID_Z_EN: 1
; COMPUTE_PGM_RSRC2:TIDIG_COMP_CNT: 1
; COMPUTE_PGM_RSRC3_GFX90A:ACCUM_OFFSET: 27
; COMPUTE_PGM_RSRC3_GFX90A:TG_SPLIT: 0
	.section	.text._ZL13mul_mat_f_idsIfLi64ELi3ELi6EEvPKT_PKfPKiS6_S6_Pfiiiiiiiiiiiiii15HIP_vector_typeIjLj3EES9_,"axG",@progbits,_ZL13mul_mat_f_idsIfLi64ELi3ELi6EEvPKT_PKfPKiS6_S6_Pfiiiiiiiiiiiiii15HIP_vector_typeIjLj3EES9_,comdat
	.globl	_ZL13mul_mat_f_idsIfLi64ELi3ELi6EEvPKT_PKfPKiS6_S6_Pfiiiiiiiiiiiiii15HIP_vector_typeIjLj3EES9_ ; -- Begin function _ZL13mul_mat_f_idsIfLi64ELi3ELi6EEvPKT_PKfPKiS6_S6_Pfiiiiiiiiiiiiii15HIP_vector_typeIjLj3EES9_
	.p2align	8
	.type	_ZL13mul_mat_f_idsIfLi64ELi3ELi6EEvPKT_PKfPKiS6_S6_Pfiiiiiiiiiiiiii15HIP_vector_typeIjLj3EES9_,@function
_ZL13mul_mat_f_idsIfLi64ELi3ELi6EEvPKT_PKfPKiS6_S6_Pfiiiiiiiiiiiiii15HIP_vector_typeIjLj3EES9_: ; @_ZL13mul_mat_f_idsIfLi64ELi3ELi6EEvPKT_PKfPKiS6_S6_Pfiiiiiiiiiiiiii15HIP_vector_typeIjLj3EES9_
; %bb.0:
	s_load_dwordx2 s[6:7], s[0:1], 0x20
	s_mov_b32 s34, s3
	s_ashr_i32 s35, s3, 31
	s_lshl_b64 s[8:9], s[34:35], 2
	s_waitcnt lgkmcnt(0)
	s_add_u32 s6, s6, s8
	s_addc_u32 s7, s7, s9
	s_load_dwordx2 s[26:27], s[6:7], 0x0
	s_waitcnt lgkmcnt(0)
	s_sub_i32 s33, s27, s26
	s_add_i32 s3, s33, 2
	s_mul_hi_i32 s3, s3, 0x55555556
	s_lshr_b32 s5, s3, 31
	s_add_i32 s3, s3, s5
	s_cmp_ge_i32 s4, s3
	s_cbranch_scc1 .LBB90_20
; %bb.1:
	v_bfe_u32 v85, v0, 10, 10
	v_lshlrev_b32_e32 v86, 6, v85
	v_and_b32_e32 v84, 0x3ff, v0
	s_load_dwordx4 s[12:15], s[0:1], 0x30
	s_load_dwordx2 s[20:21], s[0:1], 0x40
	s_load_dwordx4 s[8:11], s[0:1], 0x4c
	s_load_dwordx4 s[16:19], s[0:1], 0x68
	s_load_dwordx2 s[24:25], s[0:1], 0x78
	v_add_u32_e32 v88, v86, v84
	s_ashr_i32 s27, s26, 31
	s_waitcnt lgkmcnt(0)
	v_cmp_le_i32_e32 vcc, s12, v88
	v_and_b32_e32 v87, 15, v84
	s_and_saveexec_b64 s[6:7], vcc
	s_xor_b64 s[6:7], exec, s[6:7]
; %bb.2:
	v_and_b32_e32 v87, 15, v84
                                        ; implicit-def: $vgpr88
; %bb.3:
	s_or_saveexec_b64 s[30:31], s[6:7]
	s_load_dwordx2 s[28:29], s[0:1], 0x18
	s_load_dwordx2 s[6:7], s[0:1], 0x28
                                        ; implicit-def: $vgpr104 : SGPR spill to VGPR lane
	v_mov_b32_e32 v11, 0
	s_lshl_b32 s11, s2, 6
	s_mul_i32 s2, s4, 3
	v_mov_b32_e32 v10, v11
	s_waitcnt lgkmcnt(0)
	v_writelane_b32 v104, s6, 0
	v_mov_b32_e32 v9, v11
	v_mov_b32_e32 v8, v11
	;; [unrolled: 1-line block ×14, first 2 shown]
	v_writelane_b32 v104, s7, 1
	s_xor_b64 exec, exec, s[30:31]
	s_cbranch_execz .LBB90_16
; %bb.4:
	s_load_dwordx4 s[4:7], s[0:1], 0x0
	s_load_dwordx2 s[22:23], s[0:1], 0x10
	s_mul_i32 s0, s8, s34
	s_ashr_i32 s1, s0, 31
	v_writelane_b32 v104, s24, 2
	s_lshl_b64 s[44:45], s[0:1], 2
	s_waitcnt lgkmcnt(0)
	s_add_u32 s0, s4, s44
	v_writelane_b32 v104, s25, 3
	s_mul_i32 s24, s15, s11
	s_addc_u32 s1, s5, s45
	s_ashr_i32 s25, s24, 31
	s_lshl_b64 s[46:47], s[24:25], 2
	s_add_u32 s0, s0, s46
	s_addc_u32 s1, s1, s47
	s_lshl_b64 s[24:25], s[26:27], 2
	s_add_u32 s8, s22, s24
	s_addc_u32 s24, s23, s25
	s_movk_i32 s3, 0x1080
	s_cmp_lt_i32 s2, s33
	v_mad_u32_u24 v1, v85, s3, 0
	s_cselect_b64 s[34:35], -1, 0
	s_ashr_i32 s3, s2, 31
	s_lshl_b64 s[22:23], s[2:3], 2
	s_add_u32 s36, s8, s22
	s_addc_u32 s37, s24, s23
	s_add_i32 s3, s2, 1
	s_cmp_lt_i32 s3, s33
	s_cselect_b64 s[38:39], -1, 0
	s_add_i32 s3, s2, 2
	s_cmp_lt_i32 s3, s33
	s_cselect_b64 s[40:41], -1, 0
	s_ashr_i32 s23, s15, 31
	s_mov_b32 s22, s15
	s_add_i32 s3, s15, s15
	s_lshl_b32 s48, s15, 2
	s_lshl_b32 s52, s15, 3
	;; [unrolled: 1-line block ×4, first 2 shown]
	s_lshl_b64 s[42:43], s[22:23], 2
	v_lshrrev_b32_e32 v3, 1, v84
	s_add_u32 s22, s44, s46
	v_lshlrev_b32_e32 v0, 2, v84
	v_mul_u32_u24_e32 v2, 0x108, v87
	v_and_b32_e32 v3, 0x1f8, v3
	s_addc_u32 s23, s45, s47
	v_lshlrev_b32_e32 v16, 8, v85
	v_mov_b32_e32 v17, 0
	v_add_u32_e32 v89, v1, v0
	v_add3_u32 v90, v1, v2, v3
	v_lshl_add_u64 v[2:3], s[22:23], 0, v[16:17]
	v_mov_b32_e32 v1, v17
	v_lshl_add_u64 v[0:1], v[2:3], 0, v[0:1]
	s_mul_i32 s8, s15, 3
	s_mul_i32 s49, s15, 5
	;; [unrolled: 1-line block ×43, first 2 shown]
	v_lshl_add_u64 v[18:19], s[4:5], 0, v[0:1]
	v_mov_b32_e32 v12, 0
	v_mov_b32_e32 v13, v17
	;; [unrolled: 1-line block ×16, first 2 shown]
	s_mul_i32 s90, s15, 50
	s_mul_i32 s91, s15, 51
	s_mul_i32 s92, s15, 52
	s_mul_i32 s93, s15, 53
	s_mul_i32 s94, s15, 54
	s_mul_i32 s95, s15, 55
	s_mul_i32 s96, s15, 56
	s_mul_i32 s97, s15, 57
	s_mul_i32 s98, s15, 58
	s_mul_i32 s99, s15, 59
	s_mul_i32 s24, s15, 60
	s_mul_i32 s25, s15, 61
	s_mul_i32 s22, s15, 62
	s_mul_i32 s15, s15, 63
	s_mov_b64 s[4:5], 0
	s_branch .LBB90_6
.LBB90_5:                               ;   in Loop: Header=BB90_6 Depth=1
	s_waitcnt vmcnt(0)
	ds_write2_b32 v89, v16, v92 offset1:66
	ds_write2_b32 v89, v91, v17 offset0:132 offset1:198
	v_add_u32_e32 v16, 0x400, v89
	ds_write2_b32 v16, v17, v17 offset0:8 offset1:74
	ds_write2_b32 v16, v17, v17 offset0:140 offset1:206
	v_add_u32_e32 v16, 0x800, v89
	ds_write2_b32 v16, v17, v17 offset0:16 offset1:82
	;; [unrolled: 3-line block ×3, first 2 shown]
	ds_write2_b32 v16, v17, v17 offset0:156 offset1:222
	ds_read2_b64 v[92:95], v90 offset1:4
	v_add_u32_e32 v88, 0x180, v88
	s_waitcnt lgkmcnt(0)
	v_mfma_f32_16x16x4_f32 v[8:11], v50, v92, v[8:11]
	s_mov_b64 vcc, 0x600
	v_lshl_add_u64 v[18:19], v[18:19], 0, vcc
	v_cmp_le_i32_e32 vcc, s12, v88
	s_or_b64 s[4:5], vcc, s[4:5]
	v_mfma_f32_16x16x4_f32 v[4:7], v62, v92, v[4:7]
	v_mfma_f32_16x16x4_f32 v[0:3], v76, v92, v[0:3]
	;; [unrolled: 1-line block ×15, first 2 shown]
	ds_read2_b64 v[80:83], v90 offset0:8 offset1:12
	s_waitcnt lgkmcnt(0)
	v_mfma_f32_16x16x4_f32 v[8:11], v36, v80, v[8:11]
	v_mfma_f32_16x16x4_f32 v[4:7], v54, v80, v[4:7]
	;; [unrolled: 1-line block ×14, first 2 shown]
	ds_read2_b64 v[48:51], v90 offset0:16 offset1:20
	v_mfma_f32_16x16x4_f32 v[0:3], v61, v83, v[0:3]
	v_mfma_f32_16x16x4_f32 v[12:15], v75, v83, v[12:15]
	s_waitcnt lgkmcnt(0)
	v_mfma_f32_16x16x4_f32 v[8:11], v28, v48, v[8:11]
	v_mfma_f32_16x16x4_f32 v[4:7], v40, v48, v[4:7]
	;; [unrolled: 1-line block ×14, first 2 shown]
	ds_read2_b64 v[32:35], v90 offset0:24 offset1:28
	v_mfma_f32_16x16x4_f32 v[0:3], v53, v51, v[0:3]
	v_mfma_f32_16x16x4_f32 v[12:15], v69, v51, v[12:15]
	s_waitcnt lgkmcnt(0)
	v_mfma_f32_16x16x4_f32 v[8:11], v22, v32, v[8:11]
	v_mfma_f32_16x16x4_f32 v[4:7], v30, v32, v[4:7]
	;; [unrolled: 1-line block ×16, first 2 shown]
	s_andn2_b64 exec, exec, s[4:5]
	s_cbranch_execz .LBB90_15
.LBB90_6:                               ; =>This Inner Loop Header: Depth=1
	v_lshl_add_u64 v[20:21], v[18:19], 0, s[42:43]
	global_load_dword v16, v[18:19], off
	global_load_dword v46, v[20:21], off
	v_add_u32_e32 v20, s3, v88
	v_ashrrev_i32_e32 v21, 31, v20
	v_add_u32_e32 v22, s8, v88
	v_add_u32_e32 v24, s48, v88
	;; [unrolled: 1-line block ×5, first 2 shown]
	v_lshl_add_u64 v[20:21], v[20:21], 2, s[0:1]
	v_ashrrev_i32_e32 v23, 31, v22
	v_ashrrev_i32_e32 v25, 31, v24
	v_ashrrev_i32_e32 v27, 31, v26
	v_ashrrev_i32_e32 v29, 31, v28
	v_ashrrev_i32_e32 v31, 31, v30
	v_lshl_add_u64 v[22:23], v[22:23], 2, s[0:1]
	v_lshl_add_u64 v[24:25], v[24:25], 2, s[0:1]
	;; [unrolled: 1-line block ×5, first 2 shown]
	global_load_dword v47, v[20:21], off
	global_load_dword v48, v[22:23], off
	;; [unrolled: 1-line block ×6, first 2 shown]
	v_add_u32_e32 v20, s52, v88
	v_add_u32_e32 v38, s61, v88
	;; [unrolled: 1-line block ×10, first 2 shown]
	v_ashrrev_i32_e32 v21, 31, v20
	v_ashrrev_i32_e32 v39, 31, v38
	;; [unrolled: 1-line block ×10, first 2 shown]
	v_lshl_add_u64 v[20:21], v[20:21], 2, s[0:1]
	v_lshl_add_u64 v[38:39], v[38:39], 2, s[0:1]
	v_add_u32_e32 v40, s62, v88
	v_add_u32_e32 v44, s64, v88
	v_lshl_add_u64 v[22:23], v[22:23], 2, s[0:1]
	v_lshl_add_u64 v[24:25], v[24:25], 2, s[0:1]
	;; [unrolled: 1-line block ×8, first 2 shown]
	global_load_dword v53, v[20:21], off
	global_load_dword v54, v[22:23], off
	;; [unrolled: 1-line block ×9, first 2 shown]
	s_nop 0
	global_load_dword v38, v[38:39], off
	v_add_u32_e32 v20, s65, v88
	v_add_u32_e32 v42, s63, v88
	v_ashrrev_i32_e32 v41, 31, v40
	v_ashrrev_i32_e32 v45, 31, v44
	;; [unrolled: 1-line block ×3, first 2 shown]
	v_add_u32_e32 v22, s66, v88
	v_add_u32_e32 v24, s67, v88
	;; [unrolled: 1-line block ×4, first 2 shown]
	v_ashrrev_i32_e32 v43, 31, v42
	v_lshl_add_u64 v[40:41], v[40:41], 2, s[0:1]
	v_lshl_add_u64 v[44:45], v[44:45], 2, s[0:1]
	;; [unrolled: 1-line block ×3, first 2 shown]
	v_ashrrev_i32_e32 v23, 31, v22
	v_ashrrev_i32_e32 v25, 31, v24
	;; [unrolled: 1-line block ×4, first 2 shown]
	v_lshl_add_u64 v[42:43], v[42:43], 2, s[0:1]
	v_lshl_add_u64 v[22:23], v[22:23], 2, s[0:1]
	;; [unrolled: 1-line block ×5, first 2 shown]
	v_add_u32_e32 v30, s75, v88
	v_add_u32_e32 v32, s76, v88
	;; [unrolled: 1-line block ×3, first 2 shown]
	v_ashrrev_i32_e32 v31, 31, v30
	v_ashrrev_i32_e32 v33, 31, v32
	;; [unrolled: 1-line block ×3, first 2 shown]
	v_lshl_add_u64 v[30:31], v[30:31], 2, s[0:1]
	s_waitcnt vmcnt(17)
	ds_write_b32 v89, v16
	s_waitcnt vmcnt(16)
	ds_write_b32 v89, v46 offset:264
	s_waitcnt vmcnt(15)
	ds_write_b32 v89, v47 offset:528
	;; [unrolled: 2-line block ×7, first 2 shown]
	global_load_dword v16, v[40:41], off
	global_load_dword v39, v[42:43], off
	s_nop 0
	global_load_dword v40, v[44:45], off
	global_load_dword v41, v[20:21], off
	s_nop 0
	global_load_dword v44, v[22:23], off
	global_load_dword v45, v[24:25], off
	;; [unrolled: 1-line block ×4, first 2 shown]
	v_add_u32_e32 v20, s70, v88
	v_ashrrev_i32_e32 v21, 31, v20
	v_add_u32_e32 v22, s71, v88
	v_add_u32_e32 v24, s72, v88
	;; [unrolled: 1-line block ×4, first 2 shown]
	v_lshl_add_u64 v[20:21], v[20:21], 2, s[0:1]
	v_ashrrev_i32_e32 v23, 31, v22
	v_ashrrev_i32_e32 v25, 31, v24
	;; [unrolled: 1-line block ×4, first 2 shown]
	v_lshl_add_u64 v[22:23], v[22:23], 2, s[0:1]
	v_lshl_add_u64 v[24:25], v[24:25], 2, s[0:1]
	v_lshl_add_u64 v[26:27], v[26:27], 2, s[0:1]
	v_lshl_add_u64 v[28:29], v[28:29], 2, s[0:1]
	v_lshl_add_u64 v[32:33], v[32:33], 2, s[0:1]
	v_lshl_add_u64 v[34:35], v[34:35], 2, s[0:1]
	global_load_dword v48, v[20:21], off
	global_load_dword v49, v[22:23], off
	global_load_dword v52, v[24:25], off
	global_load_dword v62, v[26:27], off
	global_load_dword v63, v[28:29], off
	global_load_dword v64, v[30:31], off
	global_load_dword v65, v[32:33], off
	global_load_dword v66, v[34:35], off
	v_add_u32_e32 v20, s78, v88
	v_ashrrev_i32_e32 v21, 31, v20
	v_add_u32_e32 v22, s79, v88
	v_add_u32_e32 v24, s80, v88
	v_add_u32_e32 v26, s81, v88
	v_add_u32_e32 v28, s82, v88
	v_add_u32_e32 v30, s83, v88
	v_add_u32_e32 v32, s84, v88
	v_add_u32_e32 v34, s85, v88
	v_lshl_add_u64 v[20:21], v[20:21], 2, s[0:1]
	v_ashrrev_i32_e32 v23, 31, v22
	v_ashrrev_i32_e32 v25, 31, v24
	v_ashrrev_i32_e32 v27, 31, v26
	v_ashrrev_i32_e32 v29, 31, v28
	v_ashrrev_i32_e32 v31, 31, v30
	v_ashrrev_i32_e32 v33, 31, v32
	v_ashrrev_i32_e32 v35, 31, v34
	v_lshl_add_u64 v[22:23], v[22:23], 2, s[0:1]
	v_lshl_add_u64 v[24:25], v[24:25], 2, s[0:1]
	v_lshl_add_u64 v[26:27], v[26:27], 2, s[0:1]
	v_lshl_add_u64 v[28:29], v[28:29], 2, s[0:1]
	v_lshl_add_u64 v[30:31], v[30:31], 2, s[0:1]
	v_lshl_add_u64 v[32:33], v[32:33], 2, s[0:1]
	v_lshl_add_u64 v[34:35], v[34:35], 2, s[0:1]
	global_load_dword v67, v[20:21], off
	global_load_dword v68, v[22:23], off
	global_load_dword v69, v[24:25], off
	global_load_dword v70, v[26:27], off
	global_load_dword v71, v[28:29], off
	global_load_dword v72, v[30:31], off
	global_load_dword v73, v[32:33], off
	global_load_dword v74, v[34:35], off
	v_add_u32_e32 v20, s44, v88
	v_ashrrev_i32_e32 v21, 31, v20
	v_add_u32_e32 v22, s45, v88
	v_add_u32_e32 v24, s46, v88
	v_add_u32_e32 v26, s47, v88
	v_add_u32_e32 v28, s86, v88
	v_add_u32_e32 v30, s87, v88
	v_add_u32_e32 v32, s88, v88
	v_add_u32_e32 v34, s89, v88
	v_lshl_add_u64 v[20:21], v[20:21], 2, s[0:1]
	v_ashrrev_i32_e32 v23, 31, v22
	v_ashrrev_i32_e32 v25, 31, v24
	v_ashrrev_i32_e32 v27, 31, v26
	v_ashrrev_i32_e32 v29, 31, v28
	v_ashrrev_i32_e32 v31, 31, v30
	v_ashrrev_i32_e32 v33, 31, v32
	v_ashrrev_i32_e32 v35, 31, v34
	v_lshl_add_u64 v[22:23], v[22:23], 2, s[0:1]
	;; [unrolled: 32-line block ×3, first 2 shown]
	v_lshl_add_u64 v[24:25], v[24:25], 2, s[0:1]
	v_lshl_add_u64 v[26:27], v[26:27], 2, s[0:1]
	;; [unrolled: 1-line block ×6, first 2 shown]
	global_load_dword v83, v[20:21], off
	global_load_dword v91, v[22:23], off
	;; [unrolled: 1-line block ×8, first 2 shown]
	v_add_u32_e32 v20, s98, v88
	v_ashrrev_i32_e32 v21, 31, v20
	v_add_u32_e32 v22, s99, v88
	v_add_u32_e32 v24, s24, v88
	;; [unrolled: 1-line block ×5, first 2 shown]
	v_lshl_add_u64 v[20:21], v[20:21], 2, s[0:1]
	v_ashrrev_i32_e32 v23, 31, v22
	v_ashrrev_i32_e32 v25, 31, v24
	;; [unrolled: 1-line block ×5, first 2 shown]
	v_lshl_add_u64 v[22:23], v[22:23], 2, s[0:1]
	v_lshl_add_u64 v[24:25], v[24:25], 2, s[0:1]
	;; [unrolled: 1-line block ×5, first 2 shown]
	global_load_dword v98, v[20:21], off
	global_load_dword v99, v[22:23], off
	;; [unrolled: 1-line block ×6, first 2 shown]
	s_waitcnt vmcnt(55)
	ds_write_b32 v89, v53 offset:2112
	s_waitcnt vmcnt(54)
	ds_write_b32 v89, v54 offset:2376
	s_waitcnt vmcnt(53)
	ds_write_b32 v89, v55 offset:2640
	s_waitcnt vmcnt(52)
	ds_write_b32 v89, v56 offset:2904
	s_waitcnt vmcnt(51)
	ds_write_b32 v89, v57 offset:3168
	s_waitcnt vmcnt(50)
	ds_write_b32 v89, v58 offset:3432
	s_waitcnt vmcnt(49)
	ds_write_b32 v89, v59 offset:3696
	s_waitcnt vmcnt(48)
	ds_write_b32 v89, v60 offset:3960
	ds_read_b64 v[50:51], v90
	ds_read_b64 v[42:43], v90 offset:32
	ds_read_b64 v[36:37], v90 offset:64
	ds_read_b64 v[32:33], v90 offset:96
	ds_read_b64 v[28:29], v90 offset:128
	ds_read_b64 v[24:25], v90 offset:160
	ds_read_b64 v[22:23], v90 offset:192
	ds_read_b64 v[20:21], v90 offset:224
	s_waitcnt vmcnt(47)
	ds_write_b32 v89, v61
	s_waitcnt vmcnt(46)
	ds_write_b32 v89, v38 offset:264
	s_waitcnt vmcnt(45)
	ds_write_b32 v89, v16 offset:528
	s_waitcnt vmcnt(44)
	ds_write_b32 v89, v39 offset:792
	s_waitcnt vmcnt(43)
	ds_write_b32 v89, v40 offset:1056
	s_waitcnt vmcnt(42)
	ds_write_b32 v89, v41 offset:1320
	s_waitcnt vmcnt(41)
	ds_write_b32 v89, v44 offset:1584
	s_waitcnt vmcnt(40)
	ds_write_b32 v89, v45 offset:1848
	s_waitcnt vmcnt(39)
	ds_write_b32 v89, v46 offset:2112
	s_waitcnt vmcnt(38)
	ds_write_b32 v89, v47 offset:2376
	s_waitcnt vmcnt(37)
	ds_write_b32 v89, v48 offset:2640
	s_waitcnt vmcnt(36)
	ds_write_b32 v89, v49 offset:2904
	s_waitcnt vmcnt(35)
	ds_write_b32 v89, v52 offset:3168
	s_waitcnt vmcnt(34)
	ds_write_b32 v89, v62 offset:3432
	s_waitcnt vmcnt(33)
	ds_write_b32 v89, v63 offset:3696
	s_waitcnt vmcnt(32)
	ds_write_b32 v89, v64 offset:3960
	ds_read_b64 v[62:63], v90
	ds_read_b64 v[58:59], v90 offset:32
	ds_read_b64 v[54:55], v90 offset:64
	ds_read_b64 v[48:49], v90 offset:96
	ds_read_b64 v[40:41], v90 offset:128
	ds_read_b64 v[34:35], v90 offset:160
	ds_read_b64 v[30:31], v90 offset:192
	ds_read_b64 v[26:27], v90 offset:224
	s_waitcnt vmcnt(31)
	ds_write_b32 v89, v65
	s_waitcnt vmcnt(30)
	ds_write_b32 v89, v66 offset:264
	s_waitcnt vmcnt(29)
	ds_write_b32 v89, v67 offset:528
	s_waitcnt vmcnt(28)
	ds_write_b32 v89, v68 offset:792
	s_waitcnt vmcnt(27)
	ds_write_b32 v89, v69 offset:1056
	s_waitcnt vmcnt(26)
	ds_write_b32 v89, v70 offset:1320
	s_waitcnt vmcnt(25)
	ds_write_b32 v89, v71 offset:1584
	s_waitcnt vmcnt(24)
	ds_write_b32 v89, v72 offset:1848
	;; [unrolled: 40-line block ×3, first 2 shown]
	s_waitcnt vmcnt(7)
	ds_write_b32 v89, v96 offset:2112
	s_waitcnt vmcnt(6)
	ds_write_b32 v89, v97 offset:2376
	;; [unrolled: 2-line block ×8, first 2 shown]
	ds_read_b64 v[82:83], v90
	ds_read_b64 v[80:81], v90 offset:32
	ds_read_b64 v[78:79], v90 offset:64
	;; [unrolled: 1-line block ×7, first 2 shown]
	s_andn2_b64 vcc, exec, s[34:35]
	v_mov_b32_e32 v16, 0
	s_cbranch_vccnz .LBB90_9
; %bb.7:                                ;   in Loop: Header=BB90_6 Depth=1
	s_load_dword s23, s[36:37], 0x0
	v_mov_b32_e32 v16, 0
	s_waitcnt lgkmcnt(0)
	s_mul_hi_u32 vcc_lo, s23, s16
	s_add_i32 vcc_lo, s23, vcc_lo
	s_lshr_b32 vcc_lo, vcc_lo, s17
	s_cmp_ge_i32 vcc_lo, s13
	s_cbranch_scc1 .LBB90_9
; %bb.8:                                ;   in Loop: Header=BB90_6 Depth=1
	s_mul_i32 vcc_hi, vcc_lo, s18
	s_sub_i32 s23, s23, vcc_hi
	s_mul_i32 s23, s23, s9
	s_mul_i32 vcc_lo, vcc_lo, s20
	s_add_i32 vcc_lo, vcc_lo, s23
	v_add_u32_e32 v92, vcc_lo, v88
	v_ashrrev_i32_e32 v93, 31, v92
	v_lshl_add_u64 v[92:93], v[92:93], 2, s[6:7]
	global_load_dword v16, v[92:93], off
.LBB90_9:                               ;   in Loop: Header=BB90_6 Depth=1
	v_mov_b32_e32 v91, 0
	s_andn2_b64 vcc, exec, s[38:39]
	v_mov_b32_e32 v92, 0
	s_cbranch_vccnz .LBB90_12
; %bb.10:                               ;   in Loop: Header=BB90_6 Depth=1
	s_load_dword s23, s[36:37], 0x4
	v_mov_b32_e32 v92, 0
	s_waitcnt lgkmcnt(0)
	s_mul_hi_u32 vcc_lo, s23, s16
	s_add_i32 vcc_lo, s23, vcc_lo
	s_lshr_b32 vcc_lo, vcc_lo, s17
	s_cmp_ge_i32 vcc_lo, s13
	s_cbranch_scc1 .LBB90_12
; %bb.11:                               ;   in Loop: Header=BB90_6 Depth=1
	s_mul_i32 vcc_hi, vcc_lo, s18
	s_sub_i32 s23, s23, vcc_hi
	s_mul_i32 s23, s23, s9
	s_mul_i32 vcc_lo, vcc_lo, s20
	s_add_i32 vcc_lo, vcc_lo, s23
	v_add_u32_e32 v92, vcc_lo, v88
	v_ashrrev_i32_e32 v93, 31, v92
	v_lshl_add_u64 v[92:93], v[92:93], 2, s[6:7]
	global_load_dword v92, v[92:93], off
.LBB90_12:                              ;   in Loop: Header=BB90_6 Depth=1
	s_andn2_b64 vcc, exec, s[40:41]
	s_cbranch_vccnz .LBB90_5
; %bb.13:                               ;   in Loop: Header=BB90_6 Depth=1
	s_load_dword s23, s[36:37], 0x8
	v_mov_b32_e32 v91, 0
	s_waitcnt lgkmcnt(0)
	s_mul_hi_u32 vcc_lo, s23, s16
	s_add_i32 vcc_lo, s23, vcc_lo
	s_lshr_b32 vcc_lo, vcc_lo, s17
	s_cmp_ge_i32 vcc_lo, s13
	s_cbranch_scc1 .LBB90_5
; %bb.14:                               ;   in Loop: Header=BB90_6 Depth=1
	s_mul_i32 vcc_hi, vcc_lo, s18
	s_sub_i32 s23, s23, vcc_hi
	s_mul_i32 s23, s23, s9
	s_mul_i32 vcc_lo, vcc_lo, s20
	s_add_i32 vcc_lo, vcc_lo, s23
	v_add_u32_e32 v94, vcc_lo, v88
	v_ashrrev_i32_e32 v95, 31, v94
	v_lshl_add_u64 v[94:95], v[94:95], 2, s[6:7]
	global_load_dword v91, v[94:95], off
	s_branch .LBB90_5
.LBB90_15:
	s_or_b64 exec, exec, s[4:5]
	v_readlane_b32 s24, v104, 2
	v_readlane_b32 s25, v104, 3
.LBB90_16:
	s_or_b64 exec, exec, s[30:31]
	v_lshl_add_u32 v16, v86, 2, 0
	v_mul_u32_u24_e32 v17, 0x608, v87
	v_and_b32_e32 v18, 0x3f0, v84
	v_add3_u32 v16, v16, v17, v18
	v_cmp_gt_u32_e32 vcc, 3, v85
	s_barrier
	ds_write2_b32 v16, v8, v9 offset1:1
	ds_write2_b32 v16, v10, v11 offset0:2 offset1:3
	ds_write2_b32 v16, v4, v5 offset0:16 offset1:17
	;; [unrolled: 1-line block ×7, first 2 shown]
	s_waitcnt lgkmcnt(0)
	s_barrier
	s_and_saveexec_b64 s[0:1], vcc
	s_cbranch_execz .LBB90_20
; %bb.17:
	s_cmp_gt_i32 s14, 0
	v_add_u32_e32 v0, s2, v85
	s_cselect_b64 s[0:1], -1, 0
	v_cmp_gt_i32_e32 vcc, s33, v0
	s_and_b64 s[0:1], s[0:1], vcc
	s_and_b64 exec, exec, s[0:1]
	s_cbranch_execz .LBB90_20
; %bb.18:
	s_lshl_b64 s[0:1], s[26:27], 2
	s_add_u32 s0, s28, s0
	s_addc_u32 s1, s29, s1
	v_ashrrev_i32_e32 v1, 31, v0
	v_lshl_add_u64 v[0:1], v[0:1], 2, s[0:1]
	global_load_dword v0, v[0:1], off
	s_waitcnt vmcnt(0)
	v_mul_hi_u32 v1, v0, s19
	v_add_u32_e32 v1, v0, v1
	v_lshrrev_b32_e32 v1, s24, v1
	v_cmp_gt_i32_e32 vcc, s13, v1
	s_and_b64 exec, exec, vcc
	s_cbranch_execz .LBB90_20
; %bb.19:
	v_lshlrev_b32_e32 v2, 2, v84
	v_mul_u32_u24_e32 v3, 0x608, v85
	v_add3_u32 v6, 0, v2, v3
	ds_read2st64_b32 v[2:3], v6 offset1:1
	ds_read2st64_b32 v[4:5], v6 offset0:2 offset1:3
	ds_read2st64_b32 v[6:7], v6 offset0:4 offset1:5
	v_add_u32_e32 v8, s11, v84
	v_readlane_b32 s0, v104, 0
	s_waitcnt lgkmcnt(2)
	v_add_f32_e32 v2, 0, v2
	v_add_f32_e32 v2, v2, v3
	v_mul_lo_u32 v3, v1, s25
	s_waitcnt lgkmcnt(1)
	v_add_f32_e32 v2, v2, v4
	v_sub_u32_e32 v0, v0, v3
	v_add_f32_e32 v2, v2, v5
	v_mul_lo_u32 v0, v0, s10
	v_mul_lo_u32 v1, v1, s21
	s_waitcnt lgkmcnt(0)
	v_add_f32_e32 v2, v2, v6
	v_add3_u32 v0, v8, v1, v0
	v_mov_b32_e32 v1, 0
	v_readlane_b32 s1, v104, 1
	v_add_f32_e32 v2, v2, v7
	s_nop 0
	v_lshl_add_u64 v[0:1], v[0:1], 2, s[0:1]
	global_store_dword v[0:1], v2, off
.LBB90_20:
	s_endpgm
	.section	.rodata,"a",@progbits
	.p2align	6, 0x0
	.amdhsa_kernel _ZL13mul_mat_f_idsIfLi64ELi3ELi6EEvPKT_PKfPKiS6_S6_Pfiiiiiiiiiiiiii15HIP_vector_typeIjLj3EES9_
		.amdhsa_group_segment_fixed_size 0
		.amdhsa_private_segment_fixed_size 0
		.amdhsa_kernarg_size 128
		.amdhsa_user_sgpr_count 2
		.amdhsa_user_sgpr_dispatch_ptr 0
		.amdhsa_user_sgpr_queue_ptr 0
		.amdhsa_user_sgpr_kernarg_segment_ptr 1
		.amdhsa_user_sgpr_dispatch_id 0
		.amdhsa_user_sgpr_kernarg_preload_length 0
		.amdhsa_user_sgpr_kernarg_preload_offset 0
		.amdhsa_user_sgpr_private_segment_size 0
		.amdhsa_uses_dynamic_stack 0
		.amdhsa_enable_private_segment 0
		.amdhsa_system_sgpr_workgroup_id_x 1
		.amdhsa_system_sgpr_workgroup_id_y 1
		.amdhsa_system_sgpr_workgroup_id_z 1
		.amdhsa_system_sgpr_workgroup_info 0
		.amdhsa_system_vgpr_workitem_id 1
		.amdhsa_next_free_vgpr 105
		.amdhsa_next_free_sgpr 100
		.amdhsa_accum_offset 108
		.amdhsa_reserve_vcc 1
		.amdhsa_float_round_mode_32 0
		.amdhsa_float_round_mode_16_64 0
		.amdhsa_float_denorm_mode_32 3
		.amdhsa_float_denorm_mode_16_64 3
		.amdhsa_dx10_clamp 1
		.amdhsa_ieee_mode 1
		.amdhsa_fp16_overflow 0
		.amdhsa_tg_split 0
		.amdhsa_exception_fp_ieee_invalid_op 0
		.amdhsa_exception_fp_denorm_src 0
		.amdhsa_exception_fp_ieee_div_zero 0
		.amdhsa_exception_fp_ieee_overflow 0
		.amdhsa_exception_fp_ieee_underflow 0
		.amdhsa_exception_fp_ieee_inexact 0
		.amdhsa_exception_int_div_zero 0
	.end_amdhsa_kernel
	.section	.text._ZL13mul_mat_f_idsIfLi64ELi3ELi6EEvPKT_PKfPKiS6_S6_Pfiiiiiiiiiiiiii15HIP_vector_typeIjLj3EES9_,"axG",@progbits,_ZL13mul_mat_f_idsIfLi64ELi3ELi6EEvPKT_PKfPKiS6_S6_Pfiiiiiiiiiiiiii15HIP_vector_typeIjLj3EES9_,comdat
.Lfunc_end90:
	.size	_ZL13mul_mat_f_idsIfLi64ELi3ELi6EEvPKT_PKfPKiS6_S6_Pfiiiiiiiiiiiiii15HIP_vector_typeIjLj3EES9_, .Lfunc_end90-_ZL13mul_mat_f_idsIfLi64ELi3ELi6EEvPKT_PKfPKiS6_S6_Pfiiiiiiiiiiiiii15HIP_vector_typeIjLj3EES9_
                                        ; -- End function
	.set _ZL13mul_mat_f_idsIfLi64ELi3ELi6EEvPKT_PKfPKiS6_S6_Pfiiiiiiiiiiiiii15HIP_vector_typeIjLj3EES9_.num_vgpr, 105
	.set _ZL13mul_mat_f_idsIfLi64ELi3ELi6EEvPKT_PKfPKiS6_S6_Pfiiiiiiiiiiiiii15HIP_vector_typeIjLj3EES9_.num_agpr, 0
	.set _ZL13mul_mat_f_idsIfLi64ELi3ELi6EEvPKT_PKfPKiS6_S6_Pfiiiiiiiiiiiiii15HIP_vector_typeIjLj3EES9_.numbered_sgpr, 100
	.set _ZL13mul_mat_f_idsIfLi64ELi3ELi6EEvPKT_PKfPKiS6_S6_Pfiiiiiiiiiiiiii15HIP_vector_typeIjLj3EES9_.num_named_barrier, 0
	.set _ZL13mul_mat_f_idsIfLi64ELi3ELi6EEvPKT_PKfPKiS6_S6_Pfiiiiiiiiiiiiii15HIP_vector_typeIjLj3EES9_.private_seg_size, 0
	.set _ZL13mul_mat_f_idsIfLi64ELi3ELi6EEvPKT_PKfPKiS6_S6_Pfiiiiiiiiiiiiii15HIP_vector_typeIjLj3EES9_.uses_vcc, 1
	.set _ZL13mul_mat_f_idsIfLi64ELi3ELi6EEvPKT_PKfPKiS6_S6_Pfiiiiiiiiiiiiii15HIP_vector_typeIjLj3EES9_.uses_flat_scratch, 0
	.set _ZL13mul_mat_f_idsIfLi64ELi3ELi6EEvPKT_PKfPKiS6_S6_Pfiiiiiiiiiiiiii15HIP_vector_typeIjLj3EES9_.has_dyn_sized_stack, 0
	.set _ZL13mul_mat_f_idsIfLi64ELi3ELi6EEvPKT_PKfPKiS6_S6_Pfiiiiiiiiiiiiii15HIP_vector_typeIjLj3EES9_.has_recursion, 0
	.set _ZL13mul_mat_f_idsIfLi64ELi3ELi6EEvPKT_PKfPKiS6_S6_Pfiiiiiiiiiiiiii15HIP_vector_typeIjLj3EES9_.has_indirect_call, 0
	.section	.AMDGPU.csdata,"",@progbits
; Kernel info:
; codeLenInByte = 4768
; TotalNumSgprs: 106
; NumVgprs: 105
; NumAgprs: 0
; TotalNumVgprs: 105
; ScratchSize: 0
; MemoryBound: 0
; FloatMode: 240
; IeeeMode: 1
; LDSByteSize: 0 bytes/workgroup (compile time only)
; SGPRBlocks: 13
; VGPRBlocks: 13
; NumSGPRsForWavesPerEU: 106
; NumVGPRsForWavesPerEU: 105
; AccumOffset: 108
; Occupancy: 4
; WaveLimiterHint : 1
; COMPUTE_PGM_RSRC2:SCRATCH_EN: 0
; COMPUTE_PGM_RSRC2:USER_SGPR: 2
; COMPUTE_PGM_RSRC2:TRAP_HANDLER: 0
; COMPUTE_PGM_RSRC2:TGID_X_EN: 1
; COMPUTE_PGM_RSRC2:TGID_Y_EN: 1
; COMPUTE_PGM_RSRC2:TGID_Z_EN: 1
; COMPUTE_PGM_RSRC2:TIDIG_COMP_CNT: 1
; COMPUTE_PGM_RSRC3_GFX90A:ACCUM_OFFSET: 26
; COMPUTE_PGM_RSRC3_GFX90A:TG_SPLIT: 0
	.section	.text._ZL9mul_mat_fIfLi64ELi3ELi6ELb1EEvPKT_PKfPKiPfiiiiiiiiiiiiiiii,"axG",@progbits,_ZL9mul_mat_fIfLi64ELi3ELi6ELb1EEvPKT_PKfPKiPfiiiiiiiiiiiiiiii,comdat
	.globl	_ZL9mul_mat_fIfLi64ELi3ELi6ELb1EEvPKT_PKfPKiPfiiiiiiiiiiiiiiii ; -- Begin function _ZL9mul_mat_fIfLi64ELi3ELi6ELb1EEvPKT_PKfPKiPfiiiiiiiiiiiiiiii
	.p2align	8
	.type	_ZL9mul_mat_fIfLi64ELi3ELi6ELb1EEvPKT_PKfPKiPfiiiiiiiiiiiiiiii,@function
_ZL9mul_mat_fIfLi64ELi3ELi6ELb1EEvPKT_PKfPKiPfiiiiiiiiiiiiiiii: ; @_ZL9mul_mat_fIfLi64ELi3ELi6ELb1EEvPKT_PKfPKiPfiiiiiiiiiiiiiiii
; %bb.0:
	s_load_dwordx8 s[12:19], s[0:1], 0x20
	v_and_b32_e32 v16, 0x3ff, v0
	v_bfe_u32 v17, v0, 10, 10
	s_waitcnt lgkmcnt(0)
	s_add_i32 s5, s13, 2
	s_mul_hi_i32 s5, s5, 0x55555556
	s_lshr_b32 s6, s5, 31
	s_add_i32 s5, s5, s6
	v_cvt_f32_u32_e32 v1, s5
	s_load_dwordx4 s[20:23], s[0:1], 0x44
	s_load_dword s6, s[0:1], 0x64
	s_add_u32 s30, s0, 0x60
	s_addc_u32 s31, s1, 0
	v_rcp_iflag_f32_e32 v1, v1
	s_sub_i32 s7, 0, s5
	s_waitcnt lgkmcnt(0)
	s_abs_i32 s33, s23
	v_mul_f32_e32 v1, 0x4f7ffffe, v1
	v_cvt_u32_f32_e32 v1, v1
	v_mul_lo_u32 v2, s7, v1
	v_mul_hi_u32 v2, v1, v2
	v_add_u32_e32 v1, v1, v2
	v_mul_hi_u32 v1, s6, v1
	v_mul_lo_u32 v2, v1, s5
	v_sub_u32_e32 v2, s6, v2
	v_add_u32_e32 v3, 1, v1
	v_subrev_u32_e32 v4, s5, v2
	v_cmp_le_u32_e32 vcc, s5, v2
	s_nop 1
	v_cndmask_b32_e32 v1, v1, v3, vcc
	v_cndmask_b32_e32 v2, v2, v4, vcc
	v_add_u32_e32 v3, 1, v1
	v_cmp_le_u32_e32 vcc, s5, v2
	v_cvt_f32_u32_e32 v4, s33
	s_sub_i32 s5, 0, s33
	v_cndmask_b32_e32 v2, v1, v3, vcc
	v_cvt_f32_u32_e32 v1, v2
	v_rcp_iflag_f32_e32 v3, v4
	v_sub_u32_e32 v5, 0, v2
	v_cmp_eq_u32_e32 vcc, 0, v16
	v_rcp_iflag_f32_e32 v4, v1
	v_mul_f32_e32 v1, 0x4f7ffffe, v3
	v_cvt_u32_f32_e32 v1, v1
	v_mul_f32_e32 v3, 0x4f7ffffe, v4
	v_cvt_u32_f32_e32 v3, v3
	v_mul_lo_u32 v4, s5, v1
	v_mul_hi_u32 v4, v1, v4
	v_mul_lo_u32 v5, v5, v3
	v_mul_hi_u32 v5, v3, v5
	v_add_u32_e32 v3, v3, v5
	v_mul_hi_u32 v3, s3, v3
	s_and_saveexec_b64 s[6:7], vcc
; %bb.1:
	v_mov_b32_e32 v5, 0x100
	v_lshl_add_u32 v5, v17, 2, v5
	v_mov_b32_e32 v6, -1
	ds_write_b32 v5, v6
; %bb.2:
	s_or_b64 exec, exec, s[6:7]
	v_add_u32_e32 v1, v1, v4
	v_mul_lo_u32 v4, v3, v2
	v_sub_u32_e32 v4, s3, v4
	v_add_u32_e32 v5, 1, v3
	v_sub_u32_e32 v6, v4, v2
	v_cmp_ge_u32_e32 vcc, v4, v2
	s_load_dwordx4 s[24:27], s[0:1], 0x54
	s_waitcnt lgkmcnt(0)
	s_abs_i32 s27, s4
	v_cndmask_b32_e32 v3, v3, v5, vcc
	v_cndmask_b32_e32 v4, v4, v6, vcc
	v_add_u32_e32 v5, 1, v3
	v_cmp_ge_u32_e32 vcc, v4, v2
	v_mov_b32_e32 v6, 0
	s_nop 0
	v_cndmask_b32_e32 v3, v3, v5, vcc
	v_mul_lo_u32 v2, v3, v2
	v_mul_lo_u32 v90, v3, 3
	v_sub_u32_e32 v18, s3, v2
	v_add_u32_e32 v2, v17, v90
	v_cmp_gt_i32_e64 s[8:9], s13, v2
	s_and_saveexec_b64 s[10:11], s[8:9]
	s_cbranch_execz .LBB91_10
; %bb.3:
	v_cmp_gt_i32_e32 vcc, s14, v16
	v_mov_b32_e32 v6, 0
	s_and_saveexec_b64 s[28:29], vcc
	s_cbranch_execz .LBB91_9
; %bb.4:
	s_load_dwordx2 s[6:7], s[0:1], 0x10
	v_mul_hi_i32 v3, v90, s19
	v_mul_lo_u32 v2, v90, s19
	v_mul_lo_u32 v4, v17, s19
	v_lshlrev_b64 v[2:3], 2, v[2:3]
	s_waitcnt lgkmcnt(0)
	v_lshl_add_u64 v[2:3], s[6:7], 0, v[2:3]
	v_ashrrev_i32_e32 v5, 31, v4
	v_lshl_add_u64 v[2:3], v[4:5], 2, v[2:3]
	v_mov_b32_e32 v4, 0x100
	v_lshl_add_u32 v7, v17, 2, v4
	v_mul_lo_u32 v4, v16, s18
	s_lshl_b32 s3, s18, 6
	v_mov_b32_e32 v6, 0
	s_mov_b64 s[18:19], 0
	v_mov_b32_e32 v8, v16
	s_branch .LBB91_6
.LBB91_5:                               ;   in Loop: Header=BB91_6 Depth=1
	s_or_b64 exec, exec, s[34:35]
	v_add_u32_e32 v8, 64, v8
	v_cmp_le_i32_e64 s[6:7], s14, v8
	s_xor_b64 s[34:35], vcc, -1
	s_or_b64 s[6:7], s[34:35], s[6:7]
	s_and_b64 s[6:7], exec, s[6:7]
	s_or_b64 s[18:19], s[6:7], s[18:19]
	v_add_u32_e32 v4, s3, v4
	s_andn2_b64 exec, exec, s[18:19]
	s_cbranch_execz .LBB91_8
.LBB91_6:                               ; =>This Inner Loop Header: Depth=1
	v_ashrrev_i32_e32 v5, 31, v4
	v_lshl_add_u64 v[10:11], v[4:5], 2, v[2:3]
	global_load_dword v5, v[10:11], off
	s_waitcnt vmcnt(0)
	v_cmp_ne_u32_e32 vcc, v5, v18
	v_cmp_eq_u32_e64 s[6:7], v5, v18
	s_and_saveexec_b64 s[34:35], s[6:7]
	s_cbranch_execz .LBB91_5
; %bb.7:                                ;   in Loop: Header=BB91_6 Depth=1
	v_mov_b32_e32 v6, 1
	ds_write_b32 v7, v8
	s_branch .LBB91_5
.LBB91_8:
	s_or_b64 exec, exec, s[18:19]
.LBB91_9:
	s_or_b64 exec, exec, s[28:29]
.LBB91_10:
	s_or_b64 exec, exec, s[10:11]
	s_load_dwordx2 s[18:19], s[30:31], 0xc
	s_load_dwordx2 s[28:29], s[0:1], 0x8
	;; [unrolled: 1-line block ×3, first 2 shown]
	v_mul_hi_u32 v19, s27, v1
	v_or_b32_dpp v1, v6, v6 row_shl:1 row_mask:0xf bank_mask:0xf bound_ctrl:1
	s_waitcnt lgkmcnt(0)
	s_lshr_b32 s6, s18, 16
	s_and_b32 s5, s18, 0xffff
	v_or_b32_dpp v1, v1, v1 row_shl:2 row_mask:0xf bank_mask:0xf bound_ctrl:1
	s_mul_i32 s7, s6, s5
	s_and_b32 s3, s19, 0xffff
	v_or_b32_dpp v1, v1, v1 row_shl:4 row_mask:0xf bank_mask:0xf bound_ctrl:1
	s_bfe_i32 s7, s7, 0x180000
	s_mul_i32 s3, s7, s3
	v_or_b32_dpp v1, v1, v1 row_shl:8 row_mask:0xf bank_mask:0xf bound_ctrl:1
	s_add_i32 s7, s3, 63
	s_bitcmp1_b32 exec_hi, 0
	v_mov_b32_dpp v2, v1 wave_shl:1 row_mask:0xf bank_mask:0xf bound_ctrl:1
	s_nop 1
	v_or_b32_dpp v1, v2, v1 row_mirror row_mask:0xf bank_mask:0xf bound_ctrl:1
	s_nop 0
	v_readlane_b32 s3, v1, 32
	s_cselect_b32 s3, s3, 0
	v_readlane_b32 s14, v1, 0
	s_or_b32 s3, s3, s14
	s_andn2_b32 s7, s7, 63
	s_cmp_lg_u32 s7, 64
	v_mov_b32_e32 v1, s3
	s_cbranch_scc0 .LBB91_17
; %bb.11:
	v_bfe_u32 v0, v0, 20, 10
	v_mbcnt_lo_u32_b32 v1, -1, 0
	v_mad_u32_u24 v0, v0, s6, v17
	v_mbcnt_hi_u32_b32 v2, -1, v1
	v_mad_u64_u32 v[0:1], s[6:7], v0, s5, v[16:17]
	v_lshrrev_b32_e32 v1, 6, v0
	v_or_b32_e32 v1, v2, v1
	v_cmp_eq_u32_e32 vcc, 0, v1
	s_and_saveexec_b64 s[6:7], vcc
; %bb.12:
	v_mov_b32_e32 v1, 0
	v_mov_b32_e32 v3, s3
	ds_write_b32 v1, v3
; %bb.13:
	s_or_b64 exec, exec, s[6:7]
	v_cmp_eq_u32_e32 vcc, 0, v2
	v_cmp_lt_u32_e64 s[6:7], 63, v0
	s_and_b64 s[18:19], s[6:7], vcc
	s_waitcnt lgkmcnt(0)
	s_barrier
	s_and_saveexec_b64 s[6:7], s[18:19]
	s_cbranch_execz .LBB91_16
; %bb.14:
	v_mbcnt_lo_u32_b32 v0, exec_lo, 0
	v_mbcnt_hi_u32_b32 v0, exec_hi, v0
	v_cmp_eq_u32_e32 vcc, 0, v0
	s_and_b64 exec, exec, vcc
; %bb.15:
	v_mov_b32_e32 v0, 0
	v_mov_b32_e32 v1, s3
	ds_or_b32 v0, v1
.LBB91_16:
	s_or_b64 exec, exec, s[6:7]
	v_mov_b32_e32 v0, 0
	s_waitcnt lgkmcnt(0)
	s_barrier
	ds_read_b32 v1, v0
	s_waitcnt lgkmcnt(0)
	s_barrier
.LBB91_17:
	s_load_dwordx2 s[0:1], s[0:1], 0x0
	v_cmp_ne_u32_e32 vcc, 0, v1
	s_ashr_i32 s3, s4, 31
	s_ashr_i32 s14, s23, 31
	s_cbranch_vccz .LBB91_39
; %bb.18:
	v_lshlrev_b32_e32 v91, 6, v17
	v_add_u32_e32 v93, v91, v16
	v_cmp_le_i32_e32 vcc, s12, v93
	v_and_b32_e32 v92, 15, v16
	s_and_saveexec_b64 s[6:7], vcc
	s_xor_b64 s[6:7], exec, s[6:7]
; %bb.19:
	v_and_b32_e32 v92, 15, v16
                                        ; implicit-def: $vgpr93
                                        ; implicit-def: $vgpr19
                                        ; implicit-def: $vgpr18
; %bb.20:
	s_or_saveexec_b64 s[18:19], s[6:7]
	v_mov_b32_e32 v11, 0
	s_lshl_b32 s5, s2, 6
	v_mov_b32_e32 v10, v11
	v_mov_b32_e32 v9, v11
	;; [unrolled: 1-line block ×15, first 2 shown]
	s_xor_b64 exec, exec, s[18:19]
	s_cbranch_execz .LBB91_36
; %bb.21:
	v_mul_lo_u32 v0, v19, s33
	v_sub_u32_e32 v0, s27, v0
	v_add_u32_e32 v1, 1, v19
	v_subrev_u32_e32 v2, s33, v0
	v_cmp_le_u32_e32 vcc, s33, v0
	s_xor_b32 s2, s3, s14
	s_movk_i32 s6, 0x1080
	v_cndmask_b32_e32 v1, v19, v1, vcc
	v_cndmask_b32_e32 v0, v0, v2, vcc
	v_add_u32_e32 v2, 1, v1
	v_cmp_le_u32_e32 vcc, s33, v0
	v_mov_b32_e32 v94, 0x100
	v_mad_u32_u24 v6, v17, s6, v94
	v_cndmask_b32_e32 v0, v1, v2, vcc
	v_xor_b32_e32 v0, s2, v0
	v_subrev_u32_e32 v0, s2, v0
	v_mul_hi_i32 v1, v0, s24
	v_mul_lo_u32 v0, v0, s24
	v_mul_lo_u32 v2, v18, s20
	v_ashrrev_i32_e32 v3, 31, v2
	s_mul_i32 s2, s15, s5
	v_lshlrev_b64 v[0:1], 2, v[0:1]
	s_waitcnt lgkmcnt(0)
	v_lshl_add_u64 v[4:5], s[0:1], 0, v[0:1]
	v_lshlrev_b64 v[2:3], 2, v[2:3]
	s_ashr_i32 s3, s2, 31
	s_mul_hi_i32 s7, s25, s4
	s_mul_i32 s6, s25, s4
	v_lshl_add_u64 v[4:5], v[4:5], 0, v[2:3]
	s_lshl_b64 s[2:3], s[2:3], 2
	s_lshl_b64 s[6:7], s[6:7], 2
	v_lshl_add_u64 v[18:19], v[4:5], 0, s[2:3]
	v_mul_hi_i32 v5, v90, s16
	v_mul_lo_u32 v4, v90, s16
	s_add_u32 s6, s28, s6
	s_addc_u32 s7, s29, s7
	v_lshlrev_b64 v[4:5], 2, v[4:5]
	v_lshl_add_u64 v[0:1], v[0:1], 0, s[2:3]
	v_lshl_add_u64 v[20:21], s[6:7], 0, v[4:5]
	v_lshrrev_b32_e32 v5, 1, v16
	v_lshl_add_u64 v[0:1], v[0:1], 0, v[2:3]
	v_mul_u32_u24_e32 v4, 0x108, v92
	v_and_b32_e32 v5, 0x1f8, v5
	v_add_u32_e32 v26, 1, v90
	v_add_u32_e32 v27, 2, v90
	s_ashr_i32 s7, s15, 31
	s_mov_b32 s6, s15
	v_lshl_add_u64 v[0:1], s[0:1], 0, v[0:1]
	v_lshlrev_b32_e32 v22, 2, v93
	v_mov_b32_e32 v23, 0
	v_lshl_add_u32 v95, v16, 2, v6
	v_add3_u32 v96, v6, v4, v5
	s_lshl_b32 s20, s16, 1
	s_add_i32 s23, s15, s15
	s_mul_i32 s27, s15, 3
	s_lshl_b32 s30, s15, 2
	s_mul_i32 s31, s15, 5
	s_mul_i32 s33, s15, 6
	;; [unrolled: 1-line block ×3, first 2 shown]
	s_lshl_b32 s35, s15, 3
	s_mul_i32 s36, s15, 9
	s_mul_i32 s37, s15, 10
	;; [unrolled: 1-line block ×7, first 2 shown]
	s_lshl_b32 s43, s15, 4
	s_mul_i32 s44, s15, 17
	s_mul_i32 s45, s15, 18
	;; [unrolled: 1-line block ×15, first 2 shown]
	s_lshl_b32 s59, s15, 5
	s_mul_i32 s60, s15, 33
	s_mul_i32 s61, s15, 34
	;; [unrolled: 1-line block ×22, first 2 shown]
	v_cmp_gt_i32_e64 s[2:3], s13, v90
	s_mul_i32 s82, s15, 55
	s_mul_i32 s83, s15, 56
	s_lshl_b64 s[24:25], s[6:7], 2
	v_lshl_add_u64 v[24:25], v[0:1], 0, v[22:23]
	v_mov_b32_e32 v12, 0
	v_mov_b32_e32 v13, v23
	v_mov_b32_e32 v14, v23
	v_mov_b32_e32 v15, v23
	v_mov_b32_e32 v0, 0
	v_mov_b32_e32 v1, v23
	v_mov_b32_e32 v2, v23
	v_mov_b32_e32 v3, v23
	v_mov_b32_e32 v4, 0
	v_mov_b32_e32 v5, v23
	v_mov_b32_e32 v6, v23
	v_mov_b32_e32 v7, v23
	v_mov_b32_e32 v8, 0
	v_mov_b32_e32 v9, v23
	v_mov_b32_e32 v10, v23
	v_mov_b32_e32 v11, v23
	s_mul_i32 s84, s15, 57
	s_mul_i32 s85, s15, 58
	;; [unrolled: 1-line block ×7, first 2 shown]
	v_cmp_gt_i32_e64 s[0:1], s13, v26
	v_cmp_gt_i32_e64 s[6:7], s13, v27
	s_mov_b64 s[14:15], 0
	s_mov_b64 s[28:29], 0x600
	s_branch .LBB91_24
.LBB91_22:                              ;   in Loop: Header=BB91_24 Depth=1
	v_mul_lo_u32 v22, v22, s21
	v_add_u32_e32 v22, s20, v22
	v_add_u32_e32 v98, v22, v93
	v_ashrrev_i32_e32 v99, 31, v98
	v_lshl_add_u64 v[98:99], v[98:99], 2, v[20:21]
	global_load_dword v22, v[98:99], off
.LBB91_23:                              ;   in Loop: Header=BB91_24 Depth=1
	s_waitcnt vmcnt(0)
	ds_write2_b32 v95, v22, v23 offset0:148 offset1:214
	v_add_u32_e32 v22, 0x400, v95
	ds_write2_b32 v22, v23, v23 offset0:24 offset1:90
	ds_write2_b32 v22, v23, v23 offset0:156 offset1:222
	v_add_u32_e32 v22, 0x800, v95
	ds_write2_b32 v22, v23, v23 offset0:32 offset1:98
	;; [unrolled: 3-line block ×3, first 2 shown]
	ds_write2_b32 v22, v23, v23 offset0:172 offset1:238
	ds_read2_b64 v[98:101], v96 offset0:8 offset1:12
	v_add_u32_e32 v93, 0x180, v93
	s_waitcnt lgkmcnt(0)
	v_mfma_f32_16x16x4_f32 v[8:11], v56, v98, v[8:11]
	v_cmp_le_i32_e32 vcc, s12, v93
	v_lshl_add_u64 v[24:25], v[24:25], 0, s[28:29]
	s_or_b64 s[14:15], vcc, s[14:15]
	v_mfma_f32_16x16x4_f32 v[4:7], v68, v98, v[4:7]
	v_mfma_f32_16x16x4_f32 v[0:3], v80, v98, v[0:3]
	;; [unrolled: 1-line block ×15, first 2 shown]
	ds_read2_b64 v[86:89], v96 offset0:16 offset1:20
	s_waitcnt lgkmcnt(0)
	v_mfma_f32_16x16x4_f32 v[8:11], v42, v86, v[8:11]
	v_mfma_f32_16x16x4_f32 v[4:7], v60, v86, v[4:7]
	;; [unrolled: 1-line block ×15, first 2 shown]
	ds_read2_b64 v[64:67], v96 offset0:24 offset1:28
	v_mfma_f32_16x16x4_f32 v[12:15], v83, v89, v[12:15]
	s_waitcnt lgkmcnt(0)
	v_mfma_f32_16x16x4_f32 v[8:11], v34, v64, v[8:11]
	v_mfma_f32_16x16x4_f32 v[4:7], v46, v64, v[4:7]
	v_mfma_f32_16x16x4_f32 v[0:3], v62, v64, v[0:3]
	v_mfma_f32_16x16x4_f32 v[12:15], v78, v64, v[12:15]
	v_mfma_f32_16x16x4_f32 v[8:11], v35, v65, v[8:11]
	v_mfma_f32_16x16x4_f32 v[4:7], v47, v65, v[4:7]
	v_mfma_f32_16x16x4_f32 v[0:3], v63, v65, v[0:3]
	v_mfma_f32_16x16x4_f32 v[12:15], v79, v65, v[12:15]
	v_mfma_f32_16x16x4_f32 v[8:11], v30, v66, v[8:11]
	v_mfma_f32_16x16x4_f32 v[4:7], v40, v66, v[4:7]
	v_mfma_f32_16x16x4_f32 v[0:3], v58, v66, v[0:3]
	v_mfma_f32_16x16x4_f32 v[12:15], v74, v66, v[12:15]
	v_mfma_f32_16x16x4_f32 v[8:11], v31, v67, v[8:11]
	v_mfma_f32_16x16x4_f32 v[4:7], v41, v67, v[4:7]
	ds_read2_b64 v[38:41], v96 offset0:32 offset1:36
	v_mfma_f32_16x16x4_f32 v[0:3], v59, v67, v[0:3]
	v_mfma_f32_16x16x4_f32 v[12:15], v75, v67, v[12:15]
	s_waitcnt lgkmcnt(0)
	v_mfma_f32_16x16x4_f32 v[8:11], v28, v38, v[8:11]
	v_mfma_f32_16x16x4_f32 v[4:7], v36, v38, v[4:7]
	;; [unrolled: 1-line block ×16, first 2 shown]
	s_andn2_b64 exec, exec, s[14:15]
	s_cbranch_execz .LBB91_35
.LBB91_24:                              ; =>This Inner Loop Header: Depth=1
	v_lshl_add_u64 v[26:27], v[24:25], 0, s[24:25]
	global_load_dword v22, v[24:25], off
	global_load_dword v52, v[26:27], off
	v_add_u32_e32 v26, s23, v93
	v_ashrrev_i32_e32 v27, 31, v26
	v_add_u32_e32 v28, s27, v93
	v_add_u32_e32 v30, s30, v93
	;; [unrolled: 1-line block ×5, first 2 shown]
	v_lshl_add_u64 v[26:27], v[26:27], 2, v[18:19]
	v_ashrrev_i32_e32 v29, 31, v28
	v_ashrrev_i32_e32 v31, 31, v30
	;; [unrolled: 1-line block ×5, first 2 shown]
	v_lshl_add_u64 v[28:29], v[28:29], 2, v[18:19]
	v_lshl_add_u64 v[30:31], v[30:31], 2, v[18:19]
	;; [unrolled: 1-line block ×5, first 2 shown]
	global_load_dword v53, v[26:27], off
	global_load_dword v54, v[28:29], off
	;; [unrolled: 1-line block ×6, first 2 shown]
	v_add_u32_e32 v26, s35, v93
	v_add_u32_e32 v44, s44, v93
	;; [unrolled: 1-line block ×10, first 2 shown]
	v_ashrrev_i32_e32 v27, 31, v26
	v_ashrrev_i32_e32 v45, 31, v44
	;; [unrolled: 1-line block ×10, first 2 shown]
	v_lshl_add_u64 v[26:27], v[26:27], 2, v[18:19]
	v_lshl_add_u64 v[44:45], v[44:45], 2, v[18:19]
	v_add_u32_e32 v46, s45, v93
	v_add_u32_e32 v50, s47, v93
	v_lshl_add_u64 v[28:29], v[28:29], 2, v[18:19]
	v_lshl_add_u64 v[30:31], v[30:31], 2, v[18:19]
	;; [unrolled: 1-line block ×8, first 2 shown]
	global_load_dword v59, v[26:27], off
	global_load_dword v60, v[28:29], off
	;; [unrolled: 1-line block ×9, first 2 shown]
	s_nop 0
	global_load_dword v44, v[44:45], off
	v_add_u32_e32 v26, s48, v93
	v_add_u32_e32 v48, s46, v93
	v_ashrrev_i32_e32 v47, 31, v46
	v_ashrrev_i32_e32 v51, 31, v50
	;; [unrolled: 1-line block ×3, first 2 shown]
	v_add_u32_e32 v28, s49, v93
	v_add_u32_e32 v30, s50, v93
	;; [unrolled: 1-line block ×4, first 2 shown]
	v_ashrrev_i32_e32 v49, 31, v48
	v_lshl_add_u64 v[46:47], v[46:47], 2, v[18:19]
	v_lshl_add_u64 v[50:51], v[50:51], 2, v[18:19]
	;; [unrolled: 1-line block ×3, first 2 shown]
	v_ashrrev_i32_e32 v29, 31, v28
	v_ashrrev_i32_e32 v31, 31, v30
	;; [unrolled: 1-line block ×4, first 2 shown]
	v_lshl_add_u64 v[48:49], v[48:49], 2, v[18:19]
	v_lshl_add_u64 v[28:29], v[28:29], 2, v[18:19]
	;; [unrolled: 1-line block ×5, first 2 shown]
	v_add_u32_e32 v36, s58, v93
	v_add_u32_e32 v38, s59, v93
	;; [unrolled: 1-line block ×3, first 2 shown]
	v_ashrrev_i32_e32 v37, 31, v36
	v_ashrrev_i32_e32 v39, 31, v38
	;; [unrolled: 1-line block ×3, first 2 shown]
	v_lshl_add_u64 v[36:37], v[36:37], 2, v[18:19]
	s_waitcnt vmcnt(17)
	ds_write_b32 v95, v22 offset:64
	s_waitcnt vmcnt(16)
	ds_write_b32 v95, v52 offset:328
	;; [unrolled: 2-line block ×8, first 2 shown]
	global_load_dword v22, v[46:47], off
	global_load_dword v45, v[48:49], off
	s_nop 0
	global_load_dword v46, v[50:51], off
	global_load_dword v47, v[26:27], off
	s_nop 0
	global_load_dword v50, v[28:29], off
	global_load_dword v51, v[30:31], off
	;; [unrolled: 1-line block ×4, first 2 shown]
	v_add_u32_e32 v26, s53, v93
	v_ashrrev_i32_e32 v27, 31, v26
	v_add_u32_e32 v28, s54, v93
	v_add_u32_e32 v30, s55, v93
	;; [unrolled: 1-line block ×4, first 2 shown]
	v_lshl_add_u64 v[26:27], v[26:27], 2, v[18:19]
	v_ashrrev_i32_e32 v29, 31, v28
	v_ashrrev_i32_e32 v31, 31, v30
	;; [unrolled: 1-line block ×4, first 2 shown]
	v_lshl_add_u64 v[28:29], v[28:29], 2, v[18:19]
	v_lshl_add_u64 v[30:31], v[30:31], 2, v[18:19]
	v_lshl_add_u64 v[32:33], v[32:33], 2, v[18:19]
	v_lshl_add_u64 v[34:35], v[34:35], 2, v[18:19]
	v_lshl_add_u64 v[38:39], v[38:39], 2, v[18:19]
	v_lshl_add_u64 v[40:41], v[40:41], 2, v[18:19]
	global_load_dword v54, v[26:27], off
	global_load_dword v55, v[28:29], off
	global_load_dword v58, v[30:31], off
	global_load_dword v68, v[32:33], off
	global_load_dword v69, v[34:35], off
	global_load_dword v70, v[36:37], off
	global_load_dword v71, v[38:39], off
	global_load_dword v72, v[40:41], off
	v_add_u32_e32 v26, s61, v93
	v_ashrrev_i32_e32 v27, 31, v26
	v_add_u32_e32 v28, s62, v93
	v_add_u32_e32 v30, s63, v93
	v_add_u32_e32 v32, s64, v93
	v_add_u32_e32 v34, s65, v93
	v_add_u32_e32 v36, s66, v93
	v_add_u32_e32 v38, s67, v93
	v_add_u32_e32 v40, s68, v93
	v_lshl_add_u64 v[26:27], v[26:27], 2, v[18:19]
	v_ashrrev_i32_e32 v29, 31, v28
	v_ashrrev_i32_e32 v31, 31, v30
	v_ashrrev_i32_e32 v33, 31, v32
	v_ashrrev_i32_e32 v35, 31, v34
	v_ashrrev_i32_e32 v37, 31, v36
	v_ashrrev_i32_e32 v39, 31, v38
	v_ashrrev_i32_e32 v41, 31, v40
	v_lshl_add_u64 v[28:29], v[28:29], 2, v[18:19]
	v_lshl_add_u64 v[30:31], v[30:31], 2, v[18:19]
	v_lshl_add_u64 v[32:33], v[32:33], 2, v[18:19]
	v_lshl_add_u64 v[34:35], v[34:35], 2, v[18:19]
	v_lshl_add_u64 v[36:37], v[36:37], 2, v[18:19]
	v_lshl_add_u64 v[38:39], v[38:39], 2, v[18:19]
	v_lshl_add_u64 v[40:41], v[40:41], 2, v[18:19]
	global_load_dword v73, v[26:27], off
	global_load_dword v74, v[28:29], off
	global_load_dword v75, v[30:31], off
	global_load_dword v76, v[32:33], off
	global_load_dword v77, v[34:35], off
	global_load_dword v78, v[36:37], off
	global_load_dword v79, v[38:39], off
	global_load_dword v80, v[40:41], off
	v_add_u32_e32 v26, s69, v93
	v_ashrrev_i32_e32 v27, 31, v26
	v_add_u32_e32 v28, s70, v93
	v_add_u32_e32 v30, s71, v93
	v_add_u32_e32 v32, s72, v93
	v_add_u32_e32 v34, s73, v93
	v_add_u32_e32 v36, s74, v93
	v_add_u32_e32 v38, s75, v93
	v_add_u32_e32 v40, s76, v93
	v_lshl_add_u64 v[26:27], v[26:27], 2, v[18:19]
	v_ashrrev_i32_e32 v29, 31, v28
	v_ashrrev_i32_e32 v31, 31, v30
	v_ashrrev_i32_e32 v33, 31, v32
	v_ashrrev_i32_e32 v35, 31, v34
	v_ashrrev_i32_e32 v37, 31, v36
	v_ashrrev_i32_e32 v39, 31, v38
	v_ashrrev_i32_e32 v41, 31, v40
	v_lshl_add_u64 v[28:29], v[28:29], 2, v[18:19]
	v_lshl_add_u64 v[30:31], v[30:31], 2, v[18:19]
	v_lshl_add_u64 v[32:33], v[32:33], 2, v[18:19]
	v_lshl_add_u64 v[34:35], v[34:35], 2, v[18:19]
	v_lshl_add_u64 v[36:37], v[36:37], 2, v[18:19]
	v_lshl_add_u64 v[38:39], v[38:39], 2, v[18:19]
	v_lshl_add_u64 v[40:41], v[40:41], 2, v[18:19]
	global_load_dword v81, v[26:27], off
	global_load_dword v82, v[28:29], off
	global_load_dword v83, v[30:31], off
	global_load_dword v84, v[32:33], off
	global_load_dword v85, v[34:35], off
	global_load_dword v86, v[36:37], off
	global_load_dword v87, v[38:39], off
	global_load_dword v88, v[40:41], off
	v_add_u32_e32 v26, s77, v93
	v_ashrrev_i32_e32 v27, 31, v26
	v_add_u32_e32 v28, s78, v93
	v_add_u32_e32 v30, s79, v93
	v_add_u32_e32 v32, s80, v93
	v_add_u32_e32 v34, s81, v93
	v_add_u32_e32 v36, s82, v93
	v_add_u32_e32 v38, s83, v93
	v_add_u32_e32 v40, s84, v93
	v_lshl_add_u64 v[26:27], v[26:27], 2, v[18:19]
	v_ashrrev_i32_e32 v29, 31, v28
	v_ashrrev_i32_e32 v31, 31, v30
	v_ashrrev_i32_e32 v33, 31, v32
	v_ashrrev_i32_e32 v35, 31, v34
	v_ashrrev_i32_e32 v37, 31, v36
	v_ashrrev_i32_e32 v39, 31, v38
	v_ashrrev_i32_e32 v41, 31, v40
	v_lshl_add_u64 v[28:29], v[28:29], 2, v[18:19]
	v_lshl_add_u64 v[30:31], v[30:31], 2, v[18:19]
	v_lshl_add_u64 v[32:33], v[32:33], 2, v[18:19]
	;; [unrolled: 1-line block ×6, first 2 shown]
	global_load_dword v89, v[26:27], off
	global_load_dword v97, v[28:29], off
	;; [unrolled: 1-line block ×8, first 2 shown]
	v_add_u32_e32 v26, s85, v93
	v_ashrrev_i32_e32 v27, 31, v26
	v_add_u32_e32 v28, s86, v93
	v_add_u32_e32 v30, s87, v93
	;; [unrolled: 1-line block ×5, first 2 shown]
	v_lshl_add_u64 v[26:27], v[26:27], 2, v[18:19]
	v_ashrrev_i32_e32 v29, 31, v28
	v_ashrrev_i32_e32 v31, 31, v30
	v_ashrrev_i32_e32 v33, 31, v32
	v_ashrrev_i32_e32 v35, 31, v34
	v_ashrrev_i32_e32 v37, 31, v36
	v_lshl_add_u64 v[28:29], v[28:29], 2, v[18:19]
	v_lshl_add_u64 v[30:31], v[30:31], 2, v[18:19]
	;; [unrolled: 1-line block ×5, first 2 shown]
	global_load_dword v104, v[26:27], off
	global_load_dword v105, v[28:29], off
	;; [unrolled: 1-line block ×6, first 2 shown]
	s_waitcnt vmcnt(55)
	ds_write_b32 v95, v59 offset:2176
	s_waitcnt vmcnt(54)
	ds_write_b32 v95, v60 offset:2440
	s_waitcnt vmcnt(53)
	ds_write_b32 v95, v61 offset:2704
	s_waitcnt vmcnt(52)
	ds_write_b32 v95, v62 offset:2968
	s_waitcnt vmcnt(51)
	ds_write_b32 v95, v63 offset:3232
	s_waitcnt vmcnt(50)
	ds_write_b32 v95, v64 offset:3496
	s_waitcnt vmcnt(49)
	ds_write_b32 v95, v65 offset:3760
	s_waitcnt vmcnt(48)
	ds_write_b32 v95, v66 offset:4024
	ds_read_b64 v[56:57], v96 offset:64
	ds_read_b64 v[48:49], v96 offset:96
	ds_read_b64 v[42:43], v96 offset:128
	ds_read_b64 v[38:39], v96 offset:160
	ds_read_b64 v[34:35], v96 offset:192
	ds_read_b64 v[30:31], v96 offset:224
	ds_read_b64 v[28:29], v96 offset:256
	ds_read_b64 v[26:27], v96 offset:288
	s_waitcnt vmcnt(47)
	ds_write_b32 v95, v67 offset:64
	s_waitcnt vmcnt(46)
	ds_write_b32 v95, v44 offset:328
	s_waitcnt vmcnt(45)
	ds_write_b32 v95, v22 offset:592
	s_waitcnt vmcnt(44)
	ds_write_b32 v95, v45 offset:856
	s_waitcnt vmcnt(43)
	ds_write_b32 v95, v46 offset:1120
	s_waitcnt vmcnt(42)
	ds_write_b32 v95, v47 offset:1384
	s_waitcnt vmcnt(41)
	ds_write_b32 v95, v50 offset:1648
	s_waitcnt vmcnt(40)
	ds_write_b32 v95, v51 offset:1912
	s_waitcnt vmcnt(39)
	ds_write_b32 v95, v52 offset:2176
	s_waitcnt vmcnt(38)
	ds_write_b32 v95, v53 offset:2440
	s_waitcnt vmcnt(37)
	ds_write_b32 v95, v54 offset:2704
	s_waitcnt vmcnt(36)
	ds_write_b32 v95, v55 offset:2968
	s_waitcnt vmcnt(35)
	ds_write_b32 v95, v58 offset:3232
	s_waitcnt vmcnt(34)
	ds_write_b32 v95, v68 offset:3496
	s_waitcnt vmcnt(33)
	ds_write_b32 v95, v69 offset:3760
	s_waitcnt vmcnt(32)
	ds_write_b32 v95, v70 offset:4024
	ds_read_b64 v[68:69], v96 offset:64
	ds_read_b64 v[64:65], v96 offset:96
	ds_read_b64 v[60:61], v96 offset:128
	ds_read_b64 v[52:53], v96 offset:160
	ds_read_b64 v[46:47], v96 offset:192
	ds_read_b64 v[40:41], v96 offset:224
	ds_read_b64 v[36:37], v96 offset:256
	ds_read_b64 v[32:33], v96 offset:288
	s_waitcnt vmcnt(31)
	ds_write_b32 v95, v71 offset:64
	s_waitcnt vmcnt(30)
	ds_write_b32 v95, v72 offset:328
	s_waitcnt vmcnt(29)
	ds_write_b32 v95, v73 offset:592
	s_waitcnt vmcnt(28)
	ds_write_b32 v95, v74 offset:856
	s_waitcnt vmcnt(27)
	ds_write_b32 v95, v75 offset:1120
	s_waitcnt vmcnt(26)
	ds_write_b32 v95, v76 offset:1384
	s_waitcnt vmcnt(25)
	ds_write_b32 v95, v77 offset:1648
	s_waitcnt vmcnt(24)
	ds_write_b32 v95, v78 offset:1912
	;; [unrolled: 40-line block ×3, first 2 shown]
	s_waitcnt vmcnt(7)
	ds_write_b32 v95, v102 offset:2176
	s_waitcnt vmcnt(6)
	ds_write_b32 v95, v103 offset:2440
	s_waitcnt vmcnt(5)
	ds_write_b32 v95, v104 offset:2704
	s_waitcnt vmcnt(4)
	ds_write_b32 v95, v105 offset:2968
	s_waitcnt vmcnt(3)
	ds_write_b32 v95, v106 offset:3232
	s_waitcnt vmcnt(2)
	ds_write_b32 v95, v107 offset:3496
	s_waitcnt vmcnt(1)
	ds_write_b32 v95, v108 offset:3760
	s_waitcnt vmcnt(0)
	ds_write_b32 v95, v109 offset:4024
	ds_read_b64 v[88:89], v96 offset:64
	ds_read_b64 v[86:87], v96 offset:96
	;; [unrolled: 1-line block ×8, first 2 shown]
	s_andn2_b64 vcc, exec, s[2:3]
	v_mov_b32_e32 v22, 0
	s_cbranch_vccnz .LBB91_28
; %bb.25:                               ;   in Loop: Header=BB91_24 Depth=1
	ds_read_b32 v22, v94
	s_waitcnt lgkmcnt(0)
	v_cmp_gt_i32_e32 vcc, 0, v22
	s_cbranch_vccnz .LBB91_27
; %bb.26:                               ;   in Loop: Header=BB91_24 Depth=1
	v_mul_lo_u32 v22, v22, s21
	v_add_u32_e32 v98, v93, v22
	v_ashrrev_i32_e32 v99, 31, v98
	v_lshl_add_u64 v[98:99], v[98:99], 2, v[20:21]
	global_load_dword v22, v[98:99], off
	s_branch .LBB91_28
.LBB91_27:                              ;   in Loop: Header=BB91_24 Depth=1
	v_mov_b32_e32 v22, 0
.LBB91_28:                              ;   in Loop: Header=BB91_24 Depth=1
	s_waitcnt vmcnt(0)
	ds_write_b32 v95, v22 offset:64
	v_mov_b32_e32 v22, 0
	s_andn2_b64 vcc, exec, s[0:1]
	v_mov_b32_e32 v97, 0
	s_cbranch_vccnz .LBB91_31
; %bb.29:                               ;   in Loop: Header=BB91_24 Depth=1
	ds_read_b32 v97, v94 offset:4
	s_waitcnt lgkmcnt(0)
	v_cmp_gt_i32_e32 vcc, 0, v97
	s_cbranch_vccnz .LBB91_34
; %bb.30:                               ;   in Loop: Header=BB91_24 Depth=1
	v_mul_lo_u32 v97, v97, s21
	v_add_u32_e32 v97, s16, v97
	v_add_u32_e32 v98, v97, v93
	v_ashrrev_i32_e32 v99, 31, v98
	v_lshl_add_u64 v[98:99], v[98:99], 2, v[20:21]
	global_load_dword v97, v[98:99], off
.LBB91_31:                              ;   in Loop: Header=BB91_24 Depth=1
	s_andn2_b64 vcc, exec, s[6:7]
	s_waitcnt vmcnt(0)
	ds_write_b32 v95, v97 offset:328
	s_cbranch_vccnz .LBB91_23
.LBB91_32:                              ;   in Loop: Header=BB91_24 Depth=1
	ds_read_b32 v22, v94 offset:8
	s_waitcnt lgkmcnt(0)
	v_cmp_gt_i32_e32 vcc, 0, v22
	s_cbranch_vccz .LBB91_22
; %bb.33:                               ;   in Loop: Header=BB91_24 Depth=1
	v_mov_b32_e32 v22, 0
	s_branch .LBB91_23
.LBB91_34:                              ;   in Loop: Header=BB91_24 Depth=1
	v_mov_b32_e32 v97, 0
	s_andn2_b64 vcc, exec, s[6:7]
	ds_write_b32 v95, v97 offset:328
	s_cbranch_vccnz .LBB91_23
	s_branch .LBB91_32
.LBB91_35:
	s_or_b64 exec, exec, s[14:15]
.LBB91_36:
	s_or_b64 exec, exec, s[18:19]
	v_mov_b32_e32 v18, 0x100
	v_lshl_add_u32 v18, v91, 2, v18
	v_mul_u32_u24_e32 v19, 0x608, v92
	v_and_b32_e32 v20, 0x3f0, v16
	v_add3_u32 v19, v18, v19, v20
	v_cmp_gt_u32_e32 vcc, 3, v17
	s_waitcnt lgkmcnt(0)
	s_barrier
	ds_write2_b32 v19, v8, v9 offset0:16 offset1:17
	ds_write2_b32 v19, v10, v11 offset0:18 offset1:19
	;; [unrolled: 1-line block ×8, first 2 shown]
	s_waitcnt lgkmcnt(0)
	s_barrier
	s_and_saveexec_b64 s[0:1], vcc
	s_cbranch_execz .LBB91_39
; %bb.37:
	s_movk_i32 s0, 0xff04
	v_mad_i32_i24 v0, v17, s0, v18
	ds_read_b32 v0, v0
	s_waitcnt lgkmcnt(0)
	v_cmp_lt_i32_e32 vcc, -1, v0
	s_and_b64 s[0:1], vcc, s[8:9]
	s_and_b64 exec, exec, s[0:1]
	s_cbranch_execz .LBB91_39
; %bb.38:
	v_lshlrev_b32_e32 v4, 2, v16
	s_movk_i32 s2, 0x100
	v_mul_u32_u24_e32 v5, 0x608, v17
	v_add3_u32 v8, s2, v4, v5
	ds_read2_b32 v[4:5], v8 offset0:16 offset1:80
	ds_read2_b32 v[6:7], v8 offset0:144 offset1:208
	v_add_u32_e32 v8, 64, v8
	ds_read2st64_b32 v[8:9], v8 offset0:4 offset1:5
	s_mul_hi_i32 s1, s26, s4
	s_mul_i32 s0, s26, s4
	s_waitcnt lgkmcnt(2)
	v_add_f32_e32 v4, 0, v4
	s_lshl_b64 s[0:1], s[0:1], 2
	v_add_f32_e32 v4, v4, v5
	v_mul_hi_i32 v3, v90, s17
	v_mul_lo_u32 v2, v90, s17
	s_add_u32 s0, s10, s0
	s_waitcnt lgkmcnt(1)
	v_add_f32_e32 v4, v4, v6
	v_add_u32_e32 v1, s5, v16
	s_addc_u32 s1, s11, s1
	v_lshlrev_b64 v[2:3], 2, v[2:3]
	v_add_f32_e32 v4, v4, v7
	v_mul_lo_u32 v0, v0, s22
	v_mul_lo_u32 v5, v17, s17
	v_lshl_add_u64 v[2:3], s[0:1], 0, v[2:3]
	s_waitcnt lgkmcnt(0)
	v_add_f32_e32 v4, v4, v8
	v_add3_u32 v0, v1, v5, v0
	v_mov_b32_e32 v1, 0
	v_add_f32_e32 v4, v4, v9
	v_lshl_add_u64 v[0:1], v[0:1], 2, v[2:3]
	global_store_dword v[0:1], v4, off
.LBB91_39:
	s_endpgm
	.section	.rodata,"a",@progbits
	.p2align	6, 0x0
	.amdhsa_kernel _ZL9mul_mat_fIfLi64ELi3ELi6ELb1EEvPKT_PKfPKiPfiiiiiiiiiiiiiiii
		.amdhsa_group_segment_fixed_size 256
		.amdhsa_private_segment_fixed_size 0
		.amdhsa_kernarg_size 352
		.amdhsa_user_sgpr_count 2
		.amdhsa_user_sgpr_dispatch_ptr 0
		.amdhsa_user_sgpr_queue_ptr 0
		.amdhsa_user_sgpr_kernarg_segment_ptr 1
		.amdhsa_user_sgpr_dispatch_id 0
		.amdhsa_user_sgpr_kernarg_preload_length 0
		.amdhsa_user_sgpr_kernarg_preload_offset 0
		.amdhsa_user_sgpr_private_segment_size 0
		.amdhsa_uses_dynamic_stack 0
		.amdhsa_enable_private_segment 0
		.amdhsa_system_sgpr_workgroup_id_x 1
		.amdhsa_system_sgpr_workgroup_id_y 1
		.amdhsa_system_sgpr_workgroup_id_z 1
		.amdhsa_system_sgpr_workgroup_info 0
		.amdhsa_system_vgpr_workitem_id 2
		.amdhsa_next_free_vgpr 110
		.amdhsa_next_free_sgpr 91
		.amdhsa_accum_offset 112
		.amdhsa_reserve_vcc 1
		.amdhsa_float_round_mode_32 0
		.amdhsa_float_round_mode_16_64 0
		.amdhsa_float_denorm_mode_32 3
		.amdhsa_float_denorm_mode_16_64 3
		.amdhsa_dx10_clamp 1
		.amdhsa_ieee_mode 1
		.amdhsa_fp16_overflow 0
		.amdhsa_tg_split 0
		.amdhsa_exception_fp_ieee_invalid_op 0
		.amdhsa_exception_fp_denorm_src 0
		.amdhsa_exception_fp_ieee_div_zero 0
		.amdhsa_exception_fp_ieee_overflow 0
		.amdhsa_exception_fp_ieee_underflow 0
		.amdhsa_exception_fp_ieee_inexact 0
		.amdhsa_exception_int_div_zero 0
	.end_amdhsa_kernel
	.section	.text._ZL9mul_mat_fIfLi64ELi3ELi6ELb1EEvPKT_PKfPKiPfiiiiiiiiiiiiiiii,"axG",@progbits,_ZL9mul_mat_fIfLi64ELi3ELi6ELb1EEvPKT_PKfPKiPfiiiiiiiiiiiiiiii,comdat
.Lfunc_end91:
	.size	_ZL9mul_mat_fIfLi64ELi3ELi6ELb1EEvPKT_PKfPKiPfiiiiiiiiiiiiiiii, .Lfunc_end91-_ZL9mul_mat_fIfLi64ELi3ELi6ELb1EEvPKT_PKfPKiPfiiiiiiiiiiiiiiii
                                        ; -- End function
	.set _ZL9mul_mat_fIfLi64ELi3ELi6ELb1EEvPKT_PKfPKiPfiiiiiiiiiiiiiiii.num_vgpr, 110
	.set _ZL9mul_mat_fIfLi64ELi3ELi6ELb1EEvPKT_PKfPKiPfiiiiiiiiiiiiiiii.num_agpr, 0
	.set _ZL9mul_mat_fIfLi64ELi3ELi6ELb1EEvPKT_PKfPKiPfiiiiiiiiiiiiiiii.numbered_sgpr, 91
	.set _ZL9mul_mat_fIfLi64ELi3ELi6ELb1EEvPKT_PKfPKiPfiiiiiiiiiiiiiiii.num_named_barrier, 0
	.set _ZL9mul_mat_fIfLi64ELi3ELi6ELb1EEvPKT_PKfPKiPfiiiiiiiiiiiiiiii.private_seg_size, 0
	.set _ZL9mul_mat_fIfLi64ELi3ELi6ELb1EEvPKT_PKfPKiPfiiiiiiiiiiiiiiii.uses_vcc, 1
	.set _ZL9mul_mat_fIfLi64ELi3ELi6ELb1EEvPKT_PKfPKiPfiiiiiiiiiiiiiiii.uses_flat_scratch, 0
	.set _ZL9mul_mat_fIfLi64ELi3ELi6ELb1EEvPKT_PKfPKiPfiiiiiiiiiiiiiiii.has_dyn_sized_stack, 0
	.set _ZL9mul_mat_fIfLi64ELi3ELi6ELb1EEvPKT_PKfPKiPfiiiiiiiiiiiiiiii.has_recursion, 0
	.set _ZL9mul_mat_fIfLi64ELi3ELi6ELb1EEvPKT_PKfPKiPfiiiiiiiiiiiiiiii.has_indirect_call, 0
	.section	.AMDGPU.csdata,"",@progbits
; Kernel info:
; codeLenInByte = 5680
; TotalNumSgprs: 97
; NumVgprs: 110
; NumAgprs: 0
; TotalNumVgprs: 110
; ScratchSize: 0
; MemoryBound: 0
; FloatMode: 240
; IeeeMode: 1
; LDSByteSize: 256 bytes/workgroup (compile time only)
; SGPRBlocks: 12
; VGPRBlocks: 13
; NumSGPRsForWavesPerEU: 97
; NumVGPRsForWavesPerEU: 110
; AccumOffset: 112
; Occupancy: 4
; WaveLimiterHint : 0
; COMPUTE_PGM_RSRC2:SCRATCH_EN: 0
; COMPUTE_PGM_RSRC2:USER_SGPR: 2
; COMPUTE_PGM_RSRC2:TRAP_HANDLER: 0
; COMPUTE_PGM_RSRC2:TGID_X_EN: 1
; COMPUTE_PGM_RSRC2:TGID_Y_EN: 1
; COMPUTE_PGM_RSRC2:TGID_Z_EN: 1
; COMPUTE_PGM_RSRC2:TIDIG_COMP_CNT: 2
; COMPUTE_PGM_RSRC3_GFX90A:ACCUM_OFFSET: 27
; COMPUTE_PGM_RSRC3_GFX90A:TG_SPLIT: 0
	.section	.text._ZL9mul_mat_fIfLi64ELi3ELi6ELb0EEvPKT_PKfPKiPfiiiiiiiiiiiiiiii,"axG",@progbits,_ZL9mul_mat_fIfLi64ELi3ELi6ELb0EEvPKT_PKfPKiPfiiiiiiiiiiiiiiii,comdat
	.globl	_ZL9mul_mat_fIfLi64ELi3ELi6ELb0EEvPKT_PKfPKiPfiiiiiiiiiiiiiiii ; -- Begin function _ZL9mul_mat_fIfLi64ELi3ELi6ELb0EEvPKT_PKfPKiPfiiiiiiiiiiiiiiii
	.p2align	8
	.type	_ZL9mul_mat_fIfLi64ELi3ELi6ELb0EEvPKT_PKfPKiPfiiiiiiiiiiiiiiii,@function
_ZL9mul_mat_fIfLi64ELi3ELi6ELb0EEvPKT_PKfPKiPfiiiiiiiiiiiiiiii: ; @_ZL9mul_mat_fIfLi64ELi3ELi6ELb0EEvPKT_PKfPKiPfiiiiiiiiiiiiiiii
; %bb.0:
	s_load_dword s5, s[0:1], 0x20
	s_load_dwordx4 s[16:19], s[0:1], 0x2c
	v_bfe_u32 v56, v0, 10, 10
	v_lshlrev_b32_e32 v58, 6, v56
	v_and_b32_e32 v57, 0x3ff, v0
	v_add_u32_e32 v60, v58, v57
	s_waitcnt lgkmcnt(0)
	s_ashr_i32 s19, s4, 31
	v_cmp_le_i32_e32 vcc, s5, v60
	v_and_b32_e32 v59, 15, v57
	s_and_saveexec_b64 s[6:7], vcc
	s_xor_b64 s[6:7], exec, s[6:7]
; %bb.1:
	v_and_b32_e32 v59, 15, v57
                                        ; implicit-def: $vgpr60
; %bb.2:
	s_or_saveexec_b64 s[24:25], s[6:7]
	s_load_dwordx8 s[8:15], s[0:1], 0x40
	s_load_dwordx2 s[6:7], s[0:1], 0x18
	v_mov_b32_e32 v15, 0
	s_lshl_b32 s2, s2, 6
	v_lshlrev_b32_e32 v16, 2, v57
	v_mov_b32_e32 v14, v15
	v_mov_b32_e32 v13, v15
	;; [unrolled: 1-line block ×15, first 2 shown]
	s_xor_b64 exec, exec, s[24:25]
	s_cbranch_execz .LBB92_6
; %bb.3:
	s_waitcnt lgkmcnt(0)
	s_abs_i32 s26, s8
	v_cvt_f32_u32_e32 v0, s26
	s_abs_i32 s27, s12
	v_cvt_f32_u32_e32 v1, s27
	s_sub_i32 s20, 0, s26
	v_rcp_iflag_f32_e32 v0, v0
	s_abs_i32 s28, s3
	v_rcp_iflag_f32_e32 v1, v1
	s_sub_i32 s21, 0, s27
	v_mul_f32_e32 v0, 0x4f7ffffe, v0
	v_cvt_u32_f32_e32 v0, v0
	v_mul_f32_e32 v1, 0x4f7ffffe, v1
	v_cvt_u32_f32_e32 v1, v1
	s_abs_i32 s29, s4
	v_mul_lo_u32 v2, s20, v0
	v_mul_hi_u32 v2, v0, v2
	v_add_u32_e32 v0, v0, v2
	v_mul_hi_u32 v0, s28, v0
	v_mul_lo_u32 v3, s21, v1
	v_mul_lo_u32 v2, v0, s26
	v_mul_hi_u32 v3, v1, v3
	v_sub_u32_e32 v2, s28, v2
	v_add_u32_e32 v1, v1, v3
	v_add_u32_e32 v3, 1, v0
	v_subrev_u32_e32 v4, s26, v2
	v_cmp_le_u32_e32 vcc, s26, v2
	s_load_dwordx4 s[20:23], s[0:1], 0x0
	s_ashr_i32 s0, s3, 31
	v_cndmask_b32_e32 v0, v0, v3, vcc
	v_cndmask_b32_e32 v2, v2, v4, vcc
	s_ashr_i32 s1, s8, 31
	v_add_u32_e32 v3, 1, v0
	v_cmp_le_u32_e32 vcc, s26, v2
	s_xor_b32 s0, s0, s1
	v_mul_hi_u32 v1, s29, v1
	v_cndmask_b32_e32 v0, v0, v3, vcc
	v_xor_b32_e32 v0, s0, v0
	v_subrev_u32_e32 v2, s0, v0
	v_mul_lo_u32 v0, v1, s27
	v_sub_u32_e32 v0, s29, v0
	v_add_u32_e32 v3, 1, v1
	v_subrev_u32_e32 v4, s27, v0
	v_cmp_le_u32_e32 vcc, s27, v0
	s_ashr_i32 s8, s12, 31
	s_xor_b32 s0, s19, s8
	v_cndmask_b32_e32 v1, v1, v3, vcc
	v_cndmask_b32_e32 v0, v0, v4, vcc
	v_add_u32_e32 v3, 1, v1
	v_cmp_le_u32_e32 vcc, s27, v0
	v_mul_lo_u32 v2, v2, s9
	s_mul_hi_i32 s9, s14, s4
	v_cndmask_b32_e32 v0, v1, v3, vcc
	s_mul_i32 s8, s14, s4
	v_xor_b32_e32 v0, s0, v0
	s_lshl_b64 s[8:9], s[8:9], 2
	v_subrev_u32_e32 v0, s0, v0
	s_mul_i32 s0, s16, s2
	s_mul_i32 s26, s10, s3
	s_waitcnt lgkmcnt(0)
	s_add_u32 s10, s22, s8
	v_mul_hi_i32 v1, v0, s13
	v_mul_lo_u32 v0, v0, s13
	s_addc_u32 s14, s23, s9
	s_ashr_i32 s1, s0, 31
	s_ashr_i32 s27, s26, 31
	v_ashrrev_i32_e32 v3, 31, v2
	v_lshlrev_b64 v[0:1], 2, v[0:1]
	s_lshl_b64 s[12:13], s[0:1], 2
	s_lshl_b64 s[66:67], s[26:27], 2
	v_lshl_add_u64 v[4:5], s[20:21], 0, v[0:1]
	v_lshlrev_b64 v[2:3], 2, v[2:3]
	s_add_u32 s0, s10, s66
	v_lshl_add_u64 v[4:5], v[4:5], 0, v[2:3]
	s_addc_u32 s1, s14, s67
	s_movk_i32 s10, 0x1080
	s_ashr_i32 s69, s16, 31
	s_mov_b32 s68, s16
	s_ashr_i32 s71, s17, 31
	s_mov_b32 s70, s17
	v_lshl_add_u64 v[18:19], v[4:5], 0, s[12:13]
	v_mad_u32_u24 v4, v56, s10, 0
	v_lshrrev_b32_e32 v6, 1, v57
	s_add_i32 s10, s16, s16
	s_add_i32 s14, s17, s17
	s_lshl_b32 s19, s16, 2
	s_lshl_b32 s29, s16, 3
	;; [unrolled: 1-line block ×4, first 2 shown]
	s_lshl_b64 s[72:73], s[68:69], 2
	s_lshl_b64 s[74:75], s[70:71], 2
	v_mul_u32_u24_e32 v5, 0x108, v59
	v_and_b32_e32 v6, 0x1f8, v6
	s_add_u32 s76, s22, s66
	v_mov_b32_e32 v17, 0
	v_add3_u32 v62, v4, v5, v6
	s_addc_u32 s77, s23, s67
	v_lshl_add_u64 v[2:3], s[20:21], 0, v[2:3]
	v_lshlrev_b32_e32 v6, 8, v56
	v_mov_b32_e32 v7, v17
	v_lshl_add_u64 v[2:3], v[2:3], 0, s[12:13]
	v_lshl_add_u64 v[8:9], s[8:9], 0, v[6:7]
	s_add_u32 s8, s76, s74
	v_add_u32_e32 v61, v4, v16
	v_lshl_add_u64 v[4:5], v[2:3], 0, s[72:73]
	s_addc_u32 s9, s77, s75
	v_lshl_add_u64 v[0:1], v[0:1], 0, v[6:7]
	s_mul_i32 s17, s16, 3
	s_mul_i32 s26, s16, 5
	;; [unrolled: 1-line block ×49, first 2 shown]
	v_lshl_add_u64 v[20:21], s[8:9], 0, v[8:9]
	s_mul_i32 s74, s16, 56
	s_mul_i32 s75, s16, 57
	v_lshl_add_u64 v[22:23], s[76:77], 0, v[8:9]
	s_mul_i32 s76, s16, 58
	s_mul_i32 s77, s16, 59
	v_lshl_add_u64 v[24:25], v[4:5], 0, v[0:1]
	v_lshl_add_u64 v[26:27], v[2:3], 0, v[0:1]
	v_mov_b32_e32 v0, v17
	v_mov_b32_e32 v1, v17
	v_mov_b32_e32 v2, v17
	v_mov_b32_e32 v3, v17
	v_mov_b32_e32 v4, v17
	v_mov_b32_e32 v5, v17
	v_mov_b32_e32 v6, v17
	v_mov_b32_e32 v8, v17
	v_mov_b32_e32 v9, v17
	v_mov_b32_e32 v10, v17
	v_mov_b32_e32 v11, v17
	v_mov_b32_e32 v12, v17
	v_mov_b32_e32 v13, v17
	v_mov_b32_e32 v14, v17
	v_mov_b32_e32 v15, v17
	s_mul_i32 s78, s16, 60
	s_mul_i32 s79, s16, 61
	;; [unrolled: 1-line block ×4, first 2 shown]
	s_mov_b64 s[8:9], 0
	s_mov_b64 s[12:13], 0x600
.LBB92_4:                               ; =>This Inner Loop Header: Depth=1
	v_add_u32_e32 v42, s10, v60
	v_add_u32_e32 v38, s19, v60
	;; [unrolled: 1-line block ×14, first 2 shown]
	v_ashrrev_i32_e32 v43, 31, v42
	v_ashrrev_i32_e32 v39, 31, v38
	;; [unrolled: 1-line block ×8, first 2 shown]
	v_lshl_add_u64 v[52:53], v[26:27], 0, v[16:17]
	v_lshl_add_u64 v[54:55], v[24:25], 0, v[16:17]
	;; [unrolled: 1-line block ×3, first 2 shown]
	v_add_u32_e32 v72, s38, v60
	v_add_u32_e32 v74, s39, v60
	v_ashrrev_i32_e32 v51, 31, v50
	v_lshl_add_u64 v[42:43], v[42:43], 2, v[18:19]
	v_ashrrev_i32_e32 v49, 31, v48
	v_lshl_add_u64 v[38:39], v[38:39], 2, v[18:19]
	;; [unrolled: 2-line block ×4, first 2 shown]
	v_lshl_add_u64 v[30:31], v[30:31], 2, v[18:19]
	v_lshl_add_u64 v[40:41], v[40:41], 2, v[18:19]
	;; [unrolled: 1-line block ×4, first 2 shown]
	v_ashrrev_i32_e32 v69, 31, v68
	v_ashrrev_i32_e32 v71, 31, v70
	v_lshl_add_u64 v[66:67], v[20:21], 0, v[16:17]
	v_add_u32_e32 v76, s40, v60
	v_add_u32_e32 v78, s41, v60
	global_load_dword v63, v[52:53], off
	s_nop 0
	global_load_dword v54, v[54:55], off
	s_nop 0
	global_load_dword v52, v[64:65], off
	global_load_dword v53, v[66:67], off
	v_lshl_add_u64 v[50:51], v[50:51], 2, v[18:19]
	global_load_dword v42, v[42:43], off
	s_nop 0
	global_load_dword v43, v[50:51], off
	v_lshl_add_u64 v[48:49], v[48:49], 2, v[18:19]
	global_load_dword v38, v[38:39], off
	s_nop 0
	;; [unrolled: 4-line block ×4, first 2 shown]
	global_load_dword v33, v[44:45], off
	s_nop 0
	global_load_dword v30, v[30:31], off
	s_nop 0
	;; [unrolled: 2-line block ×4, first 2 shown]
	global_load_dword v29, v[36:37], off
	v_lshl_add_u64 v[36:37], v[68:69], 2, v[18:19]
	v_lshl_add_u64 v[40:41], v[70:71], 2, v[18:19]
	v_ashrrev_i32_e32 v73, 31, v72
	v_ashrrev_i32_e32 v75, 31, v74
	v_add_u32_e32 v80, s42, v60
	v_add_u32_e32 v82, s43, v60
	global_load_dword v36, v[36:37], off
	s_nop 0
	global_load_dword v37, v[40:41], off
	v_lshl_add_u64 v[40:41], v[72:73], 2, v[18:19]
	v_lshl_add_u64 v[44:45], v[74:75], 2, v[18:19]
	v_ashrrev_i32_e32 v77, 31, v76
	v_ashrrev_i32_e32 v79, 31, v78
	v_add_u32_e32 v84, s44, v60
	v_add_u32_e32 v86, s45, v60
	global_load_dword v40, v[40:41], off
	s_nop 0
	global_load_dword v41, v[44:45], off
	v_lshl_add_u64 v[44:45], v[76:77], 2, v[18:19]
	v_lshl_add_u64 v[46:47], v[78:79], 2, v[18:19]
	v_ashrrev_i32_e32 v81, 31, v80
	v_ashrrev_i32_e32 v83, 31, v82
	v_add_u32_e32 v88, s46, v60
	v_add_u32_e32 v64, s48, v60
	;; [unrolled: 1-line block ×4, first 2 shown]
	global_load_dword v44, v[44:45], off
	s_nop 0
	global_load_dword v45, v[46:47], off
	v_lshl_add_u64 v[46:47], v[80:81], 2, v[18:19]
	v_lshl_add_u64 v[48:49], v[82:83], 2, v[18:19]
	v_ashrrev_i32_e32 v85, 31, v84
	v_ashrrev_i32_e32 v87, 31, v86
	v_add_u32_e32 v90, s47, v60
	v_add_u32_e32 v66, s49, v60
	;; [unrolled: 1-line block ×4, first 2 shown]
	global_load_dword v46, v[46:47], off
	s_nop 0
	global_load_dword v47, v[48:49], off
	v_lshl_add_u64 v[48:49], v[84:85], 2, v[18:19]
	v_lshl_add_u64 v[50:51], v[86:87], 2, v[18:19]
	v_ashrrev_i32_e32 v89, 31, v88
	v_ashrrev_i32_e32 v65, 31, v64
	;; [unrolled: 1-line block ×4, first 2 shown]
	v_add_u32_e32 v100, s54, v60
	v_add_u32_e32 v68, s55, v60
	;; [unrolled: 1-line block ×4, first 2 shown]
	global_load_dword v48, v[48:49], off
	s_nop 0
	global_load_dword v49, v[50:51], off
	v_ashrrev_i32_e32 v91, 31, v90
	v_lshl_add_u64 v[50:51], v[88:89], 2, v[18:19]
	v_ashrrev_i32_e32 v67, 31, v66
	v_lshl_add_u64 v[64:65], v[64:65], 2, v[18:19]
	v_lshl_add_u64 v[80:81], v[92:93], 2, v[18:19]
	v_lshl_add_u64 v[82:83], v[94:95], 2, v[18:19]
	v_ashrrev_i32_e32 v97, 31, v96
	v_ashrrev_i32_e32 v99, 31, v98
	v_add_u32_e32 v74, s58, v60
	v_add_u32_e32 v76, s59, v60
	v_lshl_add_u64 v[78:79], v[90:91], 2, v[18:19]
	global_load_dword v50, v[50:51], off
	s_nop 0
	global_load_dword v51, v[78:79], off
	v_lshl_add_u64 v[66:67], v[66:67], 2, v[18:19]
	global_load_dword v55, v[64:65], off
	s_nop 0
	global_load_dword v64, v[66:67], off
	global_load_dword v65, v[80:81], off
	;; [unrolled: 1-line block ×3, first 2 shown]
	v_lshl_add_u64 v[82:83], v[96:97], 2, v[18:19]
	v_lshl_add_u64 v[84:85], v[98:99], 2, v[18:19]
	v_ashrrev_i32_e32 v101, 31, v100
	v_ashrrev_i32_e32 v69, 31, v68
	;; [unrolled: 1-line block ×4, first 2 shown]
	v_add_u32_e32 v78, s60, v60
	v_add_u32_e32 v66, s61, v60
	global_load_dword v87, v[82:83], off
	global_load_dword v88, v[84:85], off
	v_lshl_add_u64 v[84:85], v[100:101], 2, v[18:19]
	v_lshl_add_u64 v[68:69], v[68:69], 2, v[18:19]
	;; [unrolled: 1-line block ×4, first 2 shown]
	v_ashrrev_i32_e32 v75, 31, v74
	v_ashrrev_i32_e32 v77, 31, v76
	v_add_u32_e32 v80, s62, v60
	v_add_u32_e32 v82, s63, v60
	global_load_dword v84, v[84:85], off
	s_nop 0
	global_load_dword v85, v[68:69], off
	v_add_u32_e32 v68, s64, v60
	global_load_dword v89, v[70:71], off
	global_load_dword v90, v[72:73], off
	v_lshl_add_u64 v[72:73], v[74:75], 2, v[18:19]
	v_lshl_add_u64 v[74:75], v[76:77], 2, v[18:19]
	v_ashrrev_i32_e32 v79, 31, v78
	v_ashrrev_i32_e32 v67, 31, v66
	v_add_u32_e32 v70, s65, v60
	global_load_dword v91, v[72:73], off
	global_load_dword v92, v[74:75], off
	v_lshl_add_u64 v[74:75], v[78:79], 2, v[18:19]
	v_lshl_add_u64 v[66:67], v[66:67], 2, v[18:19]
	v_ashrrev_i32_e32 v81, 31, v80
	v_ashrrev_i32_e32 v83, 31, v82
	;; [unrolled: 1-line block ×3, first 2 shown]
	v_add_u32_e32 v72, s22, v60
	global_load_dword v78, v[74:75], off
	global_load_dword v79, v[66:67], off
	v_add_u32_e32 v66, s23, v60
	v_lshl_add_u64 v[74:75], v[80:81], 2, v[18:19]
	v_lshl_add_u64 v[76:77], v[82:83], 2, v[18:19]
	v_ashrrev_i32_e32 v71, 31, v70
	v_lshl_add_u64 v[68:69], v[68:69], 2, v[18:19]
	global_load_dword v80, v[74:75], off
	s_nop 0
	global_load_dword v76, v[76:77], off
	v_add_u32_e32 v74, s20, v60
	v_lshl_add_u64 v[70:71], v[70:71], 2, v[18:19]
	global_load_dword v77, v[68:69], off
	global_load_dword v81, v[70:71], off
	v_add_u32_e32 v68, s21, v60
	v_ashrrev_i32_e32 v73, 31, v72
	v_ashrrev_i32_e32 v67, 31, v66
	v_lshl_add_u64 v[70:71], v[72:73], 2, v[18:19]
	v_lshl_add_u64 v[66:67], v[66:67], 2, v[18:19]
	v_ashrrev_i32_e32 v75, 31, v74
	v_ashrrev_i32_e32 v69, 31, v68
	global_load_dword v72, v[70:71], off
	global_load_dword v73, v[66:67], off
	v_add_u32_e32 v66, s66, v60
	v_lshl_add_u64 v[70:71], v[74:75], 2, v[18:19]
	v_lshl_add_u64 v[68:69], v[68:69], 2, v[18:19]
	global_load_dword v74, v[70:71], off
	global_load_dword v75, v[68:69], off
	v_add_u32_e32 v68, s67, v60
	v_ashrrev_i32_e32 v67, 31, v66
	v_ashrrev_i32_e32 v69, 31, v68
	v_lshl_add_u64 v[66:67], v[66:67], 2, v[18:19]
	v_lshl_add_u64 v[68:69], v[68:69], 2, v[18:19]
	global_load_dword v93, v[66:67], off
	global_load_dword v94, v[68:69], off
	v_add_u32_e32 v66, s68, v60
	v_ashrrev_i32_e32 v67, 31, v66
	v_lshl_add_u64 v[66:67], v[66:67], 2, v[18:19]
	global_load_dword v95, v[66:67], off
	v_add_u32_e32 v66, s69, v60
	v_ashrrev_i32_e32 v67, 31, v66
	v_lshl_add_u64 v[66:67], v[66:67], 2, v[18:19]
	;; [unrolled: 4-line block ×15, first 2 shown]
	global_load_dword v109, v[66:67], off
	s_waitcnt vmcnt(62)
	ds_write_b32 v61, v63
	ds_write_b32 v61, v54 offset:264
	ds_write_b32 v61, v42 offset:528
	s_waitcnt vmcnt(61)
	ds_write_b32 v61, v43 offset:792
	s_waitcnt vmcnt(60)
	ds_write_b32 v61, v38 offset:1056
	s_waitcnt vmcnt(59)
	ds_write_b32 v61, v39 offset:1320
	s_waitcnt vmcnt(58)
	ds_write_b32 v61, v34 offset:1584
	s_waitcnt vmcnt(57)
	ds_write_b32 v61, v35 offset:1848
	s_waitcnt vmcnt(56)
	ds_write_b32 v61, v32 offset:2112
	s_waitcnt vmcnt(55)
	ds_write_b32 v61, v33 offset:2376
	s_waitcnt vmcnt(54)
	ds_write_b32 v61, v30 offset:2640
	s_waitcnt vmcnt(53)
	ds_write_b32 v61, v31 offset:2904
	s_waitcnt vmcnt(52)
	ds_write_b32 v61, v28 offset:3168
	s_waitcnt vmcnt(51)
	ds_write_b32 v61, v29 offset:3432
	s_waitcnt vmcnt(50)
	ds_write_b32 v61, v36 offset:3696
	s_waitcnt vmcnt(49)
	ds_write_b32 v61, v37 offset:3960
	ds_read_b64 v[38:39], v62
	ds_read_b64 v[42:43], v62 offset:32
	ds_read_b64 v[66:67], v62 offset:64
	ds_read_b64 v[68:69], v62 offset:96
	ds_read_b64 v[70:71], v62 offset:128
	ds_read_b64 v[36:37], v62 offset:160
	ds_read_b64 v[32:33], v62 offset:192
	ds_read_b64 v[28:29], v62 offset:224
	s_waitcnt vmcnt(48)
	ds_write_b32 v61, v40
	s_waitcnt vmcnt(47)
	ds_write_b32 v61, v41 offset:264
	s_waitcnt vmcnt(46)
	ds_write_b32 v61, v44 offset:528
	s_waitcnt vmcnt(45)
	ds_write_b32 v61, v45 offset:792
	s_waitcnt vmcnt(44)
	ds_write_b32 v61, v46 offset:1056
	s_waitcnt vmcnt(43)
	ds_write_b32 v61, v47 offset:1320
	s_waitcnt vmcnt(42)
	ds_write_b32 v61, v48 offset:1584
	s_waitcnt vmcnt(41)
	ds_write_b32 v61, v49 offset:1848
	s_waitcnt vmcnt(40)
	ds_write_b32 v61, v50 offset:2112
	s_waitcnt vmcnt(39)
	ds_write_b32 v61, v51 offset:2376
	s_waitcnt vmcnt(38)
	ds_write_b32 v61, v55 offset:2640
	s_waitcnt vmcnt(37)
	ds_write_b32 v61, v64 offset:2904
	s_waitcnt vmcnt(36)
	ds_write_b32 v61, v65 offset:3168
	s_waitcnt vmcnt(35)
	ds_write_b32 v61, v86 offset:3432
	s_waitcnt vmcnt(34)
	ds_write_b32 v61, v87 offset:3696
	s_waitcnt vmcnt(33)
	ds_write_b32 v61, v88 offset:3960
	ds_read_b64 v[40:41], v62
	ds_read_b64 v[44:45], v62 offset:32
	ds_read_b64 v[46:47], v62 offset:64
	ds_read_b64 v[48:49], v62 offset:96
	ds_read_b64 v[50:51], v62 offset:128
	ds_read_b64 v[54:55], v62 offset:160
	ds_read_b64 v[64:65], v62 offset:192
	ds_read_b64 v[30:31], v62 offset:224
	s_waitcnt vmcnt(32)
	ds_write_b32 v61, v84
	s_waitcnt vmcnt(31)
	ds_write_b32 v61, v85 offset:264
	s_waitcnt vmcnt(30)
	;; [unrolled: 40-line block ×3, first 2 shown]
	ds_write_b32 v61, v95 offset:528
	s_waitcnt vmcnt(13)
	ds_write_b32 v61, v96 offset:792
	s_waitcnt vmcnt(12)
	;; [unrolled: 2-line block ×13, first 2 shown]
	ds_write_b32 v61, v108 offset:3960
	ds_read_b64 v[86:87], v62
	ds_read_b64 v[88:89], v62 offset:32
	ds_read_b64 v[90:91], v62 offset:64
	;; [unrolled: 1-line block ×7, first 2 shown]
	ds_write_b32 v61, v52
	ds_write_b32 v61, v53 offset:264
	s_waitcnt vmcnt(0)
	ds_write_b32 v61, v109 offset:528
	ds_write_b32 v61, v17 offset:792
	;; [unrolled: 1-line block ×14, first 2 shown]
	ds_read_b64 v[52:53], v62
	s_waitcnt lgkmcnt(0)
	v_mfma_f32_16x16x4_f32 v[12:15], v38, v52, v[12:15]
	v_add_u32_e32 v60, 0x180, v60
	v_cmp_le_i32_e32 vcc, s5, v60
	v_lshl_add_u64 v[24:25], v[24:25], 0, s[12:13]
	v_lshl_add_u64 v[26:27], v[26:27], 0, s[12:13]
	;; [unrolled: 1-line block ×3, first 2 shown]
	s_or_b64 s[8:9], vcc, s[8:9]
	v_lshl_add_u64 v[22:23], v[22:23], 0, s[12:13]
	v_mfma_f32_16x16x4_f32 v[8:11], v40, v52, v[8:11]
	v_mfma_f32_16x16x4_f32 v[4:7], v72, v52, v[4:7]
	;; [unrolled: 1-line block ×4, first 2 shown]
	ds_read_b64 v[38:39], v62 offset:32
	v_mfma_f32_16x16x4_f32 v[8:11], v41, v53, v[8:11]
	v_mfma_f32_16x16x4_f32 v[4:7], v73, v53, v[4:7]
	;; [unrolled: 1-line block ×3, first 2 shown]
	s_waitcnt lgkmcnt(0)
	v_mfma_f32_16x16x4_f32 v[12:15], v42, v38, v[12:15]
	v_mfma_f32_16x16x4_f32 v[8:11], v44, v38, v[8:11]
	v_mfma_f32_16x16x4_f32 v[4:7], v74, v38, v[4:7]
	v_mfma_f32_16x16x4_f32 v[0:3], v88, v38, v[0:3]
	v_mfma_f32_16x16x4_f32 v[12:15], v43, v39, v[12:15]
	v_mfma_f32_16x16x4_f32 v[8:11], v45, v39, v[8:11]
	v_mfma_f32_16x16x4_f32 v[4:7], v75, v39, v[4:7]
	v_mfma_f32_16x16x4_f32 v[0:3], v89, v39, v[0:3]
	ds_read_b64 v[38:39], v62 offset:64
	s_waitcnt lgkmcnt(0)
	v_mfma_f32_16x16x4_f32 v[12:15], v66, v38, v[12:15]
	v_mfma_f32_16x16x4_f32 v[8:11], v46, v38, v[8:11]
	v_mfma_f32_16x16x4_f32 v[4:7], v76, v38, v[4:7]
	v_mfma_f32_16x16x4_f32 v[0:3], v90, v38, v[0:3]
	v_mfma_f32_16x16x4_f32 v[12:15], v67, v39, v[12:15]
	v_mfma_f32_16x16x4_f32 v[8:11], v47, v39, v[8:11]
	v_mfma_f32_16x16x4_f32 v[4:7], v77, v39, v[4:7]
	v_mfma_f32_16x16x4_f32 v[0:3], v91, v39, v[0:3]
	ds_read_b64 v[38:39], v62 offset:96
	;; [unrolled: 10-line block ×4, first 2 shown]
	s_waitcnt lgkmcnt(0)
	v_mfma_f32_16x16x4_f32 v[12:15], v36, v38, v[12:15]
	v_mfma_f32_16x16x4_f32 v[8:11], v54, v38, v[8:11]
	;; [unrolled: 1-line block ×5, first 2 shown]
	ds_read_b64 v[36:37], v62 offset:192
	v_mfma_f32_16x16x4_f32 v[8:11], v55, v39, v[8:11]
	v_mfma_f32_16x16x4_f32 v[4:7], v83, v39, v[4:7]
	;; [unrolled: 1-line block ×3, first 2 shown]
	s_waitcnt lgkmcnt(0)
	v_mfma_f32_16x16x4_f32 v[12:15], v32, v36, v[12:15]
	v_mfma_f32_16x16x4_f32 v[8:11], v64, v36, v[8:11]
	;; [unrolled: 1-line block ×5, first 2 shown]
	ds_read_b64 v[32:33], v62 offset:224
	v_mfma_f32_16x16x4_f32 v[8:11], v65, v37, v[8:11]
	v_mfma_f32_16x16x4_f32 v[4:7], v85, v37, v[4:7]
	;; [unrolled: 1-line block ×3, first 2 shown]
	s_waitcnt lgkmcnt(0)
	v_mfma_f32_16x16x4_f32 v[12:15], v28, v32, v[12:15]
	v_mfma_f32_16x16x4_f32 v[8:11], v30, v32, v[8:11]
	;; [unrolled: 1-line block ×8, first 2 shown]
	s_andn2_b64 exec, exec, s[8:9]
	s_cbranch_execnz .LBB92_4
; %bb.5:
	s_or_b64 exec, exec, s[8:9]
.LBB92_6:
	s_or_b64 exec, exec, s[24:25]
	v_lshl_add_u32 v17, v58, 2, 0
	v_mul_u32_u24_e32 v18, 0x608, v59
	v_and_b32_e32 v19, 0x3f0, v57
	v_add3_u32 v17, v17, v18, v19
	v_cmp_gt_u32_e32 vcc, 3, v56
	s_waitcnt lgkmcnt(0)
	s_barrier
	ds_write2_b32 v17, v12, v13 offset1:1
	ds_write2_b32 v17, v14, v15 offset0:2 offset1:3
	ds_write2_b32 v17, v8, v9 offset0:16 offset1:17
	ds_write2_b32 v17, v10, v11 offset0:18 offset1:19
	ds_write2_b32 v17, v4, v5 offset0:32 offset1:33
	ds_write2_b32 v17, v6, v7 offset0:34 offset1:35
	ds_write2_b32 v17, v0, v1 offset0:48 offset1:49
	ds_write2_b32 v17, v2, v3 offset0:50 offset1:51
	s_waitcnt lgkmcnt(0)
	s_barrier
	s_and_saveexec_b64 s[0:1], vcc
	s_cbranch_execz .LBB92_8
; %bb.7:
	v_mul_u32_u24_e32 v0, 0x608, v56
	v_add3_u32 v4, 0, v16, v0
	ds_read2st64_b32 v[0:1], v4 offset1:1
	ds_read2st64_b32 v[2:3], v4 offset0:2 offset1:3
	ds_read2st64_b32 v[4:5], v4 offset0:4 offset1:5
	s_mul_hi_i32 s1, s15, s4
	s_mul_i32 s0, s15, s4
	s_waitcnt lgkmcnt(2)
	v_add_f32_e32 v0, 0, v0
	s_lshl_b64 s[0:1], s[0:1], 2
	v_add_f32_e32 v0, v0, v1
	s_mul_i32 s4, s11, s3
	s_add_u32 s3, s6, s0
	s_waitcnt lgkmcnt(1)
	v_add_f32_e32 v0, v0, v2
	s_addc_u32 s6, s7, s1
	s_ashr_i32 s5, s4, 31
	v_add_f32_e32 v0, v0, v3
	s_lshl_b64 s[0:1], s[4:5], 2
	s_waitcnt lgkmcnt(0)
	v_add_f32_e32 v0, v0, v4
	s_add_u32 s0, s3, s0
	v_add_f32_e32 v2, v0, v5
	v_mul_lo_u32 v0, v56, s18
	s_addc_u32 s1, s6, s1
	v_add3_u32 v0, s2, v57, v0
	v_mov_b32_e32 v1, 0
	v_lshl_add_u64 v[0:1], v[0:1], 2, s[0:1]
	global_store_dword v[0:1], v2, off
.LBB92_8:
	s_endpgm
	.section	.rodata,"a",@progbits
	.p2align	6, 0x0
	.amdhsa_kernel _ZL9mul_mat_fIfLi64ELi3ELi6ELb0EEvPKT_PKfPKiPfiiiiiiiiiiiiiiii
		.amdhsa_group_segment_fixed_size 0
		.amdhsa_private_segment_fixed_size 0
		.amdhsa_kernarg_size 96
		.amdhsa_user_sgpr_count 2
		.amdhsa_user_sgpr_dispatch_ptr 0
		.amdhsa_user_sgpr_queue_ptr 0
		.amdhsa_user_sgpr_kernarg_segment_ptr 1
		.amdhsa_user_sgpr_dispatch_id 0
		.amdhsa_user_sgpr_kernarg_preload_length 0
		.amdhsa_user_sgpr_kernarg_preload_offset 0
		.amdhsa_user_sgpr_private_segment_size 0
		.amdhsa_uses_dynamic_stack 0
		.amdhsa_enable_private_segment 0
		.amdhsa_system_sgpr_workgroup_id_x 1
		.amdhsa_system_sgpr_workgroup_id_y 1
		.amdhsa_system_sgpr_workgroup_id_z 1
		.amdhsa_system_sgpr_workgroup_info 0
		.amdhsa_system_vgpr_workitem_id 1
		.amdhsa_next_free_vgpr 110
		.amdhsa_next_free_sgpr 81
		.amdhsa_accum_offset 112
		.amdhsa_reserve_vcc 1
		.amdhsa_float_round_mode_32 0
		.amdhsa_float_round_mode_16_64 0
		.amdhsa_float_denorm_mode_32 3
		.amdhsa_float_denorm_mode_16_64 3
		.amdhsa_dx10_clamp 1
		.amdhsa_ieee_mode 1
		.amdhsa_fp16_overflow 0
		.amdhsa_tg_split 0
		.amdhsa_exception_fp_ieee_invalid_op 0
		.amdhsa_exception_fp_denorm_src 0
		.amdhsa_exception_fp_ieee_div_zero 0
		.amdhsa_exception_fp_ieee_overflow 0
		.amdhsa_exception_fp_ieee_underflow 0
		.amdhsa_exception_fp_ieee_inexact 0
		.amdhsa_exception_int_div_zero 0
	.end_amdhsa_kernel
	.section	.text._ZL9mul_mat_fIfLi64ELi3ELi6ELb0EEvPKT_PKfPKiPfiiiiiiiiiiiiiiii,"axG",@progbits,_ZL9mul_mat_fIfLi64ELi3ELi6ELb0EEvPKT_PKfPKiPfiiiiiiiiiiiiiiii,comdat
.Lfunc_end92:
	.size	_ZL9mul_mat_fIfLi64ELi3ELi6ELb0EEvPKT_PKfPKiPfiiiiiiiiiiiiiiii, .Lfunc_end92-_ZL9mul_mat_fIfLi64ELi3ELi6ELb0EEvPKT_PKfPKiPfiiiiiiiiiiiiiiii
                                        ; -- End function
	.set _ZL9mul_mat_fIfLi64ELi3ELi6ELb0EEvPKT_PKfPKiPfiiiiiiiiiiiiiiii.num_vgpr, 110
	.set _ZL9mul_mat_fIfLi64ELi3ELi6ELb0EEvPKT_PKfPKiPfiiiiiiiiiiiiiiii.num_agpr, 0
	.set _ZL9mul_mat_fIfLi64ELi3ELi6ELb0EEvPKT_PKfPKiPfiiiiiiiiiiiiiiii.numbered_sgpr, 81
	.set _ZL9mul_mat_fIfLi64ELi3ELi6ELb0EEvPKT_PKfPKiPfiiiiiiiiiiiiiiii.num_named_barrier, 0
	.set _ZL9mul_mat_fIfLi64ELi3ELi6ELb0EEvPKT_PKfPKiPfiiiiiiiiiiiiiiii.private_seg_size, 0
	.set _ZL9mul_mat_fIfLi64ELi3ELi6ELb0EEvPKT_PKfPKiPfiiiiiiiiiiiiiiii.uses_vcc, 1
	.set _ZL9mul_mat_fIfLi64ELi3ELi6ELb0EEvPKT_PKfPKiPfiiiiiiiiiiiiiiii.uses_flat_scratch, 0
	.set _ZL9mul_mat_fIfLi64ELi3ELi6ELb0EEvPKT_PKfPKiPfiiiiiiiiiiiiiiii.has_dyn_sized_stack, 0
	.set _ZL9mul_mat_fIfLi64ELi3ELi6ELb0EEvPKT_PKfPKiPfiiiiiiiiiiiiiiii.has_recursion, 0
	.set _ZL9mul_mat_fIfLi64ELi3ELi6ELb0EEvPKT_PKfPKiPfiiiiiiiiiiiiiiii.has_indirect_call, 0
	.section	.AMDGPU.csdata,"",@progbits
; Kernel info:
; codeLenInByte = 4792
; TotalNumSgprs: 87
; NumVgprs: 110
; NumAgprs: 0
; TotalNumVgprs: 110
; ScratchSize: 0
; MemoryBound: 0
; FloatMode: 240
; IeeeMode: 1
; LDSByteSize: 0 bytes/workgroup (compile time only)
; SGPRBlocks: 10
; VGPRBlocks: 13
; NumSGPRsForWavesPerEU: 87
; NumVGPRsForWavesPerEU: 110
; AccumOffset: 112
; Occupancy: 4
; WaveLimiterHint : 0
; COMPUTE_PGM_RSRC2:SCRATCH_EN: 0
; COMPUTE_PGM_RSRC2:USER_SGPR: 2
; COMPUTE_PGM_RSRC2:TRAP_HANDLER: 0
; COMPUTE_PGM_RSRC2:TGID_X_EN: 1
; COMPUTE_PGM_RSRC2:TGID_Y_EN: 1
; COMPUTE_PGM_RSRC2:TGID_Z_EN: 1
; COMPUTE_PGM_RSRC2:TIDIG_COMP_CNT: 1
; COMPUTE_PGM_RSRC3_GFX90A:ACCUM_OFFSET: 27
; COMPUTE_PGM_RSRC3_GFX90A:TG_SPLIT: 0
	.section	.text._ZL13mul_mat_f_idsIfLi64ELi3ELi7EEvPKT_PKfPKiS6_S6_Pfiiiiiiiiiiiiii15HIP_vector_typeIjLj3EES9_,"axG",@progbits,_ZL13mul_mat_f_idsIfLi64ELi3ELi7EEvPKT_PKfPKiS6_S6_Pfiiiiiiiiiiiiii15HIP_vector_typeIjLj3EES9_,comdat
	.globl	_ZL13mul_mat_f_idsIfLi64ELi3ELi7EEvPKT_PKfPKiS6_S6_Pfiiiiiiiiiiiiii15HIP_vector_typeIjLj3EES9_ ; -- Begin function _ZL13mul_mat_f_idsIfLi64ELi3ELi7EEvPKT_PKfPKiS6_S6_Pfiiiiiiiiiiiiii15HIP_vector_typeIjLj3EES9_
	.p2align	8
	.type	_ZL13mul_mat_f_idsIfLi64ELi3ELi7EEvPKT_PKfPKiS6_S6_Pfiiiiiiiiiiiiii15HIP_vector_typeIjLj3EES9_,@function
_ZL13mul_mat_f_idsIfLi64ELi3ELi7EEvPKT_PKfPKiS6_S6_Pfiiiiiiiiiiiiii15HIP_vector_typeIjLj3EES9_: ; @_ZL13mul_mat_f_idsIfLi64ELi3ELi7EEvPKT_PKfPKiS6_S6_Pfiiiiiiiiiiiiii15HIP_vector_typeIjLj3EES9_
; %bb.0:
	s_load_dwordx2 s[6:7], s[0:1], 0x20
	s_mov_b32 s34, s3
	s_ashr_i32 s35, s3, 31
	s_lshl_b64 s[8:9], s[34:35], 2
	s_waitcnt lgkmcnt(0)
	s_add_u32 s6, s6, s8
	s_addc_u32 s7, s7, s9
	s_load_dwordx2 s[26:27], s[6:7], 0x0
	s_waitcnt lgkmcnt(0)
	s_sub_i32 s33, s27, s26
	s_add_i32 s3, s33, 2
	s_mul_hi_i32 s3, s3, 0x55555556
	s_lshr_b32 s5, s3, 31
	s_add_i32 s3, s3, s5
	s_cmp_ge_i32 s4, s3
	s_cbranch_scc1 .LBB93_20
; %bb.1:
	v_bfe_u32 v85, v0, 10, 10
	v_lshlrev_b32_e32 v86, 6, v85
	v_and_b32_e32 v84, 0x3ff, v0
	s_load_dwordx4 s[12:15], s[0:1], 0x30
	s_load_dwordx2 s[20:21], s[0:1], 0x40
	s_load_dwordx4 s[8:11], s[0:1], 0x4c
	s_load_dwordx4 s[16:19], s[0:1], 0x68
	s_load_dwordx2 s[24:25], s[0:1], 0x78
	v_add_u32_e32 v88, v86, v84
	s_ashr_i32 s27, s26, 31
	s_waitcnt lgkmcnt(0)
	v_cmp_le_i32_e32 vcc, s12, v88
	v_and_b32_e32 v87, 15, v84
	s_and_saveexec_b64 s[6:7], vcc
	s_xor_b64 s[6:7], exec, s[6:7]
; %bb.2:
	v_and_b32_e32 v87, 15, v84
                                        ; implicit-def: $vgpr88
; %bb.3:
	s_or_saveexec_b64 s[30:31], s[6:7]
	s_load_dwordx2 s[28:29], s[0:1], 0x18
	s_load_dwordx2 s[6:7], s[0:1], 0x28
                                        ; implicit-def: $vgpr104 : SGPR spill to VGPR lane
	v_mov_b32_e32 v11, 0
	s_lshl_b32 s11, s2, 6
	s_mul_i32 s2, s4, 3
	v_mov_b32_e32 v10, v11
	s_waitcnt lgkmcnt(0)
	v_writelane_b32 v104, s6, 0
	v_mov_b32_e32 v9, v11
	v_mov_b32_e32 v8, v11
	;; [unrolled: 1-line block ×14, first 2 shown]
	v_writelane_b32 v104, s7, 1
	s_xor_b64 exec, exec, s[30:31]
	s_cbranch_execz .LBB93_16
; %bb.4:
	s_load_dwordx4 s[4:7], s[0:1], 0x0
	s_load_dwordx2 s[22:23], s[0:1], 0x10
	s_mul_i32 s0, s8, s34
	s_ashr_i32 s1, s0, 31
	v_writelane_b32 v104, s24, 2
	s_lshl_b64 s[44:45], s[0:1], 2
	s_waitcnt lgkmcnt(0)
	s_add_u32 s0, s4, s44
	v_writelane_b32 v104, s25, 3
	s_mul_i32 s24, s15, s11
	s_addc_u32 s1, s5, s45
	s_ashr_i32 s25, s24, 31
	s_lshl_b64 s[46:47], s[24:25], 2
	s_add_u32 s0, s0, s46
	s_addc_u32 s1, s1, s47
	s_lshl_b64 s[24:25], s[26:27], 2
	s_add_u32 s8, s22, s24
	s_addc_u32 s24, s23, s25
	s_movk_i32 s3, 0x1080
	s_cmp_lt_i32 s2, s33
	v_mad_u32_u24 v1, v85, s3, 0
	s_cselect_b64 s[34:35], -1, 0
	s_ashr_i32 s3, s2, 31
	s_lshl_b64 s[22:23], s[2:3], 2
	s_add_u32 s36, s8, s22
	s_addc_u32 s37, s24, s23
	s_add_i32 s3, s2, 1
	s_cmp_lt_i32 s3, s33
	s_cselect_b64 s[38:39], -1, 0
	s_add_i32 s3, s2, 2
	s_cmp_lt_i32 s3, s33
	s_cselect_b64 s[40:41], -1, 0
	s_ashr_i32 s23, s15, 31
	s_mov_b32 s22, s15
	s_add_i32 s3, s15, s15
	s_lshl_b32 s48, s15, 2
	s_lshl_b32 s52, s15, 3
	;; [unrolled: 1-line block ×4, first 2 shown]
	s_lshl_b64 s[42:43], s[22:23], 2
	v_lshrrev_b32_e32 v3, 1, v84
	s_add_u32 s22, s44, s46
	v_lshlrev_b32_e32 v0, 2, v84
	v_mul_u32_u24_e32 v2, 0x108, v87
	v_and_b32_e32 v3, 0x1f8, v3
	s_addc_u32 s23, s45, s47
	v_lshlrev_b32_e32 v16, 8, v85
	v_mov_b32_e32 v17, 0
	v_add_u32_e32 v89, v1, v0
	v_add3_u32 v90, v1, v2, v3
	v_lshl_add_u64 v[2:3], s[22:23], 0, v[16:17]
	v_mov_b32_e32 v1, v17
	v_lshl_add_u64 v[0:1], v[2:3], 0, v[0:1]
	s_mul_i32 s8, s15, 3
	s_mul_i32 s49, s15, 5
	;; [unrolled: 1-line block ×43, first 2 shown]
	v_lshl_add_u64 v[18:19], s[4:5], 0, v[0:1]
	v_mov_b32_e32 v12, 0
	v_mov_b32_e32 v13, v17
	;; [unrolled: 1-line block ×16, first 2 shown]
	s_mul_i32 s90, s15, 50
	s_mul_i32 s91, s15, 51
	;; [unrolled: 1-line block ×14, first 2 shown]
	s_mov_b64 s[4:5], 0
	s_branch .LBB93_6
.LBB93_5:                               ;   in Loop: Header=BB93_6 Depth=1
	s_waitcnt vmcnt(0)
	ds_write2_b32 v89, v16, v92 offset1:66
	ds_write2_b32 v89, v91, v17 offset0:132 offset1:198
	v_add_u32_e32 v16, 0x400, v89
	ds_write2_b32 v16, v17, v17 offset0:8 offset1:74
	ds_write2_b32 v16, v17, v17 offset0:140 offset1:206
	v_add_u32_e32 v16, 0x800, v89
	ds_write2_b32 v16, v17, v17 offset0:16 offset1:82
	;; [unrolled: 3-line block ×3, first 2 shown]
	ds_write2_b32 v16, v17, v17 offset0:156 offset1:222
	ds_read2_b64 v[92:95], v90 offset1:4
	v_add_u32_e32 v88, 0x1c0, v88
	s_waitcnt lgkmcnt(0)
	v_mfma_f32_16x16x4_f32 v[8:11], v50, v92, v[8:11]
	s_mov_b64 vcc, 0x700
	v_lshl_add_u64 v[18:19], v[18:19], 0, vcc
	v_cmp_le_i32_e32 vcc, s12, v88
	s_or_b64 s[4:5], vcc, s[4:5]
	v_mfma_f32_16x16x4_f32 v[4:7], v62, v92, v[4:7]
	v_mfma_f32_16x16x4_f32 v[0:3], v76, v92, v[0:3]
	;; [unrolled: 1-line block ×15, first 2 shown]
	ds_read2_b64 v[80:83], v90 offset0:8 offset1:12
	s_waitcnt lgkmcnt(0)
	v_mfma_f32_16x16x4_f32 v[8:11], v36, v80, v[8:11]
	v_mfma_f32_16x16x4_f32 v[4:7], v54, v80, v[4:7]
	;; [unrolled: 1-line block ×14, first 2 shown]
	ds_read2_b64 v[48:51], v90 offset0:16 offset1:20
	v_mfma_f32_16x16x4_f32 v[0:3], v61, v83, v[0:3]
	v_mfma_f32_16x16x4_f32 v[12:15], v75, v83, v[12:15]
	s_waitcnt lgkmcnt(0)
	v_mfma_f32_16x16x4_f32 v[8:11], v28, v48, v[8:11]
	v_mfma_f32_16x16x4_f32 v[4:7], v40, v48, v[4:7]
	;; [unrolled: 1-line block ×14, first 2 shown]
	ds_read2_b64 v[32:35], v90 offset0:24 offset1:28
	v_mfma_f32_16x16x4_f32 v[0:3], v53, v51, v[0:3]
	v_mfma_f32_16x16x4_f32 v[12:15], v69, v51, v[12:15]
	s_waitcnt lgkmcnt(0)
	v_mfma_f32_16x16x4_f32 v[8:11], v22, v32, v[8:11]
	v_mfma_f32_16x16x4_f32 v[4:7], v30, v32, v[4:7]
	;; [unrolled: 1-line block ×16, first 2 shown]
	s_andn2_b64 exec, exec, s[4:5]
	s_cbranch_execz .LBB93_15
.LBB93_6:                               ; =>This Inner Loop Header: Depth=1
	v_lshl_add_u64 v[20:21], v[18:19], 0, s[42:43]
	global_load_dword v16, v[18:19], off
	global_load_dword v46, v[20:21], off
	v_add_u32_e32 v20, s3, v88
	v_ashrrev_i32_e32 v21, 31, v20
	v_add_u32_e32 v22, s8, v88
	v_add_u32_e32 v24, s48, v88
	;; [unrolled: 1-line block ×5, first 2 shown]
	v_lshl_add_u64 v[20:21], v[20:21], 2, s[0:1]
	v_ashrrev_i32_e32 v23, 31, v22
	v_ashrrev_i32_e32 v25, 31, v24
	v_ashrrev_i32_e32 v27, 31, v26
	v_ashrrev_i32_e32 v29, 31, v28
	v_ashrrev_i32_e32 v31, 31, v30
	v_lshl_add_u64 v[22:23], v[22:23], 2, s[0:1]
	v_lshl_add_u64 v[24:25], v[24:25], 2, s[0:1]
	;; [unrolled: 1-line block ×5, first 2 shown]
	global_load_dword v47, v[20:21], off
	global_load_dword v48, v[22:23], off
	;; [unrolled: 1-line block ×6, first 2 shown]
	v_add_u32_e32 v20, s52, v88
	v_add_u32_e32 v38, s61, v88
	;; [unrolled: 1-line block ×10, first 2 shown]
	v_ashrrev_i32_e32 v21, 31, v20
	v_ashrrev_i32_e32 v39, 31, v38
	;; [unrolled: 1-line block ×10, first 2 shown]
	v_lshl_add_u64 v[20:21], v[20:21], 2, s[0:1]
	v_lshl_add_u64 v[38:39], v[38:39], 2, s[0:1]
	v_add_u32_e32 v40, s62, v88
	v_add_u32_e32 v44, s64, v88
	v_lshl_add_u64 v[22:23], v[22:23], 2, s[0:1]
	v_lshl_add_u64 v[24:25], v[24:25], 2, s[0:1]
	;; [unrolled: 1-line block ×8, first 2 shown]
	global_load_dword v53, v[20:21], off
	global_load_dword v54, v[22:23], off
	;; [unrolled: 1-line block ×9, first 2 shown]
	s_nop 0
	global_load_dword v38, v[38:39], off
	v_add_u32_e32 v20, s65, v88
	v_add_u32_e32 v42, s63, v88
	v_ashrrev_i32_e32 v41, 31, v40
	v_ashrrev_i32_e32 v45, 31, v44
	v_ashrrev_i32_e32 v21, 31, v20
	v_add_u32_e32 v22, s66, v88
	v_add_u32_e32 v24, s67, v88
	;; [unrolled: 1-line block ×4, first 2 shown]
	v_ashrrev_i32_e32 v43, 31, v42
	v_lshl_add_u64 v[40:41], v[40:41], 2, s[0:1]
	v_lshl_add_u64 v[44:45], v[44:45], 2, s[0:1]
	;; [unrolled: 1-line block ×3, first 2 shown]
	v_ashrrev_i32_e32 v23, 31, v22
	v_ashrrev_i32_e32 v25, 31, v24
	;; [unrolled: 1-line block ×4, first 2 shown]
	v_lshl_add_u64 v[42:43], v[42:43], 2, s[0:1]
	v_lshl_add_u64 v[22:23], v[22:23], 2, s[0:1]
	;; [unrolled: 1-line block ×5, first 2 shown]
	v_add_u32_e32 v30, s75, v88
	v_add_u32_e32 v32, s76, v88
	;; [unrolled: 1-line block ×3, first 2 shown]
	v_ashrrev_i32_e32 v31, 31, v30
	v_ashrrev_i32_e32 v33, 31, v32
	v_ashrrev_i32_e32 v35, 31, v34
	v_lshl_add_u64 v[30:31], v[30:31], 2, s[0:1]
	s_waitcnt vmcnt(17)
	ds_write_b32 v89, v16
	s_waitcnt vmcnt(16)
	ds_write_b32 v89, v46 offset:264
	s_waitcnt vmcnt(15)
	ds_write_b32 v89, v47 offset:528
	;; [unrolled: 2-line block ×7, first 2 shown]
	global_load_dword v16, v[40:41], off
	global_load_dword v39, v[42:43], off
	s_nop 0
	global_load_dword v40, v[44:45], off
	global_load_dword v41, v[20:21], off
	s_nop 0
	global_load_dword v44, v[22:23], off
	global_load_dword v45, v[24:25], off
	global_load_dword v46, v[26:27], off
	global_load_dword v47, v[28:29], off
	v_add_u32_e32 v20, s70, v88
	v_ashrrev_i32_e32 v21, 31, v20
	v_add_u32_e32 v22, s71, v88
	v_add_u32_e32 v24, s72, v88
	;; [unrolled: 1-line block ×4, first 2 shown]
	v_lshl_add_u64 v[20:21], v[20:21], 2, s[0:1]
	v_ashrrev_i32_e32 v23, 31, v22
	v_ashrrev_i32_e32 v25, 31, v24
	;; [unrolled: 1-line block ×4, first 2 shown]
	v_lshl_add_u64 v[22:23], v[22:23], 2, s[0:1]
	v_lshl_add_u64 v[24:25], v[24:25], 2, s[0:1]
	v_lshl_add_u64 v[26:27], v[26:27], 2, s[0:1]
	v_lshl_add_u64 v[28:29], v[28:29], 2, s[0:1]
	v_lshl_add_u64 v[32:33], v[32:33], 2, s[0:1]
	v_lshl_add_u64 v[34:35], v[34:35], 2, s[0:1]
	global_load_dword v48, v[20:21], off
	global_load_dword v49, v[22:23], off
	global_load_dword v52, v[24:25], off
	global_load_dword v62, v[26:27], off
	global_load_dword v63, v[28:29], off
	global_load_dword v64, v[30:31], off
	global_load_dword v65, v[32:33], off
	global_load_dword v66, v[34:35], off
	v_add_u32_e32 v20, s78, v88
	v_ashrrev_i32_e32 v21, 31, v20
	v_add_u32_e32 v22, s79, v88
	v_add_u32_e32 v24, s80, v88
	v_add_u32_e32 v26, s81, v88
	v_add_u32_e32 v28, s82, v88
	v_add_u32_e32 v30, s83, v88
	v_add_u32_e32 v32, s84, v88
	v_add_u32_e32 v34, s85, v88
	v_lshl_add_u64 v[20:21], v[20:21], 2, s[0:1]
	v_ashrrev_i32_e32 v23, 31, v22
	v_ashrrev_i32_e32 v25, 31, v24
	v_ashrrev_i32_e32 v27, 31, v26
	v_ashrrev_i32_e32 v29, 31, v28
	v_ashrrev_i32_e32 v31, 31, v30
	v_ashrrev_i32_e32 v33, 31, v32
	v_ashrrev_i32_e32 v35, 31, v34
	v_lshl_add_u64 v[22:23], v[22:23], 2, s[0:1]
	v_lshl_add_u64 v[24:25], v[24:25], 2, s[0:1]
	v_lshl_add_u64 v[26:27], v[26:27], 2, s[0:1]
	v_lshl_add_u64 v[28:29], v[28:29], 2, s[0:1]
	v_lshl_add_u64 v[30:31], v[30:31], 2, s[0:1]
	v_lshl_add_u64 v[32:33], v[32:33], 2, s[0:1]
	v_lshl_add_u64 v[34:35], v[34:35], 2, s[0:1]
	global_load_dword v67, v[20:21], off
	global_load_dword v68, v[22:23], off
	global_load_dword v69, v[24:25], off
	global_load_dword v70, v[26:27], off
	global_load_dword v71, v[28:29], off
	global_load_dword v72, v[30:31], off
	global_load_dword v73, v[32:33], off
	global_load_dword v74, v[34:35], off
	v_add_u32_e32 v20, s44, v88
	v_ashrrev_i32_e32 v21, 31, v20
	v_add_u32_e32 v22, s45, v88
	v_add_u32_e32 v24, s46, v88
	v_add_u32_e32 v26, s47, v88
	v_add_u32_e32 v28, s86, v88
	v_add_u32_e32 v30, s87, v88
	v_add_u32_e32 v32, s88, v88
	v_add_u32_e32 v34, s89, v88
	v_lshl_add_u64 v[20:21], v[20:21], 2, s[0:1]
	v_ashrrev_i32_e32 v23, 31, v22
	v_ashrrev_i32_e32 v25, 31, v24
	v_ashrrev_i32_e32 v27, 31, v26
	v_ashrrev_i32_e32 v29, 31, v28
	v_ashrrev_i32_e32 v31, 31, v30
	v_ashrrev_i32_e32 v33, 31, v32
	v_ashrrev_i32_e32 v35, 31, v34
	v_lshl_add_u64 v[22:23], v[22:23], 2, s[0:1]
	;; [unrolled: 32-line block ×3, first 2 shown]
	v_lshl_add_u64 v[24:25], v[24:25], 2, s[0:1]
	v_lshl_add_u64 v[26:27], v[26:27], 2, s[0:1]
	;; [unrolled: 1-line block ×6, first 2 shown]
	global_load_dword v83, v[20:21], off
	global_load_dword v91, v[22:23], off
	;; [unrolled: 1-line block ×8, first 2 shown]
	v_add_u32_e32 v20, s98, v88
	v_ashrrev_i32_e32 v21, 31, v20
	v_add_u32_e32 v22, s99, v88
	v_add_u32_e32 v24, s24, v88
	;; [unrolled: 1-line block ×5, first 2 shown]
	v_lshl_add_u64 v[20:21], v[20:21], 2, s[0:1]
	v_ashrrev_i32_e32 v23, 31, v22
	v_ashrrev_i32_e32 v25, 31, v24
	;; [unrolled: 1-line block ×5, first 2 shown]
	v_lshl_add_u64 v[22:23], v[22:23], 2, s[0:1]
	v_lshl_add_u64 v[24:25], v[24:25], 2, s[0:1]
	;; [unrolled: 1-line block ×5, first 2 shown]
	global_load_dword v98, v[20:21], off
	global_load_dword v99, v[22:23], off
	;; [unrolled: 1-line block ×6, first 2 shown]
	s_waitcnt vmcnt(55)
	ds_write_b32 v89, v53 offset:2112
	s_waitcnt vmcnt(54)
	ds_write_b32 v89, v54 offset:2376
	s_waitcnt vmcnt(53)
	ds_write_b32 v89, v55 offset:2640
	s_waitcnt vmcnt(52)
	ds_write_b32 v89, v56 offset:2904
	s_waitcnt vmcnt(51)
	ds_write_b32 v89, v57 offset:3168
	s_waitcnt vmcnt(50)
	ds_write_b32 v89, v58 offset:3432
	s_waitcnt vmcnt(49)
	ds_write_b32 v89, v59 offset:3696
	s_waitcnt vmcnt(48)
	ds_write_b32 v89, v60 offset:3960
	ds_read_b64 v[50:51], v90
	ds_read_b64 v[42:43], v90 offset:32
	ds_read_b64 v[36:37], v90 offset:64
	ds_read_b64 v[32:33], v90 offset:96
	ds_read_b64 v[28:29], v90 offset:128
	ds_read_b64 v[24:25], v90 offset:160
	ds_read_b64 v[22:23], v90 offset:192
	ds_read_b64 v[20:21], v90 offset:224
	s_waitcnt vmcnt(47)
	ds_write_b32 v89, v61
	s_waitcnt vmcnt(46)
	ds_write_b32 v89, v38 offset:264
	s_waitcnt vmcnt(45)
	ds_write_b32 v89, v16 offset:528
	s_waitcnt vmcnt(44)
	ds_write_b32 v89, v39 offset:792
	s_waitcnt vmcnt(43)
	ds_write_b32 v89, v40 offset:1056
	s_waitcnt vmcnt(42)
	ds_write_b32 v89, v41 offset:1320
	s_waitcnt vmcnt(41)
	ds_write_b32 v89, v44 offset:1584
	s_waitcnt vmcnt(40)
	ds_write_b32 v89, v45 offset:1848
	s_waitcnt vmcnt(39)
	ds_write_b32 v89, v46 offset:2112
	s_waitcnt vmcnt(38)
	ds_write_b32 v89, v47 offset:2376
	s_waitcnt vmcnt(37)
	ds_write_b32 v89, v48 offset:2640
	s_waitcnt vmcnt(36)
	ds_write_b32 v89, v49 offset:2904
	s_waitcnt vmcnt(35)
	ds_write_b32 v89, v52 offset:3168
	s_waitcnt vmcnt(34)
	ds_write_b32 v89, v62 offset:3432
	s_waitcnt vmcnt(33)
	ds_write_b32 v89, v63 offset:3696
	s_waitcnt vmcnt(32)
	ds_write_b32 v89, v64 offset:3960
	ds_read_b64 v[62:63], v90
	ds_read_b64 v[58:59], v90 offset:32
	ds_read_b64 v[54:55], v90 offset:64
	ds_read_b64 v[48:49], v90 offset:96
	ds_read_b64 v[40:41], v90 offset:128
	ds_read_b64 v[34:35], v90 offset:160
	ds_read_b64 v[30:31], v90 offset:192
	ds_read_b64 v[26:27], v90 offset:224
	s_waitcnt vmcnt(31)
	ds_write_b32 v89, v65
	s_waitcnt vmcnt(30)
	ds_write_b32 v89, v66 offset:264
	s_waitcnt vmcnt(29)
	ds_write_b32 v89, v67 offset:528
	s_waitcnt vmcnt(28)
	ds_write_b32 v89, v68 offset:792
	s_waitcnt vmcnt(27)
	ds_write_b32 v89, v69 offset:1056
	s_waitcnt vmcnt(26)
	ds_write_b32 v89, v70 offset:1320
	s_waitcnt vmcnt(25)
	ds_write_b32 v89, v71 offset:1584
	s_waitcnt vmcnt(24)
	ds_write_b32 v89, v72 offset:1848
	s_waitcnt vmcnt(23)
	ds_write_b32 v89, v73 offset:2112
	s_waitcnt vmcnt(22)
	ds_write_b32 v89, v74 offset:2376
	s_waitcnt vmcnt(21)
	ds_write_b32 v89, v75 offset:2640
	s_waitcnt vmcnt(20)
	ds_write_b32 v89, v76 offset:2904
	s_waitcnt vmcnt(19)
	ds_write_b32 v89, v77 offset:3168
	s_waitcnt vmcnt(18)
	ds_write_b32 v89, v78 offset:3432
	s_waitcnt vmcnt(17)
	ds_write_b32 v89, v79 offset:3696
	s_waitcnt vmcnt(16)
	ds_write_b32 v89, v80 offset:3960
	ds_read_b64 v[76:77], v90
	ds_read_b64 v[70:71], v90 offset:32
	ds_read_b64 v[66:67], v90 offset:64
	ds_read_b64 v[60:61], v90 offset:96
	ds_read_b64 v[56:57], v90 offset:128
	ds_read_b64 v[52:53], v90 offset:160
	ds_read_b64 v[44:45], v90 offset:192
	ds_read_b64 v[38:39], v90 offset:224
	s_waitcnt vmcnt(15)
	ds_write_b32 v89, v81
	s_waitcnt vmcnt(14)
	ds_write_b32 v89, v82 offset:264
	s_waitcnt vmcnt(13)
	ds_write_b32 v89, v83 offset:528
	s_waitcnt vmcnt(12)
	ds_write_b32 v89, v91 offset:792
	s_waitcnt vmcnt(11)
	ds_write_b32 v89, v92 offset:1056
	s_waitcnt vmcnt(10)
	ds_write_b32 v89, v93 offset:1320
	s_waitcnt vmcnt(9)
	ds_write_b32 v89, v94 offset:1584
	s_waitcnt vmcnt(8)
	ds_write_b32 v89, v95 offset:1848
	s_waitcnt vmcnt(7)
	ds_write_b32 v89, v96 offset:2112
	s_waitcnt vmcnt(6)
	ds_write_b32 v89, v97 offset:2376
	s_waitcnt vmcnt(5)
	ds_write_b32 v89, v98 offset:2640
	s_waitcnt vmcnt(4)
	ds_write_b32 v89, v99 offset:2904
	s_waitcnt vmcnt(3)
	ds_write_b32 v89, v100 offset:3168
	s_waitcnt vmcnt(2)
	ds_write_b32 v89, v101 offset:3432
	s_waitcnt vmcnt(1)
	ds_write_b32 v89, v102 offset:3696
	s_waitcnt vmcnt(0)
	ds_write_b32 v89, v103 offset:3960
	ds_read_b64 v[82:83], v90
	ds_read_b64 v[80:81], v90 offset:32
	ds_read_b64 v[78:79], v90 offset:64
	;; [unrolled: 1-line block ×7, first 2 shown]
	s_andn2_b64 vcc, exec, s[34:35]
	v_mov_b32_e32 v16, 0
	s_cbranch_vccnz .LBB93_9
; %bb.7:                                ;   in Loop: Header=BB93_6 Depth=1
	s_load_dword s23, s[36:37], 0x0
	v_mov_b32_e32 v16, 0
	s_waitcnt lgkmcnt(0)
	s_mul_hi_u32 vcc_lo, s23, s16
	s_add_i32 vcc_lo, s23, vcc_lo
	s_lshr_b32 vcc_lo, vcc_lo, s17
	s_cmp_ge_i32 vcc_lo, s13
	s_cbranch_scc1 .LBB93_9
; %bb.8:                                ;   in Loop: Header=BB93_6 Depth=1
	s_mul_i32 vcc_hi, vcc_lo, s18
	s_sub_i32 s23, s23, vcc_hi
	s_mul_i32 s23, s23, s9
	s_mul_i32 vcc_lo, vcc_lo, s20
	s_add_i32 vcc_lo, vcc_lo, s23
	v_add_u32_e32 v92, vcc_lo, v88
	v_ashrrev_i32_e32 v93, 31, v92
	v_lshl_add_u64 v[92:93], v[92:93], 2, s[6:7]
	global_load_dword v16, v[92:93], off
.LBB93_9:                               ;   in Loop: Header=BB93_6 Depth=1
	v_mov_b32_e32 v91, 0
	s_andn2_b64 vcc, exec, s[38:39]
	v_mov_b32_e32 v92, 0
	s_cbranch_vccnz .LBB93_12
; %bb.10:                               ;   in Loop: Header=BB93_6 Depth=1
	s_load_dword s23, s[36:37], 0x4
	v_mov_b32_e32 v92, 0
	s_waitcnt lgkmcnt(0)
	s_mul_hi_u32 vcc_lo, s23, s16
	s_add_i32 vcc_lo, s23, vcc_lo
	s_lshr_b32 vcc_lo, vcc_lo, s17
	s_cmp_ge_i32 vcc_lo, s13
	s_cbranch_scc1 .LBB93_12
; %bb.11:                               ;   in Loop: Header=BB93_6 Depth=1
	s_mul_i32 vcc_hi, vcc_lo, s18
	s_sub_i32 s23, s23, vcc_hi
	s_mul_i32 s23, s23, s9
	s_mul_i32 vcc_lo, vcc_lo, s20
	s_add_i32 vcc_lo, vcc_lo, s23
	v_add_u32_e32 v92, vcc_lo, v88
	v_ashrrev_i32_e32 v93, 31, v92
	v_lshl_add_u64 v[92:93], v[92:93], 2, s[6:7]
	global_load_dword v92, v[92:93], off
.LBB93_12:                              ;   in Loop: Header=BB93_6 Depth=1
	s_andn2_b64 vcc, exec, s[40:41]
	s_cbranch_vccnz .LBB93_5
; %bb.13:                               ;   in Loop: Header=BB93_6 Depth=1
	s_load_dword s23, s[36:37], 0x8
	v_mov_b32_e32 v91, 0
	s_waitcnt lgkmcnt(0)
	s_mul_hi_u32 vcc_lo, s23, s16
	s_add_i32 vcc_lo, s23, vcc_lo
	s_lshr_b32 vcc_lo, vcc_lo, s17
	s_cmp_ge_i32 vcc_lo, s13
	s_cbranch_scc1 .LBB93_5
; %bb.14:                               ;   in Loop: Header=BB93_6 Depth=1
	s_mul_i32 vcc_hi, vcc_lo, s18
	s_sub_i32 s23, s23, vcc_hi
	s_mul_i32 s23, s23, s9
	s_mul_i32 vcc_lo, vcc_lo, s20
	s_add_i32 vcc_lo, vcc_lo, s23
	v_add_u32_e32 v94, vcc_lo, v88
	v_ashrrev_i32_e32 v95, 31, v94
	v_lshl_add_u64 v[94:95], v[94:95], 2, s[6:7]
	global_load_dword v91, v[94:95], off
	s_branch .LBB93_5
.LBB93_15:
	s_or_b64 exec, exec, s[4:5]
	v_readlane_b32 s24, v104, 2
	v_readlane_b32 s25, v104, 3
.LBB93_16:
	s_or_b64 exec, exec, s[30:31]
	v_lshl_add_u32 v16, v86, 2, 0
	v_mul_u32_u24_e32 v17, 0x708, v87
	v_and_b32_e32 v18, 0x3f0, v84
	v_add3_u32 v16, v16, v17, v18
	v_cmp_gt_u32_e32 vcc, 3, v85
	s_barrier
	ds_write2_b32 v16, v8, v9 offset1:1
	ds_write2_b32 v16, v10, v11 offset0:2 offset1:3
	ds_write2_b32 v16, v4, v5 offset0:16 offset1:17
	;; [unrolled: 1-line block ×7, first 2 shown]
	s_waitcnt lgkmcnt(0)
	s_barrier
	s_and_saveexec_b64 s[0:1], vcc
	s_cbranch_execz .LBB93_20
; %bb.17:
	s_cmp_gt_i32 s14, 0
	v_add_u32_e32 v0, s2, v85
	s_cselect_b64 s[0:1], -1, 0
	v_cmp_gt_i32_e32 vcc, s33, v0
	s_and_b64 s[0:1], s[0:1], vcc
	s_and_b64 exec, exec, s[0:1]
	s_cbranch_execz .LBB93_20
; %bb.18:
	s_lshl_b64 s[0:1], s[26:27], 2
	s_add_u32 s0, s28, s0
	s_addc_u32 s1, s29, s1
	v_ashrrev_i32_e32 v1, 31, v0
	v_lshl_add_u64 v[0:1], v[0:1], 2, s[0:1]
	global_load_dword v0, v[0:1], off
	s_waitcnt vmcnt(0)
	v_mul_hi_u32 v1, v0, s19
	v_add_u32_e32 v1, v0, v1
	v_lshrrev_b32_e32 v1, s24, v1
	v_cmp_gt_i32_e32 vcc, s13, v1
	s_and_b64 exec, exec, vcc
	s_cbranch_execz .LBB93_20
; %bb.19:
	v_lshlrev_b32_e32 v2, 2, v84
	v_mul_u32_u24_e32 v3, 0x708, v85
	v_add3_u32 v8, 0, v2, v3
	ds_read2st64_b32 v[2:3], v8 offset1:1
	ds_read2st64_b32 v[4:5], v8 offset0:2 offset1:3
	ds_read2st64_b32 v[6:7], v8 offset0:4 offset1:5
	ds_read_b32 v8, v8 offset:1536
	v_readlane_b32 s0, v104, 0
	s_waitcnt lgkmcnt(3)
	v_add_f32_e32 v2, 0, v2
	v_add_f32_e32 v2, v2, v3
	s_waitcnt lgkmcnt(2)
	v_add_f32_e32 v2, v2, v4
	v_mul_lo_u32 v4, v1, s25
	v_add_f32_e32 v2, v2, v5
	v_sub_u32_e32 v0, v0, v4
	s_waitcnt lgkmcnt(1)
	v_add_f32_e32 v2, v2, v6
	v_add_u32_e32 v3, s11, v84
	v_mul_lo_u32 v0, v0, s10
	v_mul_lo_u32 v1, v1, s21
	v_add_f32_e32 v2, v2, v7
	v_add3_u32 v0, v3, v1, v0
	v_mov_b32_e32 v1, 0
	v_readlane_b32 s1, v104, 1
	s_waitcnt lgkmcnt(0)
	v_add_f32_e32 v2, v2, v8
	v_lshl_add_u64 v[0:1], v[0:1], 2, s[0:1]
	global_store_dword v[0:1], v2, off
.LBB93_20:
	s_endpgm
	.section	.rodata,"a",@progbits
	.p2align	6, 0x0
	.amdhsa_kernel _ZL13mul_mat_f_idsIfLi64ELi3ELi7EEvPKT_PKfPKiS6_S6_Pfiiiiiiiiiiiiii15HIP_vector_typeIjLj3EES9_
		.amdhsa_group_segment_fixed_size 0
		.amdhsa_private_segment_fixed_size 0
		.amdhsa_kernarg_size 128
		.amdhsa_user_sgpr_count 2
		.amdhsa_user_sgpr_dispatch_ptr 0
		.amdhsa_user_sgpr_queue_ptr 0
		.amdhsa_user_sgpr_kernarg_segment_ptr 1
		.amdhsa_user_sgpr_dispatch_id 0
		.amdhsa_user_sgpr_kernarg_preload_length 0
		.amdhsa_user_sgpr_kernarg_preload_offset 0
		.amdhsa_user_sgpr_private_segment_size 0
		.amdhsa_uses_dynamic_stack 0
		.amdhsa_enable_private_segment 0
		.amdhsa_system_sgpr_workgroup_id_x 1
		.amdhsa_system_sgpr_workgroup_id_y 1
		.amdhsa_system_sgpr_workgroup_id_z 1
		.amdhsa_system_sgpr_workgroup_info 0
		.amdhsa_system_vgpr_workitem_id 1
		.amdhsa_next_free_vgpr 105
		.amdhsa_next_free_sgpr 100
		.amdhsa_accum_offset 108
		.amdhsa_reserve_vcc 1
		.amdhsa_float_round_mode_32 0
		.amdhsa_float_round_mode_16_64 0
		.amdhsa_float_denorm_mode_32 3
		.amdhsa_float_denorm_mode_16_64 3
		.amdhsa_dx10_clamp 1
		.amdhsa_ieee_mode 1
		.amdhsa_fp16_overflow 0
		.amdhsa_tg_split 0
		.amdhsa_exception_fp_ieee_invalid_op 0
		.amdhsa_exception_fp_denorm_src 0
		.amdhsa_exception_fp_ieee_div_zero 0
		.amdhsa_exception_fp_ieee_overflow 0
		.amdhsa_exception_fp_ieee_underflow 0
		.amdhsa_exception_fp_ieee_inexact 0
		.amdhsa_exception_int_div_zero 0
	.end_amdhsa_kernel
	.section	.text._ZL13mul_mat_f_idsIfLi64ELi3ELi7EEvPKT_PKfPKiS6_S6_Pfiiiiiiiiiiiiii15HIP_vector_typeIjLj3EES9_,"axG",@progbits,_ZL13mul_mat_f_idsIfLi64ELi3ELi7EEvPKT_PKfPKiS6_S6_Pfiiiiiiiiiiiiii15HIP_vector_typeIjLj3EES9_,comdat
.Lfunc_end93:
	.size	_ZL13mul_mat_f_idsIfLi64ELi3ELi7EEvPKT_PKfPKiS6_S6_Pfiiiiiiiiiiiiii15HIP_vector_typeIjLj3EES9_, .Lfunc_end93-_ZL13mul_mat_f_idsIfLi64ELi3ELi7EEvPKT_PKfPKiS6_S6_Pfiiiiiiiiiiiiii15HIP_vector_typeIjLj3EES9_
                                        ; -- End function
	.set _ZL13mul_mat_f_idsIfLi64ELi3ELi7EEvPKT_PKfPKiS6_S6_Pfiiiiiiiiiiiiii15HIP_vector_typeIjLj3EES9_.num_vgpr, 105
	.set _ZL13mul_mat_f_idsIfLi64ELi3ELi7EEvPKT_PKfPKiS6_S6_Pfiiiiiiiiiiiiii15HIP_vector_typeIjLj3EES9_.num_agpr, 0
	.set _ZL13mul_mat_f_idsIfLi64ELi3ELi7EEvPKT_PKfPKiS6_S6_Pfiiiiiiiiiiiiii15HIP_vector_typeIjLj3EES9_.numbered_sgpr, 100
	.set _ZL13mul_mat_f_idsIfLi64ELi3ELi7EEvPKT_PKfPKiS6_S6_Pfiiiiiiiiiiiiii15HIP_vector_typeIjLj3EES9_.num_named_barrier, 0
	.set _ZL13mul_mat_f_idsIfLi64ELi3ELi7EEvPKT_PKfPKiS6_S6_Pfiiiiiiiiiiiiii15HIP_vector_typeIjLj3EES9_.private_seg_size, 0
	.set _ZL13mul_mat_f_idsIfLi64ELi3ELi7EEvPKT_PKfPKiS6_S6_Pfiiiiiiiiiiiiii15HIP_vector_typeIjLj3EES9_.uses_vcc, 1
	.set _ZL13mul_mat_f_idsIfLi64ELi3ELi7EEvPKT_PKfPKiS6_S6_Pfiiiiiiiiiiiiii15HIP_vector_typeIjLj3EES9_.uses_flat_scratch, 0
	.set _ZL13mul_mat_f_idsIfLi64ELi3ELi7EEvPKT_PKfPKiS6_S6_Pfiiiiiiiiiiiiii15HIP_vector_typeIjLj3EES9_.has_dyn_sized_stack, 0
	.set _ZL13mul_mat_f_idsIfLi64ELi3ELi7EEvPKT_PKfPKiS6_S6_Pfiiiiiiiiiiiiii15HIP_vector_typeIjLj3EES9_.has_recursion, 0
	.set _ZL13mul_mat_f_idsIfLi64ELi3ELi7EEvPKT_PKfPKiS6_S6_Pfiiiiiiiiiiiiii15HIP_vector_typeIjLj3EES9_.has_indirect_call, 0
	.section	.AMDGPU.csdata,"",@progbits
; Kernel info:
; codeLenInByte = 4780
; TotalNumSgprs: 106
; NumVgprs: 105
; NumAgprs: 0
; TotalNumVgprs: 105
; ScratchSize: 0
; MemoryBound: 0
; FloatMode: 240
; IeeeMode: 1
; LDSByteSize: 0 bytes/workgroup (compile time only)
; SGPRBlocks: 13
; VGPRBlocks: 13
; NumSGPRsForWavesPerEU: 106
; NumVGPRsForWavesPerEU: 105
; AccumOffset: 108
; Occupancy: 4
; WaveLimiterHint : 1
; COMPUTE_PGM_RSRC2:SCRATCH_EN: 0
; COMPUTE_PGM_RSRC2:USER_SGPR: 2
; COMPUTE_PGM_RSRC2:TRAP_HANDLER: 0
; COMPUTE_PGM_RSRC2:TGID_X_EN: 1
; COMPUTE_PGM_RSRC2:TGID_Y_EN: 1
; COMPUTE_PGM_RSRC2:TGID_Z_EN: 1
; COMPUTE_PGM_RSRC2:TIDIG_COMP_CNT: 1
; COMPUTE_PGM_RSRC3_GFX90A:ACCUM_OFFSET: 26
; COMPUTE_PGM_RSRC3_GFX90A:TG_SPLIT: 0
	.section	.text._ZL9mul_mat_fIfLi64ELi3ELi7ELb1EEvPKT_PKfPKiPfiiiiiiiiiiiiiiii,"axG",@progbits,_ZL9mul_mat_fIfLi64ELi3ELi7ELb1EEvPKT_PKfPKiPfiiiiiiiiiiiiiiii,comdat
	.globl	_ZL9mul_mat_fIfLi64ELi3ELi7ELb1EEvPKT_PKfPKiPfiiiiiiiiiiiiiiii ; -- Begin function _ZL9mul_mat_fIfLi64ELi3ELi7ELb1EEvPKT_PKfPKiPfiiiiiiiiiiiiiiii
	.p2align	8
	.type	_ZL9mul_mat_fIfLi64ELi3ELi7ELb1EEvPKT_PKfPKiPfiiiiiiiiiiiiiiii,@function
_ZL9mul_mat_fIfLi64ELi3ELi7ELb1EEvPKT_PKfPKiPfiiiiiiiiiiiiiiii: ; @_ZL9mul_mat_fIfLi64ELi3ELi7ELb1EEvPKT_PKfPKiPfiiiiiiiiiiiiiiii
; %bb.0:
	s_load_dwordx8 s[12:19], s[0:1], 0x20
	v_and_b32_e32 v16, 0x3ff, v0
	v_bfe_u32 v17, v0, 10, 10
	s_waitcnt lgkmcnt(0)
	s_add_i32 s5, s13, 2
	s_mul_hi_i32 s5, s5, 0x55555556
	s_lshr_b32 s6, s5, 31
	s_add_i32 s5, s5, s6
	v_cvt_f32_u32_e32 v1, s5
	s_load_dwordx4 s[20:23], s[0:1], 0x44
	s_load_dword s6, s[0:1], 0x64
	s_add_u32 s30, s0, 0x60
	s_addc_u32 s31, s1, 0
	v_rcp_iflag_f32_e32 v1, v1
	s_sub_i32 s7, 0, s5
	s_waitcnt lgkmcnt(0)
	s_abs_i32 s33, s23
	v_mul_f32_e32 v1, 0x4f7ffffe, v1
	v_cvt_u32_f32_e32 v1, v1
	v_mul_lo_u32 v2, s7, v1
	v_mul_hi_u32 v2, v1, v2
	v_add_u32_e32 v1, v1, v2
	v_mul_hi_u32 v1, s6, v1
	v_mul_lo_u32 v2, v1, s5
	v_sub_u32_e32 v2, s6, v2
	v_add_u32_e32 v3, 1, v1
	v_subrev_u32_e32 v4, s5, v2
	v_cmp_le_u32_e32 vcc, s5, v2
	s_nop 1
	v_cndmask_b32_e32 v1, v1, v3, vcc
	v_cndmask_b32_e32 v2, v2, v4, vcc
	v_add_u32_e32 v3, 1, v1
	v_cmp_le_u32_e32 vcc, s5, v2
	v_cvt_f32_u32_e32 v4, s33
	s_sub_i32 s5, 0, s33
	v_cndmask_b32_e32 v2, v1, v3, vcc
	v_cvt_f32_u32_e32 v1, v2
	v_rcp_iflag_f32_e32 v3, v4
	v_sub_u32_e32 v5, 0, v2
	v_cmp_eq_u32_e32 vcc, 0, v16
	v_rcp_iflag_f32_e32 v4, v1
	v_mul_f32_e32 v1, 0x4f7ffffe, v3
	v_cvt_u32_f32_e32 v1, v1
	v_mul_f32_e32 v3, 0x4f7ffffe, v4
	v_cvt_u32_f32_e32 v3, v3
	v_mul_lo_u32 v4, s5, v1
	v_mul_hi_u32 v4, v1, v4
	v_mul_lo_u32 v5, v5, v3
	v_mul_hi_u32 v5, v3, v5
	v_add_u32_e32 v3, v3, v5
	v_mul_hi_u32 v3, s3, v3
	s_and_saveexec_b64 s[6:7], vcc
; %bb.1:
	v_mov_b32_e32 v5, 0x100
	v_lshl_add_u32 v5, v17, 2, v5
	v_mov_b32_e32 v6, -1
	ds_write_b32 v5, v6
; %bb.2:
	s_or_b64 exec, exec, s[6:7]
	v_add_u32_e32 v1, v1, v4
	v_mul_lo_u32 v4, v3, v2
	v_sub_u32_e32 v4, s3, v4
	v_add_u32_e32 v5, 1, v3
	v_sub_u32_e32 v6, v4, v2
	v_cmp_ge_u32_e32 vcc, v4, v2
	s_load_dwordx4 s[24:27], s[0:1], 0x54
	s_waitcnt lgkmcnt(0)
	s_abs_i32 s27, s4
	v_cndmask_b32_e32 v3, v3, v5, vcc
	v_cndmask_b32_e32 v4, v4, v6, vcc
	v_add_u32_e32 v5, 1, v3
	v_cmp_ge_u32_e32 vcc, v4, v2
	v_mov_b32_e32 v6, 0
	s_nop 0
	v_cndmask_b32_e32 v3, v3, v5, vcc
	v_mul_lo_u32 v2, v3, v2
	v_mul_lo_u32 v90, v3, 3
	v_sub_u32_e32 v18, s3, v2
	v_add_u32_e32 v2, v17, v90
	v_cmp_gt_i32_e64 s[8:9], s13, v2
	s_and_saveexec_b64 s[10:11], s[8:9]
	s_cbranch_execz .LBB94_10
; %bb.3:
	v_cmp_gt_i32_e32 vcc, s14, v16
	v_mov_b32_e32 v6, 0
	s_and_saveexec_b64 s[28:29], vcc
	s_cbranch_execz .LBB94_9
; %bb.4:
	s_load_dwordx2 s[6:7], s[0:1], 0x10
	v_mul_hi_i32 v3, v90, s19
	v_mul_lo_u32 v2, v90, s19
	v_mul_lo_u32 v4, v17, s19
	v_lshlrev_b64 v[2:3], 2, v[2:3]
	s_waitcnt lgkmcnt(0)
	v_lshl_add_u64 v[2:3], s[6:7], 0, v[2:3]
	v_ashrrev_i32_e32 v5, 31, v4
	v_lshl_add_u64 v[2:3], v[4:5], 2, v[2:3]
	v_mov_b32_e32 v4, 0x100
	v_lshl_add_u32 v7, v17, 2, v4
	v_mul_lo_u32 v4, v16, s18
	s_lshl_b32 s3, s18, 6
	v_mov_b32_e32 v6, 0
	s_mov_b64 s[18:19], 0
	v_mov_b32_e32 v8, v16
	s_branch .LBB94_6
.LBB94_5:                               ;   in Loop: Header=BB94_6 Depth=1
	s_or_b64 exec, exec, s[34:35]
	v_add_u32_e32 v8, 64, v8
	v_cmp_le_i32_e64 s[6:7], s14, v8
	s_xor_b64 s[34:35], vcc, -1
	s_or_b64 s[6:7], s[34:35], s[6:7]
	s_and_b64 s[6:7], exec, s[6:7]
	s_or_b64 s[18:19], s[6:7], s[18:19]
	v_add_u32_e32 v4, s3, v4
	s_andn2_b64 exec, exec, s[18:19]
	s_cbranch_execz .LBB94_8
.LBB94_6:                               ; =>This Inner Loop Header: Depth=1
	v_ashrrev_i32_e32 v5, 31, v4
	v_lshl_add_u64 v[10:11], v[4:5], 2, v[2:3]
	global_load_dword v5, v[10:11], off
	s_waitcnt vmcnt(0)
	v_cmp_ne_u32_e32 vcc, v5, v18
	v_cmp_eq_u32_e64 s[6:7], v5, v18
	s_and_saveexec_b64 s[34:35], s[6:7]
	s_cbranch_execz .LBB94_5
; %bb.7:                                ;   in Loop: Header=BB94_6 Depth=1
	v_mov_b32_e32 v6, 1
	ds_write_b32 v7, v8
	s_branch .LBB94_5
.LBB94_8:
	s_or_b64 exec, exec, s[18:19]
.LBB94_9:
	s_or_b64 exec, exec, s[28:29]
.LBB94_10:
	s_or_b64 exec, exec, s[10:11]
	s_load_dwordx2 s[18:19], s[30:31], 0xc
	s_load_dwordx2 s[28:29], s[0:1], 0x8
	;; [unrolled: 1-line block ×3, first 2 shown]
	v_mul_hi_u32 v19, s27, v1
	v_or_b32_dpp v1, v6, v6 row_shl:1 row_mask:0xf bank_mask:0xf bound_ctrl:1
	s_waitcnt lgkmcnt(0)
	s_lshr_b32 s6, s18, 16
	s_and_b32 s5, s18, 0xffff
	v_or_b32_dpp v1, v1, v1 row_shl:2 row_mask:0xf bank_mask:0xf bound_ctrl:1
	s_mul_i32 s7, s6, s5
	s_and_b32 s3, s19, 0xffff
	v_or_b32_dpp v1, v1, v1 row_shl:4 row_mask:0xf bank_mask:0xf bound_ctrl:1
	s_bfe_i32 s7, s7, 0x180000
	s_mul_i32 s3, s7, s3
	v_or_b32_dpp v1, v1, v1 row_shl:8 row_mask:0xf bank_mask:0xf bound_ctrl:1
	s_add_i32 s7, s3, 63
	s_bitcmp1_b32 exec_hi, 0
	v_mov_b32_dpp v2, v1 wave_shl:1 row_mask:0xf bank_mask:0xf bound_ctrl:1
	s_nop 1
	v_or_b32_dpp v1, v2, v1 row_mirror row_mask:0xf bank_mask:0xf bound_ctrl:1
	s_nop 0
	v_readlane_b32 s3, v1, 32
	s_cselect_b32 s3, s3, 0
	v_readlane_b32 s14, v1, 0
	s_or_b32 s3, s3, s14
	s_andn2_b32 s7, s7, 63
	s_cmp_lg_u32 s7, 64
	v_mov_b32_e32 v1, s3
	s_cbranch_scc0 .LBB94_17
; %bb.11:
	v_bfe_u32 v0, v0, 20, 10
	v_mbcnt_lo_u32_b32 v1, -1, 0
	v_mad_u32_u24 v0, v0, s6, v17
	v_mbcnt_hi_u32_b32 v2, -1, v1
	v_mad_u64_u32 v[0:1], s[6:7], v0, s5, v[16:17]
	v_lshrrev_b32_e32 v1, 6, v0
	v_or_b32_e32 v1, v2, v1
	v_cmp_eq_u32_e32 vcc, 0, v1
	s_and_saveexec_b64 s[6:7], vcc
; %bb.12:
	v_mov_b32_e32 v1, 0
	v_mov_b32_e32 v3, s3
	ds_write_b32 v1, v3
; %bb.13:
	s_or_b64 exec, exec, s[6:7]
	v_cmp_eq_u32_e32 vcc, 0, v2
	v_cmp_lt_u32_e64 s[6:7], 63, v0
	s_and_b64 s[18:19], s[6:7], vcc
	s_waitcnt lgkmcnt(0)
	s_barrier
	s_and_saveexec_b64 s[6:7], s[18:19]
	s_cbranch_execz .LBB94_16
; %bb.14:
	v_mbcnt_lo_u32_b32 v0, exec_lo, 0
	v_mbcnt_hi_u32_b32 v0, exec_hi, v0
	v_cmp_eq_u32_e32 vcc, 0, v0
	s_and_b64 exec, exec, vcc
; %bb.15:
	v_mov_b32_e32 v0, 0
	v_mov_b32_e32 v1, s3
	ds_or_b32 v0, v1
.LBB94_16:
	s_or_b64 exec, exec, s[6:7]
	v_mov_b32_e32 v0, 0
	s_waitcnt lgkmcnt(0)
	s_barrier
	ds_read_b32 v1, v0
	s_waitcnt lgkmcnt(0)
	s_barrier
.LBB94_17:
	s_load_dwordx2 s[0:1], s[0:1], 0x0
	v_cmp_ne_u32_e32 vcc, 0, v1
	s_ashr_i32 s3, s4, 31
	s_ashr_i32 s14, s23, 31
	s_cbranch_vccz .LBB94_39
; %bb.18:
	v_lshlrev_b32_e32 v91, 6, v17
	v_add_u32_e32 v93, v91, v16
	v_cmp_le_i32_e32 vcc, s12, v93
	v_and_b32_e32 v92, 15, v16
	s_and_saveexec_b64 s[6:7], vcc
	s_xor_b64 s[6:7], exec, s[6:7]
; %bb.19:
	v_and_b32_e32 v92, 15, v16
                                        ; implicit-def: $vgpr93
                                        ; implicit-def: $vgpr19
                                        ; implicit-def: $vgpr18
; %bb.20:
	s_or_saveexec_b64 s[18:19], s[6:7]
	v_mov_b32_e32 v11, 0
	s_lshl_b32 s5, s2, 6
	v_mov_b32_e32 v10, v11
	v_mov_b32_e32 v9, v11
	;; [unrolled: 1-line block ×15, first 2 shown]
	s_xor_b64 exec, exec, s[18:19]
	s_cbranch_execz .LBB94_36
; %bb.21:
	v_mul_lo_u32 v0, v19, s33
	v_sub_u32_e32 v0, s27, v0
	v_add_u32_e32 v1, 1, v19
	v_subrev_u32_e32 v2, s33, v0
	v_cmp_le_u32_e32 vcc, s33, v0
	s_xor_b32 s2, s3, s14
	s_movk_i32 s6, 0x1080
	v_cndmask_b32_e32 v1, v19, v1, vcc
	v_cndmask_b32_e32 v0, v0, v2, vcc
	v_add_u32_e32 v2, 1, v1
	v_cmp_le_u32_e32 vcc, s33, v0
	v_mov_b32_e32 v94, 0x100
	v_mad_u32_u24 v6, v17, s6, v94
	v_cndmask_b32_e32 v0, v1, v2, vcc
	v_xor_b32_e32 v0, s2, v0
	v_subrev_u32_e32 v0, s2, v0
	v_mul_hi_i32 v1, v0, s24
	v_mul_lo_u32 v0, v0, s24
	v_mul_lo_u32 v2, v18, s20
	v_ashrrev_i32_e32 v3, 31, v2
	s_mul_i32 s2, s15, s5
	v_lshlrev_b64 v[0:1], 2, v[0:1]
	s_waitcnt lgkmcnt(0)
	v_lshl_add_u64 v[4:5], s[0:1], 0, v[0:1]
	v_lshlrev_b64 v[2:3], 2, v[2:3]
	s_ashr_i32 s3, s2, 31
	s_mul_hi_i32 s7, s25, s4
	s_mul_i32 s6, s25, s4
	v_lshl_add_u64 v[4:5], v[4:5], 0, v[2:3]
	s_lshl_b64 s[2:3], s[2:3], 2
	s_lshl_b64 s[6:7], s[6:7], 2
	v_lshl_add_u64 v[18:19], v[4:5], 0, s[2:3]
	v_mul_hi_i32 v5, v90, s16
	v_mul_lo_u32 v4, v90, s16
	s_add_u32 s6, s28, s6
	s_addc_u32 s7, s29, s7
	v_lshlrev_b64 v[4:5], 2, v[4:5]
	v_lshl_add_u64 v[0:1], v[0:1], 0, s[2:3]
	v_lshl_add_u64 v[20:21], s[6:7], 0, v[4:5]
	v_lshrrev_b32_e32 v5, 1, v16
	v_lshl_add_u64 v[0:1], v[0:1], 0, v[2:3]
	v_mul_u32_u24_e32 v4, 0x108, v92
	v_and_b32_e32 v5, 0x1f8, v5
	v_add_u32_e32 v26, 1, v90
	v_add_u32_e32 v27, 2, v90
	s_ashr_i32 s7, s15, 31
	s_mov_b32 s6, s15
	v_lshl_add_u64 v[0:1], s[0:1], 0, v[0:1]
	v_lshlrev_b32_e32 v22, 2, v93
	v_mov_b32_e32 v23, 0
	v_lshl_add_u32 v95, v16, 2, v6
	v_add3_u32 v96, v6, v4, v5
	s_lshl_b32 s20, s16, 1
	s_add_i32 s23, s15, s15
	s_mul_i32 s27, s15, 3
	s_lshl_b32 s30, s15, 2
	s_mul_i32 s31, s15, 5
	s_mul_i32 s33, s15, 6
	;; [unrolled: 1-line block ×3, first 2 shown]
	s_lshl_b32 s35, s15, 3
	s_mul_i32 s36, s15, 9
	s_mul_i32 s37, s15, 10
	;; [unrolled: 1-line block ×7, first 2 shown]
	s_lshl_b32 s43, s15, 4
	s_mul_i32 s44, s15, 17
	s_mul_i32 s45, s15, 18
	;; [unrolled: 1-line block ×15, first 2 shown]
	s_lshl_b32 s59, s15, 5
	s_mul_i32 s60, s15, 33
	s_mul_i32 s61, s15, 34
	;; [unrolled: 1-line block ×22, first 2 shown]
	v_cmp_gt_i32_e64 s[2:3], s13, v90
	s_mul_i32 s82, s15, 55
	s_mul_i32 s83, s15, 56
	s_lshl_b64 s[24:25], s[6:7], 2
	v_lshl_add_u64 v[24:25], v[0:1], 0, v[22:23]
	v_mov_b32_e32 v12, 0
	v_mov_b32_e32 v13, v23
	;; [unrolled: 1-line block ×16, first 2 shown]
	s_mul_i32 s84, s15, 57
	s_mul_i32 s85, s15, 58
	;; [unrolled: 1-line block ×7, first 2 shown]
	v_cmp_gt_i32_e64 s[0:1], s13, v26
	v_cmp_gt_i32_e64 s[6:7], s13, v27
	s_mov_b64 s[14:15], 0
	s_mov_b64 s[28:29], 0x700
	s_branch .LBB94_24
.LBB94_22:                              ;   in Loop: Header=BB94_24 Depth=1
	v_mul_lo_u32 v22, v22, s21
	v_add_u32_e32 v22, s20, v22
	v_add_u32_e32 v98, v22, v93
	v_ashrrev_i32_e32 v99, 31, v98
	v_lshl_add_u64 v[98:99], v[98:99], 2, v[20:21]
	global_load_dword v22, v[98:99], off
.LBB94_23:                              ;   in Loop: Header=BB94_24 Depth=1
	s_waitcnt vmcnt(0)
	ds_write2_b32 v95, v22, v23 offset0:148 offset1:214
	v_add_u32_e32 v22, 0x400, v95
	ds_write2_b32 v22, v23, v23 offset0:24 offset1:90
	ds_write2_b32 v22, v23, v23 offset0:156 offset1:222
	v_add_u32_e32 v22, 0x800, v95
	ds_write2_b32 v22, v23, v23 offset0:32 offset1:98
	;; [unrolled: 3-line block ×3, first 2 shown]
	ds_write2_b32 v22, v23, v23 offset0:172 offset1:238
	ds_read2_b64 v[98:101], v96 offset0:8 offset1:12
	v_add_u32_e32 v93, 0x1c0, v93
	s_waitcnt lgkmcnt(0)
	v_mfma_f32_16x16x4_f32 v[8:11], v56, v98, v[8:11]
	v_cmp_le_i32_e32 vcc, s12, v93
	v_lshl_add_u64 v[24:25], v[24:25], 0, s[28:29]
	s_or_b64 s[14:15], vcc, s[14:15]
	v_mfma_f32_16x16x4_f32 v[4:7], v68, v98, v[4:7]
	v_mfma_f32_16x16x4_f32 v[0:3], v80, v98, v[0:3]
	;; [unrolled: 1-line block ×15, first 2 shown]
	ds_read2_b64 v[86:89], v96 offset0:16 offset1:20
	s_waitcnt lgkmcnt(0)
	v_mfma_f32_16x16x4_f32 v[8:11], v42, v86, v[8:11]
	v_mfma_f32_16x16x4_f32 v[4:7], v60, v86, v[4:7]
	;; [unrolled: 1-line block ×15, first 2 shown]
	ds_read2_b64 v[64:67], v96 offset0:24 offset1:28
	v_mfma_f32_16x16x4_f32 v[12:15], v83, v89, v[12:15]
	s_waitcnt lgkmcnt(0)
	v_mfma_f32_16x16x4_f32 v[8:11], v34, v64, v[8:11]
	v_mfma_f32_16x16x4_f32 v[4:7], v46, v64, v[4:7]
	;; [unrolled: 1-line block ×14, first 2 shown]
	ds_read2_b64 v[38:41], v96 offset0:32 offset1:36
	v_mfma_f32_16x16x4_f32 v[0:3], v59, v67, v[0:3]
	v_mfma_f32_16x16x4_f32 v[12:15], v75, v67, v[12:15]
	s_waitcnt lgkmcnt(0)
	v_mfma_f32_16x16x4_f32 v[8:11], v28, v38, v[8:11]
	v_mfma_f32_16x16x4_f32 v[4:7], v36, v38, v[4:7]
	;; [unrolled: 1-line block ×16, first 2 shown]
	s_andn2_b64 exec, exec, s[14:15]
	s_cbranch_execz .LBB94_35
.LBB94_24:                              ; =>This Inner Loop Header: Depth=1
	v_lshl_add_u64 v[26:27], v[24:25], 0, s[24:25]
	global_load_dword v22, v[24:25], off
	global_load_dword v52, v[26:27], off
	v_add_u32_e32 v26, s23, v93
	v_ashrrev_i32_e32 v27, 31, v26
	v_add_u32_e32 v28, s27, v93
	v_add_u32_e32 v30, s30, v93
	;; [unrolled: 1-line block ×5, first 2 shown]
	v_lshl_add_u64 v[26:27], v[26:27], 2, v[18:19]
	v_ashrrev_i32_e32 v29, 31, v28
	v_ashrrev_i32_e32 v31, 31, v30
	;; [unrolled: 1-line block ×5, first 2 shown]
	v_lshl_add_u64 v[28:29], v[28:29], 2, v[18:19]
	v_lshl_add_u64 v[30:31], v[30:31], 2, v[18:19]
	;; [unrolled: 1-line block ×5, first 2 shown]
	global_load_dword v53, v[26:27], off
	global_load_dword v54, v[28:29], off
	;; [unrolled: 1-line block ×6, first 2 shown]
	v_add_u32_e32 v26, s35, v93
	v_add_u32_e32 v44, s44, v93
	;; [unrolled: 1-line block ×10, first 2 shown]
	v_ashrrev_i32_e32 v27, 31, v26
	v_ashrrev_i32_e32 v45, 31, v44
	;; [unrolled: 1-line block ×10, first 2 shown]
	v_lshl_add_u64 v[26:27], v[26:27], 2, v[18:19]
	v_lshl_add_u64 v[44:45], v[44:45], 2, v[18:19]
	v_add_u32_e32 v46, s45, v93
	v_add_u32_e32 v50, s47, v93
	v_lshl_add_u64 v[28:29], v[28:29], 2, v[18:19]
	v_lshl_add_u64 v[30:31], v[30:31], 2, v[18:19]
	;; [unrolled: 1-line block ×8, first 2 shown]
	global_load_dword v59, v[26:27], off
	global_load_dword v60, v[28:29], off
	;; [unrolled: 1-line block ×9, first 2 shown]
	s_nop 0
	global_load_dword v44, v[44:45], off
	v_add_u32_e32 v26, s48, v93
	v_add_u32_e32 v48, s46, v93
	v_ashrrev_i32_e32 v47, 31, v46
	v_ashrrev_i32_e32 v51, 31, v50
	;; [unrolled: 1-line block ×3, first 2 shown]
	v_add_u32_e32 v28, s49, v93
	v_add_u32_e32 v30, s50, v93
	;; [unrolled: 1-line block ×4, first 2 shown]
	v_ashrrev_i32_e32 v49, 31, v48
	v_lshl_add_u64 v[46:47], v[46:47], 2, v[18:19]
	v_lshl_add_u64 v[50:51], v[50:51], 2, v[18:19]
	;; [unrolled: 1-line block ×3, first 2 shown]
	v_ashrrev_i32_e32 v29, 31, v28
	v_ashrrev_i32_e32 v31, 31, v30
	;; [unrolled: 1-line block ×4, first 2 shown]
	v_lshl_add_u64 v[48:49], v[48:49], 2, v[18:19]
	v_lshl_add_u64 v[28:29], v[28:29], 2, v[18:19]
	;; [unrolled: 1-line block ×5, first 2 shown]
	v_add_u32_e32 v36, s58, v93
	v_add_u32_e32 v38, s59, v93
	;; [unrolled: 1-line block ×3, first 2 shown]
	v_ashrrev_i32_e32 v37, 31, v36
	v_ashrrev_i32_e32 v39, 31, v38
	;; [unrolled: 1-line block ×3, first 2 shown]
	v_lshl_add_u64 v[36:37], v[36:37], 2, v[18:19]
	s_waitcnt vmcnt(17)
	ds_write_b32 v95, v22 offset:64
	s_waitcnt vmcnt(16)
	ds_write_b32 v95, v52 offset:328
	;; [unrolled: 2-line block ×8, first 2 shown]
	global_load_dword v22, v[46:47], off
	global_load_dword v45, v[48:49], off
	s_nop 0
	global_load_dword v46, v[50:51], off
	global_load_dword v47, v[26:27], off
	s_nop 0
	global_load_dword v50, v[28:29], off
	global_load_dword v51, v[30:31], off
	;; [unrolled: 1-line block ×4, first 2 shown]
	v_add_u32_e32 v26, s53, v93
	v_ashrrev_i32_e32 v27, 31, v26
	v_add_u32_e32 v28, s54, v93
	v_add_u32_e32 v30, s55, v93
	v_add_u32_e32 v32, s56, v93
	v_add_u32_e32 v34, s57, v93
	v_lshl_add_u64 v[26:27], v[26:27], 2, v[18:19]
	v_ashrrev_i32_e32 v29, 31, v28
	v_ashrrev_i32_e32 v31, 31, v30
	v_ashrrev_i32_e32 v33, 31, v32
	v_ashrrev_i32_e32 v35, 31, v34
	v_lshl_add_u64 v[28:29], v[28:29], 2, v[18:19]
	v_lshl_add_u64 v[30:31], v[30:31], 2, v[18:19]
	v_lshl_add_u64 v[32:33], v[32:33], 2, v[18:19]
	v_lshl_add_u64 v[34:35], v[34:35], 2, v[18:19]
	v_lshl_add_u64 v[38:39], v[38:39], 2, v[18:19]
	v_lshl_add_u64 v[40:41], v[40:41], 2, v[18:19]
	global_load_dword v54, v[26:27], off
	global_load_dword v55, v[28:29], off
	global_load_dword v58, v[30:31], off
	global_load_dword v68, v[32:33], off
	global_load_dword v69, v[34:35], off
	global_load_dword v70, v[36:37], off
	global_load_dword v71, v[38:39], off
	global_load_dword v72, v[40:41], off
	v_add_u32_e32 v26, s61, v93
	v_ashrrev_i32_e32 v27, 31, v26
	v_add_u32_e32 v28, s62, v93
	v_add_u32_e32 v30, s63, v93
	v_add_u32_e32 v32, s64, v93
	v_add_u32_e32 v34, s65, v93
	v_add_u32_e32 v36, s66, v93
	v_add_u32_e32 v38, s67, v93
	v_add_u32_e32 v40, s68, v93
	v_lshl_add_u64 v[26:27], v[26:27], 2, v[18:19]
	v_ashrrev_i32_e32 v29, 31, v28
	v_ashrrev_i32_e32 v31, 31, v30
	v_ashrrev_i32_e32 v33, 31, v32
	v_ashrrev_i32_e32 v35, 31, v34
	v_ashrrev_i32_e32 v37, 31, v36
	v_ashrrev_i32_e32 v39, 31, v38
	v_ashrrev_i32_e32 v41, 31, v40
	v_lshl_add_u64 v[28:29], v[28:29], 2, v[18:19]
	v_lshl_add_u64 v[30:31], v[30:31], 2, v[18:19]
	v_lshl_add_u64 v[32:33], v[32:33], 2, v[18:19]
	v_lshl_add_u64 v[34:35], v[34:35], 2, v[18:19]
	v_lshl_add_u64 v[36:37], v[36:37], 2, v[18:19]
	v_lshl_add_u64 v[38:39], v[38:39], 2, v[18:19]
	v_lshl_add_u64 v[40:41], v[40:41], 2, v[18:19]
	global_load_dword v73, v[26:27], off
	global_load_dword v74, v[28:29], off
	global_load_dword v75, v[30:31], off
	global_load_dword v76, v[32:33], off
	global_load_dword v77, v[34:35], off
	global_load_dword v78, v[36:37], off
	global_load_dword v79, v[38:39], off
	global_load_dword v80, v[40:41], off
	v_add_u32_e32 v26, s69, v93
	v_ashrrev_i32_e32 v27, 31, v26
	v_add_u32_e32 v28, s70, v93
	v_add_u32_e32 v30, s71, v93
	v_add_u32_e32 v32, s72, v93
	v_add_u32_e32 v34, s73, v93
	v_add_u32_e32 v36, s74, v93
	v_add_u32_e32 v38, s75, v93
	v_add_u32_e32 v40, s76, v93
	v_lshl_add_u64 v[26:27], v[26:27], 2, v[18:19]
	v_ashrrev_i32_e32 v29, 31, v28
	v_ashrrev_i32_e32 v31, 31, v30
	v_ashrrev_i32_e32 v33, 31, v32
	v_ashrrev_i32_e32 v35, 31, v34
	v_ashrrev_i32_e32 v37, 31, v36
	v_ashrrev_i32_e32 v39, 31, v38
	v_ashrrev_i32_e32 v41, 31, v40
	v_lshl_add_u64 v[28:29], v[28:29], 2, v[18:19]
	;; [unrolled: 32-line block ×3, first 2 shown]
	v_lshl_add_u64 v[30:31], v[30:31], 2, v[18:19]
	v_lshl_add_u64 v[32:33], v[32:33], 2, v[18:19]
	;; [unrolled: 1-line block ×6, first 2 shown]
	global_load_dword v89, v[26:27], off
	global_load_dword v97, v[28:29], off
	global_load_dword v98, v[30:31], off
	global_load_dword v99, v[32:33], off
	global_load_dword v100, v[34:35], off
	global_load_dword v101, v[36:37], off
	global_load_dword v102, v[38:39], off
	global_load_dword v103, v[40:41], off
	v_add_u32_e32 v26, s85, v93
	v_ashrrev_i32_e32 v27, 31, v26
	v_add_u32_e32 v28, s86, v93
	v_add_u32_e32 v30, s87, v93
	;; [unrolled: 1-line block ×5, first 2 shown]
	v_lshl_add_u64 v[26:27], v[26:27], 2, v[18:19]
	v_ashrrev_i32_e32 v29, 31, v28
	v_ashrrev_i32_e32 v31, 31, v30
	;; [unrolled: 1-line block ×5, first 2 shown]
	v_lshl_add_u64 v[28:29], v[28:29], 2, v[18:19]
	v_lshl_add_u64 v[30:31], v[30:31], 2, v[18:19]
	;; [unrolled: 1-line block ×5, first 2 shown]
	global_load_dword v104, v[26:27], off
	global_load_dword v105, v[28:29], off
	global_load_dword v106, v[30:31], off
	global_load_dword v107, v[32:33], off
	global_load_dword v108, v[34:35], off
	global_load_dword v109, v[36:37], off
	s_waitcnt vmcnt(55)
	ds_write_b32 v95, v59 offset:2176
	s_waitcnt vmcnt(54)
	ds_write_b32 v95, v60 offset:2440
	s_waitcnt vmcnt(53)
	ds_write_b32 v95, v61 offset:2704
	s_waitcnt vmcnt(52)
	ds_write_b32 v95, v62 offset:2968
	s_waitcnt vmcnt(51)
	ds_write_b32 v95, v63 offset:3232
	s_waitcnt vmcnt(50)
	ds_write_b32 v95, v64 offset:3496
	s_waitcnt vmcnt(49)
	ds_write_b32 v95, v65 offset:3760
	s_waitcnt vmcnt(48)
	ds_write_b32 v95, v66 offset:4024
	ds_read_b64 v[56:57], v96 offset:64
	ds_read_b64 v[48:49], v96 offset:96
	ds_read_b64 v[42:43], v96 offset:128
	ds_read_b64 v[38:39], v96 offset:160
	ds_read_b64 v[34:35], v96 offset:192
	ds_read_b64 v[30:31], v96 offset:224
	ds_read_b64 v[28:29], v96 offset:256
	ds_read_b64 v[26:27], v96 offset:288
	s_waitcnt vmcnt(47)
	ds_write_b32 v95, v67 offset:64
	s_waitcnt vmcnt(46)
	ds_write_b32 v95, v44 offset:328
	s_waitcnt vmcnt(45)
	ds_write_b32 v95, v22 offset:592
	s_waitcnt vmcnt(44)
	ds_write_b32 v95, v45 offset:856
	s_waitcnt vmcnt(43)
	ds_write_b32 v95, v46 offset:1120
	s_waitcnt vmcnt(42)
	ds_write_b32 v95, v47 offset:1384
	s_waitcnt vmcnt(41)
	ds_write_b32 v95, v50 offset:1648
	s_waitcnt vmcnt(40)
	ds_write_b32 v95, v51 offset:1912
	s_waitcnt vmcnt(39)
	ds_write_b32 v95, v52 offset:2176
	s_waitcnt vmcnt(38)
	ds_write_b32 v95, v53 offset:2440
	s_waitcnt vmcnt(37)
	ds_write_b32 v95, v54 offset:2704
	s_waitcnt vmcnt(36)
	ds_write_b32 v95, v55 offset:2968
	s_waitcnt vmcnt(35)
	ds_write_b32 v95, v58 offset:3232
	s_waitcnt vmcnt(34)
	ds_write_b32 v95, v68 offset:3496
	s_waitcnt vmcnt(33)
	ds_write_b32 v95, v69 offset:3760
	s_waitcnt vmcnt(32)
	ds_write_b32 v95, v70 offset:4024
	ds_read_b64 v[68:69], v96 offset:64
	ds_read_b64 v[64:65], v96 offset:96
	ds_read_b64 v[60:61], v96 offset:128
	ds_read_b64 v[52:53], v96 offset:160
	ds_read_b64 v[46:47], v96 offset:192
	ds_read_b64 v[40:41], v96 offset:224
	ds_read_b64 v[36:37], v96 offset:256
	ds_read_b64 v[32:33], v96 offset:288
	s_waitcnt vmcnt(31)
	ds_write_b32 v95, v71 offset:64
	s_waitcnt vmcnt(30)
	ds_write_b32 v95, v72 offset:328
	s_waitcnt vmcnt(29)
	ds_write_b32 v95, v73 offset:592
	s_waitcnt vmcnt(28)
	ds_write_b32 v95, v74 offset:856
	s_waitcnt vmcnt(27)
	ds_write_b32 v95, v75 offset:1120
	s_waitcnt vmcnt(26)
	ds_write_b32 v95, v76 offset:1384
	s_waitcnt vmcnt(25)
	ds_write_b32 v95, v77 offset:1648
	s_waitcnt vmcnt(24)
	ds_write_b32 v95, v78 offset:1912
	;; [unrolled: 40-line block ×3, first 2 shown]
	s_waitcnt vmcnt(7)
	ds_write_b32 v95, v102 offset:2176
	s_waitcnt vmcnt(6)
	ds_write_b32 v95, v103 offset:2440
	;; [unrolled: 2-line block ×8, first 2 shown]
	ds_read_b64 v[88:89], v96 offset:64
	ds_read_b64 v[86:87], v96 offset:96
	;; [unrolled: 1-line block ×8, first 2 shown]
	s_andn2_b64 vcc, exec, s[2:3]
	v_mov_b32_e32 v22, 0
	s_cbranch_vccnz .LBB94_28
; %bb.25:                               ;   in Loop: Header=BB94_24 Depth=1
	ds_read_b32 v22, v94
	s_waitcnt lgkmcnt(0)
	v_cmp_gt_i32_e32 vcc, 0, v22
	s_cbranch_vccnz .LBB94_27
; %bb.26:                               ;   in Loop: Header=BB94_24 Depth=1
	v_mul_lo_u32 v22, v22, s21
	v_add_u32_e32 v98, v93, v22
	v_ashrrev_i32_e32 v99, 31, v98
	v_lshl_add_u64 v[98:99], v[98:99], 2, v[20:21]
	global_load_dword v22, v[98:99], off
	s_branch .LBB94_28
.LBB94_27:                              ;   in Loop: Header=BB94_24 Depth=1
	v_mov_b32_e32 v22, 0
.LBB94_28:                              ;   in Loop: Header=BB94_24 Depth=1
	s_waitcnt vmcnt(0)
	ds_write_b32 v95, v22 offset:64
	v_mov_b32_e32 v22, 0
	s_andn2_b64 vcc, exec, s[0:1]
	v_mov_b32_e32 v97, 0
	s_cbranch_vccnz .LBB94_31
; %bb.29:                               ;   in Loop: Header=BB94_24 Depth=1
	ds_read_b32 v97, v94 offset:4
	s_waitcnt lgkmcnt(0)
	v_cmp_gt_i32_e32 vcc, 0, v97
	s_cbranch_vccnz .LBB94_34
; %bb.30:                               ;   in Loop: Header=BB94_24 Depth=1
	v_mul_lo_u32 v97, v97, s21
	v_add_u32_e32 v97, s16, v97
	v_add_u32_e32 v98, v97, v93
	v_ashrrev_i32_e32 v99, 31, v98
	v_lshl_add_u64 v[98:99], v[98:99], 2, v[20:21]
	global_load_dword v97, v[98:99], off
.LBB94_31:                              ;   in Loop: Header=BB94_24 Depth=1
	s_andn2_b64 vcc, exec, s[6:7]
	s_waitcnt vmcnt(0)
	ds_write_b32 v95, v97 offset:328
	s_cbranch_vccnz .LBB94_23
.LBB94_32:                              ;   in Loop: Header=BB94_24 Depth=1
	ds_read_b32 v22, v94 offset:8
	s_waitcnt lgkmcnt(0)
	v_cmp_gt_i32_e32 vcc, 0, v22
	s_cbranch_vccz .LBB94_22
; %bb.33:                               ;   in Loop: Header=BB94_24 Depth=1
	v_mov_b32_e32 v22, 0
	s_branch .LBB94_23
.LBB94_34:                              ;   in Loop: Header=BB94_24 Depth=1
	v_mov_b32_e32 v97, 0
	s_andn2_b64 vcc, exec, s[6:7]
	ds_write_b32 v95, v97 offset:328
	s_cbranch_vccnz .LBB94_23
	s_branch .LBB94_32
.LBB94_35:
	s_or_b64 exec, exec, s[14:15]
.LBB94_36:
	s_or_b64 exec, exec, s[18:19]
	v_mov_b32_e32 v18, 0x100
	v_lshl_add_u32 v18, v91, 2, v18
	v_mul_u32_u24_e32 v19, 0x708, v92
	v_and_b32_e32 v20, 0x3f0, v16
	v_add3_u32 v19, v18, v19, v20
	v_cmp_gt_u32_e32 vcc, 3, v17
	s_waitcnt lgkmcnt(0)
	s_barrier
	ds_write2_b32 v19, v8, v9 offset0:16 offset1:17
	ds_write2_b32 v19, v10, v11 offset0:18 offset1:19
	;; [unrolled: 1-line block ×8, first 2 shown]
	s_waitcnt lgkmcnt(0)
	s_barrier
	s_and_saveexec_b64 s[0:1], vcc
	s_cbranch_execz .LBB94_39
; %bb.37:
	s_movk_i32 s0, 0xff04
	v_mad_i32_i24 v0, v17, s0, v18
	ds_read_b32 v0, v0
	s_waitcnt lgkmcnt(0)
	v_cmp_lt_i32_e32 vcc, -1, v0
	s_and_b64 s[0:1], vcc, s[8:9]
	s_and_b64 exec, exec, s[0:1]
	s_cbranch_execz .LBB94_39
; %bb.38:
	v_lshlrev_b32_e32 v4, 2, v16
	s_movk_i32 s2, 0x100
	v_mul_u32_u24_e32 v5, 0x708, v17
	v_add3_u32 v10, s2, v4, v5
	ds_read2_b32 v[4:5], v10 offset0:16 offset1:80
	ds_read2_b32 v[6:7], v10 offset0:144 offset1:208
	v_add_u32_e32 v8, 64, v10
	ds_read2st64_b32 v[8:9], v8 offset0:4 offset1:5
	s_mul_hi_i32 s1, s26, s4
	s_waitcnt lgkmcnt(2)
	v_add_f32_e32 v4, 0, v4
	v_add_f32_e32 v4, v4, v5
	ds_read_b32 v5, v10 offset:1600
	s_waitcnt lgkmcnt(2)
	v_add_f32_e32 v4, v4, v6
	s_mul_i32 s0, s26, s4
	v_add_f32_e32 v4, v4, v7
	s_lshl_b64 s[0:1], s[0:1], 2
	s_waitcnt lgkmcnt(1)
	v_add_f32_e32 v4, v4, v8
	v_mul_hi_i32 v3, v90, s17
	v_mul_lo_u32 v2, v90, s17
	s_add_u32 s0, s10, s0
	v_add_f32_e32 v4, v4, v9
	v_add_u32_e32 v1, s5, v16
	s_addc_u32 s1, s11, s1
	v_lshlrev_b64 v[2:3], 2, v[2:3]
	s_waitcnt lgkmcnt(0)
	v_add_f32_e32 v4, v4, v5
	v_mul_lo_u32 v0, v0, s22
	v_mul_lo_u32 v5, v17, s17
	v_lshl_add_u64 v[2:3], s[0:1], 0, v[2:3]
	v_add3_u32 v0, v1, v5, v0
	v_mov_b32_e32 v1, 0
	v_lshl_add_u64 v[0:1], v[0:1], 2, v[2:3]
	global_store_dword v[0:1], v4, off
.LBB94_39:
	s_endpgm
	.section	.rodata,"a",@progbits
	.p2align	6, 0x0
	.amdhsa_kernel _ZL9mul_mat_fIfLi64ELi3ELi7ELb1EEvPKT_PKfPKiPfiiiiiiiiiiiiiiii
		.amdhsa_group_segment_fixed_size 256
		.amdhsa_private_segment_fixed_size 0
		.amdhsa_kernarg_size 352
		.amdhsa_user_sgpr_count 2
		.amdhsa_user_sgpr_dispatch_ptr 0
		.amdhsa_user_sgpr_queue_ptr 0
		.amdhsa_user_sgpr_kernarg_segment_ptr 1
		.amdhsa_user_sgpr_dispatch_id 0
		.amdhsa_user_sgpr_kernarg_preload_length 0
		.amdhsa_user_sgpr_kernarg_preload_offset 0
		.amdhsa_user_sgpr_private_segment_size 0
		.amdhsa_uses_dynamic_stack 0
		.amdhsa_enable_private_segment 0
		.amdhsa_system_sgpr_workgroup_id_x 1
		.amdhsa_system_sgpr_workgroup_id_y 1
		.amdhsa_system_sgpr_workgroup_id_z 1
		.amdhsa_system_sgpr_workgroup_info 0
		.amdhsa_system_vgpr_workitem_id 2
		.amdhsa_next_free_vgpr 110
		.amdhsa_next_free_sgpr 91
		.amdhsa_accum_offset 112
		.amdhsa_reserve_vcc 1
		.amdhsa_float_round_mode_32 0
		.amdhsa_float_round_mode_16_64 0
		.amdhsa_float_denorm_mode_32 3
		.amdhsa_float_denorm_mode_16_64 3
		.amdhsa_dx10_clamp 1
		.amdhsa_ieee_mode 1
		.amdhsa_fp16_overflow 0
		.amdhsa_tg_split 0
		.amdhsa_exception_fp_ieee_invalid_op 0
		.amdhsa_exception_fp_denorm_src 0
		.amdhsa_exception_fp_ieee_div_zero 0
		.amdhsa_exception_fp_ieee_overflow 0
		.amdhsa_exception_fp_ieee_underflow 0
		.amdhsa_exception_fp_ieee_inexact 0
		.amdhsa_exception_int_div_zero 0
	.end_amdhsa_kernel
	.section	.text._ZL9mul_mat_fIfLi64ELi3ELi7ELb1EEvPKT_PKfPKiPfiiiiiiiiiiiiiiii,"axG",@progbits,_ZL9mul_mat_fIfLi64ELi3ELi7ELb1EEvPKT_PKfPKiPfiiiiiiiiiiiiiiii,comdat
.Lfunc_end94:
	.size	_ZL9mul_mat_fIfLi64ELi3ELi7ELb1EEvPKT_PKfPKiPfiiiiiiiiiiiiiiii, .Lfunc_end94-_ZL9mul_mat_fIfLi64ELi3ELi7ELb1EEvPKT_PKfPKiPfiiiiiiiiiiiiiiii
                                        ; -- End function
	.set _ZL9mul_mat_fIfLi64ELi3ELi7ELb1EEvPKT_PKfPKiPfiiiiiiiiiiiiiiii.num_vgpr, 110
	.set _ZL9mul_mat_fIfLi64ELi3ELi7ELb1EEvPKT_PKfPKiPfiiiiiiiiiiiiiiii.num_agpr, 0
	.set _ZL9mul_mat_fIfLi64ELi3ELi7ELb1EEvPKT_PKfPKiPfiiiiiiiiiiiiiiii.numbered_sgpr, 91
	.set _ZL9mul_mat_fIfLi64ELi3ELi7ELb1EEvPKT_PKfPKiPfiiiiiiiiiiiiiiii.num_named_barrier, 0
	.set _ZL9mul_mat_fIfLi64ELi3ELi7ELb1EEvPKT_PKfPKiPfiiiiiiiiiiiiiiii.private_seg_size, 0
	.set _ZL9mul_mat_fIfLi64ELi3ELi7ELb1EEvPKT_PKfPKiPfiiiiiiiiiiiiiiii.uses_vcc, 1
	.set _ZL9mul_mat_fIfLi64ELi3ELi7ELb1EEvPKT_PKfPKiPfiiiiiiiiiiiiiiii.uses_flat_scratch, 0
	.set _ZL9mul_mat_fIfLi64ELi3ELi7ELb1EEvPKT_PKfPKiPfiiiiiiiiiiiiiiii.has_dyn_sized_stack, 0
	.set _ZL9mul_mat_fIfLi64ELi3ELi7ELb1EEvPKT_PKfPKiPfiiiiiiiiiiiiiiii.has_recursion, 0
	.set _ZL9mul_mat_fIfLi64ELi3ELi7ELb1EEvPKT_PKfPKiPfiiiiiiiiiiiiiiii.has_indirect_call, 0
	.section	.AMDGPU.csdata,"",@progbits
; Kernel info:
; codeLenInByte = 5696
; TotalNumSgprs: 97
; NumVgprs: 110
; NumAgprs: 0
; TotalNumVgprs: 110
; ScratchSize: 0
; MemoryBound: 0
; FloatMode: 240
; IeeeMode: 1
; LDSByteSize: 256 bytes/workgroup (compile time only)
; SGPRBlocks: 12
; VGPRBlocks: 13
; NumSGPRsForWavesPerEU: 97
; NumVGPRsForWavesPerEU: 110
; AccumOffset: 112
; Occupancy: 4
; WaveLimiterHint : 0
; COMPUTE_PGM_RSRC2:SCRATCH_EN: 0
; COMPUTE_PGM_RSRC2:USER_SGPR: 2
; COMPUTE_PGM_RSRC2:TRAP_HANDLER: 0
; COMPUTE_PGM_RSRC2:TGID_X_EN: 1
; COMPUTE_PGM_RSRC2:TGID_Y_EN: 1
; COMPUTE_PGM_RSRC2:TGID_Z_EN: 1
; COMPUTE_PGM_RSRC2:TIDIG_COMP_CNT: 2
; COMPUTE_PGM_RSRC3_GFX90A:ACCUM_OFFSET: 27
; COMPUTE_PGM_RSRC3_GFX90A:TG_SPLIT: 0
	.section	.text._ZL9mul_mat_fIfLi64ELi3ELi7ELb0EEvPKT_PKfPKiPfiiiiiiiiiiiiiiii,"axG",@progbits,_ZL9mul_mat_fIfLi64ELi3ELi7ELb0EEvPKT_PKfPKiPfiiiiiiiiiiiiiiii,comdat
	.globl	_ZL9mul_mat_fIfLi64ELi3ELi7ELb0EEvPKT_PKfPKiPfiiiiiiiiiiiiiiii ; -- Begin function _ZL9mul_mat_fIfLi64ELi3ELi7ELb0EEvPKT_PKfPKiPfiiiiiiiiiiiiiiii
	.p2align	8
	.type	_ZL9mul_mat_fIfLi64ELi3ELi7ELb0EEvPKT_PKfPKiPfiiiiiiiiiiiiiiii,@function
_ZL9mul_mat_fIfLi64ELi3ELi7ELb0EEvPKT_PKfPKiPfiiiiiiiiiiiiiiii: ; @_ZL9mul_mat_fIfLi64ELi3ELi7ELb0EEvPKT_PKfPKiPfiiiiiiiiiiiiiiii
; %bb.0:
	s_load_dword s5, s[0:1], 0x20
	s_load_dwordx4 s[16:19], s[0:1], 0x2c
	v_bfe_u32 v56, v0, 10, 10
	v_lshlrev_b32_e32 v58, 6, v56
	v_and_b32_e32 v57, 0x3ff, v0
	v_add_u32_e32 v60, v58, v57
	s_waitcnt lgkmcnt(0)
	s_ashr_i32 s19, s4, 31
	v_cmp_le_i32_e32 vcc, s5, v60
	v_and_b32_e32 v59, 15, v57
	s_and_saveexec_b64 s[6:7], vcc
	s_xor_b64 s[6:7], exec, s[6:7]
; %bb.1:
	v_and_b32_e32 v59, 15, v57
                                        ; implicit-def: $vgpr60
; %bb.2:
	s_or_saveexec_b64 s[24:25], s[6:7]
	s_load_dwordx8 s[8:15], s[0:1], 0x40
	s_load_dwordx2 s[6:7], s[0:1], 0x18
	v_mov_b32_e32 v15, 0
	s_lshl_b32 s2, s2, 6
	v_lshlrev_b32_e32 v16, 2, v57
	v_mov_b32_e32 v14, v15
	v_mov_b32_e32 v13, v15
	;; [unrolled: 1-line block ×15, first 2 shown]
	s_xor_b64 exec, exec, s[24:25]
	s_cbranch_execz .LBB95_6
; %bb.3:
	s_waitcnt lgkmcnt(0)
	s_abs_i32 s26, s8
	v_cvt_f32_u32_e32 v0, s26
	s_abs_i32 s27, s12
	v_cvt_f32_u32_e32 v1, s27
	s_sub_i32 s20, 0, s26
	v_rcp_iflag_f32_e32 v0, v0
	s_abs_i32 s28, s3
	v_rcp_iflag_f32_e32 v1, v1
	s_sub_i32 s21, 0, s27
	v_mul_f32_e32 v0, 0x4f7ffffe, v0
	v_cvt_u32_f32_e32 v0, v0
	v_mul_f32_e32 v1, 0x4f7ffffe, v1
	v_cvt_u32_f32_e32 v1, v1
	s_abs_i32 s29, s4
	v_mul_lo_u32 v2, s20, v0
	v_mul_hi_u32 v2, v0, v2
	v_add_u32_e32 v0, v0, v2
	v_mul_hi_u32 v0, s28, v0
	v_mul_lo_u32 v3, s21, v1
	v_mul_lo_u32 v2, v0, s26
	v_mul_hi_u32 v3, v1, v3
	v_sub_u32_e32 v2, s28, v2
	v_add_u32_e32 v1, v1, v3
	v_add_u32_e32 v3, 1, v0
	v_subrev_u32_e32 v4, s26, v2
	v_cmp_le_u32_e32 vcc, s26, v2
	s_load_dwordx4 s[20:23], s[0:1], 0x0
	s_ashr_i32 s0, s3, 31
	v_cndmask_b32_e32 v0, v0, v3, vcc
	v_cndmask_b32_e32 v2, v2, v4, vcc
	s_ashr_i32 s1, s8, 31
	v_add_u32_e32 v3, 1, v0
	v_cmp_le_u32_e32 vcc, s26, v2
	s_xor_b32 s0, s0, s1
	v_mul_hi_u32 v1, s29, v1
	v_cndmask_b32_e32 v0, v0, v3, vcc
	v_xor_b32_e32 v0, s0, v0
	v_subrev_u32_e32 v2, s0, v0
	v_mul_lo_u32 v0, v1, s27
	v_sub_u32_e32 v0, s29, v0
	v_add_u32_e32 v3, 1, v1
	v_subrev_u32_e32 v4, s27, v0
	v_cmp_le_u32_e32 vcc, s27, v0
	s_ashr_i32 s8, s12, 31
	s_xor_b32 s0, s19, s8
	v_cndmask_b32_e32 v1, v1, v3, vcc
	v_cndmask_b32_e32 v0, v0, v4, vcc
	v_add_u32_e32 v3, 1, v1
	v_cmp_le_u32_e32 vcc, s27, v0
	v_mul_lo_u32 v2, v2, s9
	s_mul_hi_i32 s9, s14, s4
	v_cndmask_b32_e32 v0, v1, v3, vcc
	s_mul_i32 s8, s14, s4
	v_xor_b32_e32 v0, s0, v0
	s_lshl_b64 s[8:9], s[8:9], 2
	v_subrev_u32_e32 v0, s0, v0
	s_mul_i32 s0, s16, s2
	s_mul_i32 s26, s10, s3
	s_waitcnt lgkmcnt(0)
	s_add_u32 s10, s22, s8
	v_mul_hi_i32 v1, v0, s13
	v_mul_lo_u32 v0, v0, s13
	s_addc_u32 s14, s23, s9
	s_ashr_i32 s1, s0, 31
	s_ashr_i32 s27, s26, 31
	v_ashrrev_i32_e32 v3, 31, v2
	v_lshlrev_b64 v[0:1], 2, v[0:1]
	s_lshl_b64 s[12:13], s[0:1], 2
	s_lshl_b64 s[66:67], s[26:27], 2
	v_lshl_add_u64 v[4:5], s[20:21], 0, v[0:1]
	v_lshlrev_b64 v[2:3], 2, v[2:3]
	s_add_u32 s0, s10, s66
	v_lshl_add_u64 v[4:5], v[4:5], 0, v[2:3]
	s_addc_u32 s1, s14, s67
	s_movk_i32 s10, 0x1080
	s_ashr_i32 s69, s16, 31
	s_mov_b32 s68, s16
	s_ashr_i32 s71, s17, 31
	s_mov_b32 s70, s17
	v_lshl_add_u64 v[18:19], v[4:5], 0, s[12:13]
	v_mad_u32_u24 v4, v56, s10, 0
	v_lshrrev_b32_e32 v6, 1, v57
	s_add_i32 s10, s16, s16
	s_add_i32 s14, s17, s17
	s_lshl_b32 s19, s16, 2
	s_lshl_b32 s29, s16, 3
	s_lshl_b32 s38, s16, 4
	s_lshl_b32 s54, s16, 5
	s_lshl_b64 s[72:73], s[68:69], 2
	s_lshl_b64 s[74:75], s[70:71], 2
	v_mul_u32_u24_e32 v5, 0x108, v59
	v_and_b32_e32 v6, 0x1f8, v6
	s_add_u32 s76, s22, s66
	v_mov_b32_e32 v17, 0
	v_add3_u32 v62, v4, v5, v6
	s_addc_u32 s77, s23, s67
	v_lshl_add_u64 v[2:3], s[20:21], 0, v[2:3]
	v_lshlrev_b32_e32 v6, 8, v56
	v_mov_b32_e32 v7, v17
	v_lshl_add_u64 v[2:3], v[2:3], 0, s[12:13]
	v_lshl_add_u64 v[8:9], s[8:9], 0, v[6:7]
	s_add_u32 s8, s76, s74
	v_add_u32_e32 v61, v4, v16
	v_lshl_add_u64 v[4:5], v[2:3], 0, s[72:73]
	s_addc_u32 s9, s77, s75
	v_lshl_add_u64 v[0:1], v[0:1], 0, v[6:7]
	s_mul_i32 s17, s16, 3
	s_mul_i32 s26, s16, 5
	;; [unrolled: 1-line block ×49, first 2 shown]
	v_lshl_add_u64 v[20:21], s[8:9], 0, v[8:9]
	s_mul_i32 s74, s16, 56
	s_mul_i32 s75, s16, 57
	v_lshl_add_u64 v[22:23], s[76:77], 0, v[8:9]
	s_mul_i32 s76, s16, 58
	s_mul_i32 s77, s16, 59
	v_lshl_add_u64 v[24:25], v[4:5], 0, v[0:1]
	v_lshl_add_u64 v[26:27], v[2:3], 0, v[0:1]
	v_mov_b32_e32 v0, v17
	v_mov_b32_e32 v1, v17
	;; [unrolled: 1-line block ×15, first 2 shown]
	s_mul_i32 s78, s16, 60
	s_mul_i32 s79, s16, 61
	;; [unrolled: 1-line block ×4, first 2 shown]
	s_mov_b64 s[8:9], 0
	s_mov_b64 s[12:13], 0x700
.LBB95_4:                               ; =>This Inner Loop Header: Depth=1
	v_add_u32_e32 v42, s10, v60
	v_add_u32_e32 v38, s19, v60
	v_add_u32_e32 v34, s27, v60
	v_add_u32_e32 v32, s29, v60
	v_add_u32_e32 v30, s31, v60
	v_add_u32_e32 v40, s33, v60
	v_add_u32_e32 v28, s34, v60
	v_add_u32_e32 v36, s35, v60
	v_add_u32_e32 v50, s17, v60
	v_add_u32_e32 v48, s26, v60
	v_add_u32_e32 v46, s28, v60
	v_add_u32_e32 v44, s30, v60
	v_add_u32_e32 v68, s36, v60
	v_add_u32_e32 v70, s37, v60
	v_ashrrev_i32_e32 v43, 31, v42
	v_ashrrev_i32_e32 v39, 31, v38
	;; [unrolled: 1-line block ×8, first 2 shown]
	v_lshl_add_u64 v[52:53], v[26:27], 0, v[16:17]
	v_lshl_add_u64 v[54:55], v[24:25], 0, v[16:17]
	;; [unrolled: 1-line block ×3, first 2 shown]
	v_add_u32_e32 v72, s38, v60
	v_add_u32_e32 v74, s39, v60
	v_ashrrev_i32_e32 v51, 31, v50
	v_lshl_add_u64 v[42:43], v[42:43], 2, v[18:19]
	v_ashrrev_i32_e32 v49, 31, v48
	v_lshl_add_u64 v[38:39], v[38:39], 2, v[18:19]
	;; [unrolled: 2-line block ×4, first 2 shown]
	v_lshl_add_u64 v[30:31], v[30:31], 2, v[18:19]
	v_lshl_add_u64 v[40:41], v[40:41], 2, v[18:19]
	;; [unrolled: 1-line block ×4, first 2 shown]
	v_ashrrev_i32_e32 v69, 31, v68
	v_ashrrev_i32_e32 v71, 31, v70
	v_lshl_add_u64 v[66:67], v[20:21], 0, v[16:17]
	v_add_u32_e32 v76, s40, v60
	v_add_u32_e32 v78, s41, v60
	global_load_dword v63, v[52:53], off
	s_nop 0
	global_load_dword v54, v[54:55], off
	s_nop 0
	global_load_dword v52, v[64:65], off
	global_load_dword v53, v[66:67], off
	v_lshl_add_u64 v[50:51], v[50:51], 2, v[18:19]
	global_load_dword v42, v[42:43], off
	s_nop 0
	global_load_dword v43, v[50:51], off
	v_lshl_add_u64 v[48:49], v[48:49], 2, v[18:19]
	global_load_dword v38, v[38:39], off
	s_nop 0
	;; [unrolled: 4-line block ×4, first 2 shown]
	global_load_dword v33, v[44:45], off
	s_nop 0
	global_load_dword v30, v[30:31], off
	s_nop 0
	;; [unrolled: 2-line block ×4, first 2 shown]
	global_load_dword v29, v[36:37], off
	v_lshl_add_u64 v[36:37], v[68:69], 2, v[18:19]
	v_lshl_add_u64 v[40:41], v[70:71], 2, v[18:19]
	v_ashrrev_i32_e32 v73, 31, v72
	v_ashrrev_i32_e32 v75, 31, v74
	v_add_u32_e32 v80, s42, v60
	v_add_u32_e32 v82, s43, v60
	global_load_dword v36, v[36:37], off
	s_nop 0
	global_load_dword v37, v[40:41], off
	v_lshl_add_u64 v[40:41], v[72:73], 2, v[18:19]
	v_lshl_add_u64 v[44:45], v[74:75], 2, v[18:19]
	v_ashrrev_i32_e32 v77, 31, v76
	v_ashrrev_i32_e32 v79, 31, v78
	v_add_u32_e32 v84, s44, v60
	v_add_u32_e32 v86, s45, v60
	global_load_dword v40, v[40:41], off
	s_nop 0
	global_load_dword v41, v[44:45], off
	v_lshl_add_u64 v[44:45], v[76:77], 2, v[18:19]
	v_lshl_add_u64 v[46:47], v[78:79], 2, v[18:19]
	v_ashrrev_i32_e32 v81, 31, v80
	v_ashrrev_i32_e32 v83, 31, v82
	v_add_u32_e32 v88, s46, v60
	v_add_u32_e32 v64, s48, v60
	;; [unrolled: 1-line block ×4, first 2 shown]
	global_load_dword v44, v[44:45], off
	s_nop 0
	global_load_dword v45, v[46:47], off
	v_lshl_add_u64 v[46:47], v[80:81], 2, v[18:19]
	v_lshl_add_u64 v[48:49], v[82:83], 2, v[18:19]
	v_ashrrev_i32_e32 v85, 31, v84
	v_ashrrev_i32_e32 v87, 31, v86
	v_add_u32_e32 v90, s47, v60
	v_add_u32_e32 v66, s49, v60
	;; [unrolled: 1-line block ×4, first 2 shown]
	global_load_dword v46, v[46:47], off
	s_nop 0
	global_load_dword v47, v[48:49], off
	v_lshl_add_u64 v[48:49], v[84:85], 2, v[18:19]
	v_lshl_add_u64 v[50:51], v[86:87], 2, v[18:19]
	v_ashrrev_i32_e32 v89, 31, v88
	v_ashrrev_i32_e32 v65, 31, v64
	;; [unrolled: 1-line block ×4, first 2 shown]
	v_add_u32_e32 v100, s54, v60
	v_add_u32_e32 v68, s55, v60
	;; [unrolled: 1-line block ×4, first 2 shown]
	global_load_dword v48, v[48:49], off
	s_nop 0
	global_load_dword v49, v[50:51], off
	v_ashrrev_i32_e32 v91, 31, v90
	v_lshl_add_u64 v[50:51], v[88:89], 2, v[18:19]
	v_ashrrev_i32_e32 v67, 31, v66
	v_lshl_add_u64 v[64:65], v[64:65], 2, v[18:19]
	v_lshl_add_u64 v[80:81], v[92:93], 2, v[18:19]
	;; [unrolled: 1-line block ×3, first 2 shown]
	v_ashrrev_i32_e32 v97, 31, v96
	v_ashrrev_i32_e32 v99, 31, v98
	v_add_u32_e32 v74, s58, v60
	v_add_u32_e32 v76, s59, v60
	v_lshl_add_u64 v[78:79], v[90:91], 2, v[18:19]
	global_load_dword v50, v[50:51], off
	s_nop 0
	global_load_dword v51, v[78:79], off
	v_lshl_add_u64 v[66:67], v[66:67], 2, v[18:19]
	global_load_dword v55, v[64:65], off
	s_nop 0
	global_load_dword v64, v[66:67], off
	global_load_dword v65, v[80:81], off
	;; [unrolled: 1-line block ×3, first 2 shown]
	v_lshl_add_u64 v[82:83], v[96:97], 2, v[18:19]
	v_lshl_add_u64 v[84:85], v[98:99], 2, v[18:19]
	v_ashrrev_i32_e32 v101, 31, v100
	v_ashrrev_i32_e32 v69, 31, v68
	;; [unrolled: 1-line block ×4, first 2 shown]
	v_add_u32_e32 v78, s60, v60
	v_add_u32_e32 v66, s61, v60
	global_load_dword v87, v[82:83], off
	global_load_dword v88, v[84:85], off
	v_lshl_add_u64 v[84:85], v[100:101], 2, v[18:19]
	v_lshl_add_u64 v[68:69], v[68:69], 2, v[18:19]
	;; [unrolled: 1-line block ×4, first 2 shown]
	v_ashrrev_i32_e32 v75, 31, v74
	v_ashrrev_i32_e32 v77, 31, v76
	v_add_u32_e32 v80, s62, v60
	v_add_u32_e32 v82, s63, v60
	global_load_dword v84, v[84:85], off
	s_nop 0
	global_load_dword v85, v[68:69], off
	v_add_u32_e32 v68, s64, v60
	global_load_dword v89, v[70:71], off
	global_load_dword v90, v[72:73], off
	v_lshl_add_u64 v[72:73], v[74:75], 2, v[18:19]
	v_lshl_add_u64 v[74:75], v[76:77], 2, v[18:19]
	v_ashrrev_i32_e32 v79, 31, v78
	v_ashrrev_i32_e32 v67, 31, v66
	v_add_u32_e32 v70, s65, v60
	global_load_dword v91, v[72:73], off
	global_load_dword v92, v[74:75], off
	v_lshl_add_u64 v[74:75], v[78:79], 2, v[18:19]
	v_lshl_add_u64 v[66:67], v[66:67], 2, v[18:19]
	v_ashrrev_i32_e32 v81, 31, v80
	v_ashrrev_i32_e32 v83, 31, v82
	;; [unrolled: 1-line block ×3, first 2 shown]
	v_add_u32_e32 v72, s22, v60
	global_load_dword v78, v[74:75], off
	global_load_dword v79, v[66:67], off
	v_add_u32_e32 v66, s23, v60
	v_lshl_add_u64 v[74:75], v[80:81], 2, v[18:19]
	v_lshl_add_u64 v[76:77], v[82:83], 2, v[18:19]
	v_ashrrev_i32_e32 v71, 31, v70
	v_lshl_add_u64 v[68:69], v[68:69], 2, v[18:19]
	global_load_dword v80, v[74:75], off
	s_nop 0
	global_load_dword v76, v[76:77], off
	v_add_u32_e32 v74, s20, v60
	v_lshl_add_u64 v[70:71], v[70:71], 2, v[18:19]
	global_load_dword v77, v[68:69], off
	global_load_dword v81, v[70:71], off
	v_add_u32_e32 v68, s21, v60
	v_ashrrev_i32_e32 v73, 31, v72
	v_ashrrev_i32_e32 v67, 31, v66
	v_lshl_add_u64 v[70:71], v[72:73], 2, v[18:19]
	v_lshl_add_u64 v[66:67], v[66:67], 2, v[18:19]
	v_ashrrev_i32_e32 v75, 31, v74
	v_ashrrev_i32_e32 v69, 31, v68
	global_load_dword v72, v[70:71], off
	global_load_dword v73, v[66:67], off
	v_add_u32_e32 v66, s66, v60
	v_lshl_add_u64 v[70:71], v[74:75], 2, v[18:19]
	v_lshl_add_u64 v[68:69], v[68:69], 2, v[18:19]
	global_load_dword v74, v[70:71], off
	global_load_dword v75, v[68:69], off
	v_add_u32_e32 v68, s67, v60
	v_ashrrev_i32_e32 v67, 31, v66
	v_ashrrev_i32_e32 v69, 31, v68
	v_lshl_add_u64 v[66:67], v[66:67], 2, v[18:19]
	v_lshl_add_u64 v[68:69], v[68:69], 2, v[18:19]
	global_load_dword v93, v[66:67], off
	global_load_dword v94, v[68:69], off
	v_add_u32_e32 v66, s68, v60
	v_ashrrev_i32_e32 v67, 31, v66
	v_lshl_add_u64 v[66:67], v[66:67], 2, v[18:19]
	global_load_dword v95, v[66:67], off
	v_add_u32_e32 v66, s69, v60
	v_ashrrev_i32_e32 v67, 31, v66
	v_lshl_add_u64 v[66:67], v[66:67], 2, v[18:19]
	;; [unrolled: 4-line block ×15, first 2 shown]
	global_load_dword v109, v[66:67], off
	s_waitcnt vmcnt(62)
	ds_write_b32 v61, v63
	ds_write_b32 v61, v54 offset:264
	ds_write_b32 v61, v42 offset:528
	s_waitcnt vmcnt(61)
	ds_write_b32 v61, v43 offset:792
	s_waitcnt vmcnt(60)
	ds_write_b32 v61, v38 offset:1056
	s_waitcnt vmcnt(59)
	ds_write_b32 v61, v39 offset:1320
	s_waitcnt vmcnt(58)
	ds_write_b32 v61, v34 offset:1584
	s_waitcnt vmcnt(57)
	ds_write_b32 v61, v35 offset:1848
	s_waitcnt vmcnt(56)
	ds_write_b32 v61, v32 offset:2112
	s_waitcnt vmcnt(55)
	ds_write_b32 v61, v33 offset:2376
	s_waitcnt vmcnt(54)
	ds_write_b32 v61, v30 offset:2640
	s_waitcnt vmcnt(53)
	ds_write_b32 v61, v31 offset:2904
	s_waitcnt vmcnt(52)
	ds_write_b32 v61, v28 offset:3168
	s_waitcnt vmcnt(51)
	ds_write_b32 v61, v29 offset:3432
	s_waitcnt vmcnt(50)
	ds_write_b32 v61, v36 offset:3696
	s_waitcnt vmcnt(49)
	ds_write_b32 v61, v37 offset:3960
	ds_read_b64 v[38:39], v62
	ds_read_b64 v[42:43], v62 offset:32
	ds_read_b64 v[66:67], v62 offset:64
	ds_read_b64 v[68:69], v62 offset:96
	ds_read_b64 v[70:71], v62 offset:128
	ds_read_b64 v[36:37], v62 offset:160
	ds_read_b64 v[32:33], v62 offset:192
	ds_read_b64 v[28:29], v62 offset:224
	s_waitcnt vmcnt(48)
	ds_write_b32 v61, v40
	s_waitcnt vmcnt(47)
	ds_write_b32 v61, v41 offset:264
	s_waitcnt vmcnt(46)
	ds_write_b32 v61, v44 offset:528
	s_waitcnt vmcnt(45)
	ds_write_b32 v61, v45 offset:792
	s_waitcnt vmcnt(44)
	ds_write_b32 v61, v46 offset:1056
	s_waitcnt vmcnt(43)
	ds_write_b32 v61, v47 offset:1320
	s_waitcnt vmcnt(42)
	ds_write_b32 v61, v48 offset:1584
	s_waitcnt vmcnt(41)
	ds_write_b32 v61, v49 offset:1848
	s_waitcnt vmcnt(40)
	ds_write_b32 v61, v50 offset:2112
	s_waitcnt vmcnt(39)
	ds_write_b32 v61, v51 offset:2376
	s_waitcnt vmcnt(38)
	ds_write_b32 v61, v55 offset:2640
	s_waitcnt vmcnt(37)
	ds_write_b32 v61, v64 offset:2904
	s_waitcnt vmcnt(36)
	ds_write_b32 v61, v65 offset:3168
	s_waitcnt vmcnt(35)
	ds_write_b32 v61, v86 offset:3432
	s_waitcnt vmcnt(34)
	ds_write_b32 v61, v87 offset:3696
	s_waitcnt vmcnt(33)
	ds_write_b32 v61, v88 offset:3960
	ds_read_b64 v[40:41], v62
	ds_read_b64 v[44:45], v62 offset:32
	ds_read_b64 v[46:47], v62 offset:64
	ds_read_b64 v[48:49], v62 offset:96
	ds_read_b64 v[50:51], v62 offset:128
	ds_read_b64 v[54:55], v62 offset:160
	ds_read_b64 v[64:65], v62 offset:192
	ds_read_b64 v[30:31], v62 offset:224
	s_waitcnt vmcnt(32)
	ds_write_b32 v61, v84
	s_waitcnt vmcnt(31)
	ds_write_b32 v61, v85 offset:264
	s_waitcnt vmcnt(30)
	;; [unrolled: 40-line block ×3, first 2 shown]
	ds_write_b32 v61, v95 offset:528
	s_waitcnt vmcnt(13)
	ds_write_b32 v61, v96 offset:792
	s_waitcnt vmcnt(12)
	;; [unrolled: 2-line block ×13, first 2 shown]
	ds_write_b32 v61, v108 offset:3960
	ds_read_b64 v[86:87], v62
	ds_read_b64 v[88:89], v62 offset:32
	ds_read_b64 v[90:91], v62 offset:64
	;; [unrolled: 1-line block ×7, first 2 shown]
	ds_write_b32 v61, v52
	ds_write_b32 v61, v53 offset:264
	s_waitcnt vmcnt(0)
	ds_write_b32 v61, v109 offset:528
	ds_write_b32 v61, v17 offset:792
	ds_write_b32 v61, v17 offset:1056
	ds_write_b32 v61, v17 offset:1320
	ds_write_b32 v61, v17 offset:1584
	ds_write_b32 v61, v17 offset:1848
	ds_write_b32 v61, v17 offset:2112
	ds_write_b32 v61, v17 offset:2376
	ds_write_b32 v61, v17 offset:2640
	ds_write_b32 v61, v17 offset:2904
	ds_write_b32 v61, v17 offset:3168
	ds_write_b32 v61, v17 offset:3432
	ds_write_b32 v61, v17 offset:3696
	ds_write_b32 v61, v17 offset:3960
	ds_read_b64 v[52:53], v62
	s_waitcnt lgkmcnt(0)
	v_mfma_f32_16x16x4_f32 v[12:15], v38, v52, v[12:15]
	v_add_u32_e32 v60, 0x1c0, v60
	v_cmp_le_i32_e32 vcc, s5, v60
	v_lshl_add_u64 v[24:25], v[24:25], 0, s[12:13]
	v_lshl_add_u64 v[26:27], v[26:27], 0, s[12:13]
	;; [unrolled: 1-line block ×3, first 2 shown]
	s_or_b64 s[8:9], vcc, s[8:9]
	v_lshl_add_u64 v[22:23], v[22:23], 0, s[12:13]
	v_mfma_f32_16x16x4_f32 v[8:11], v40, v52, v[8:11]
	v_mfma_f32_16x16x4_f32 v[4:7], v72, v52, v[4:7]
	;; [unrolled: 1-line block ×4, first 2 shown]
	ds_read_b64 v[38:39], v62 offset:32
	v_mfma_f32_16x16x4_f32 v[8:11], v41, v53, v[8:11]
	v_mfma_f32_16x16x4_f32 v[4:7], v73, v53, v[4:7]
	;; [unrolled: 1-line block ×3, first 2 shown]
	s_waitcnt lgkmcnt(0)
	v_mfma_f32_16x16x4_f32 v[12:15], v42, v38, v[12:15]
	v_mfma_f32_16x16x4_f32 v[8:11], v44, v38, v[8:11]
	v_mfma_f32_16x16x4_f32 v[4:7], v74, v38, v[4:7]
	v_mfma_f32_16x16x4_f32 v[0:3], v88, v38, v[0:3]
	v_mfma_f32_16x16x4_f32 v[12:15], v43, v39, v[12:15]
	v_mfma_f32_16x16x4_f32 v[8:11], v45, v39, v[8:11]
	v_mfma_f32_16x16x4_f32 v[4:7], v75, v39, v[4:7]
	v_mfma_f32_16x16x4_f32 v[0:3], v89, v39, v[0:3]
	ds_read_b64 v[38:39], v62 offset:64
	s_waitcnt lgkmcnt(0)
	v_mfma_f32_16x16x4_f32 v[12:15], v66, v38, v[12:15]
	v_mfma_f32_16x16x4_f32 v[8:11], v46, v38, v[8:11]
	v_mfma_f32_16x16x4_f32 v[4:7], v76, v38, v[4:7]
	v_mfma_f32_16x16x4_f32 v[0:3], v90, v38, v[0:3]
	v_mfma_f32_16x16x4_f32 v[12:15], v67, v39, v[12:15]
	v_mfma_f32_16x16x4_f32 v[8:11], v47, v39, v[8:11]
	v_mfma_f32_16x16x4_f32 v[4:7], v77, v39, v[4:7]
	v_mfma_f32_16x16x4_f32 v[0:3], v91, v39, v[0:3]
	ds_read_b64 v[38:39], v62 offset:96
	;; [unrolled: 10-line block ×4, first 2 shown]
	s_waitcnt lgkmcnt(0)
	v_mfma_f32_16x16x4_f32 v[12:15], v36, v38, v[12:15]
	v_mfma_f32_16x16x4_f32 v[8:11], v54, v38, v[8:11]
	;; [unrolled: 1-line block ×5, first 2 shown]
	ds_read_b64 v[36:37], v62 offset:192
	v_mfma_f32_16x16x4_f32 v[8:11], v55, v39, v[8:11]
	v_mfma_f32_16x16x4_f32 v[4:7], v83, v39, v[4:7]
	;; [unrolled: 1-line block ×3, first 2 shown]
	s_waitcnt lgkmcnt(0)
	v_mfma_f32_16x16x4_f32 v[12:15], v32, v36, v[12:15]
	v_mfma_f32_16x16x4_f32 v[8:11], v64, v36, v[8:11]
	;; [unrolled: 1-line block ×5, first 2 shown]
	ds_read_b64 v[32:33], v62 offset:224
	v_mfma_f32_16x16x4_f32 v[8:11], v65, v37, v[8:11]
	v_mfma_f32_16x16x4_f32 v[4:7], v85, v37, v[4:7]
	;; [unrolled: 1-line block ×3, first 2 shown]
	s_waitcnt lgkmcnt(0)
	v_mfma_f32_16x16x4_f32 v[12:15], v28, v32, v[12:15]
	v_mfma_f32_16x16x4_f32 v[8:11], v30, v32, v[8:11]
	v_mfma_f32_16x16x4_f32 v[4:7], v34, v32, v[4:7]
	v_mfma_f32_16x16x4_f32 v[0:3], v100, v32, v[0:3]
	v_mfma_f32_16x16x4_f32 v[12:15], v29, v33, v[12:15]
	v_mfma_f32_16x16x4_f32 v[8:11], v31, v33, v[8:11]
	v_mfma_f32_16x16x4_f32 v[4:7], v35, v33, v[4:7]
	v_mfma_f32_16x16x4_f32 v[0:3], v101, v33, v[0:3]
	s_andn2_b64 exec, exec, s[8:9]
	s_cbranch_execnz .LBB95_4
; %bb.5:
	s_or_b64 exec, exec, s[8:9]
.LBB95_6:
	s_or_b64 exec, exec, s[24:25]
	v_lshl_add_u32 v17, v58, 2, 0
	v_mul_u32_u24_e32 v18, 0x708, v59
	v_and_b32_e32 v19, 0x3f0, v57
	v_add3_u32 v17, v17, v18, v19
	v_cmp_gt_u32_e32 vcc, 3, v56
	s_waitcnt lgkmcnt(0)
	s_barrier
	ds_write2_b32 v17, v12, v13 offset1:1
	ds_write2_b32 v17, v14, v15 offset0:2 offset1:3
	ds_write2_b32 v17, v8, v9 offset0:16 offset1:17
	;; [unrolled: 1-line block ×7, first 2 shown]
	s_waitcnt lgkmcnt(0)
	s_barrier
	s_and_saveexec_b64 s[0:1], vcc
	s_cbranch_execz .LBB95_8
; %bb.7:
	v_mul_u32_u24_e32 v0, 0x708, v56
	v_add3_u32 v6, 0, v16, v0
	ds_read2st64_b32 v[0:1], v6 offset1:1
	ds_read2st64_b32 v[2:3], v6 offset0:2 offset1:3
	ds_read2st64_b32 v[4:5], v6 offset0:4 offset1:5
	ds_read_b32 v6, v6 offset:1536
	s_mul_hi_i32 s1, s15, s4
	s_mul_i32 s0, s15, s4
	s_lshl_b64 s[0:1], s[0:1], 2
	s_waitcnt lgkmcnt(3)
	v_add_f32_e32 v0, 0, v0
	v_add_f32_e32 v0, v0, v1
	s_waitcnt lgkmcnt(2)
	v_add_f32_e32 v0, v0, v2
	s_mul_i32 s4, s11, s3
	s_add_u32 s3, s6, s0
	v_add_f32_e32 v0, v0, v3
	s_addc_u32 s6, s7, s1
	s_ashr_i32 s5, s4, 31
	s_waitcnt lgkmcnt(1)
	v_add_f32_e32 v0, v0, v4
	s_lshl_b64 s[0:1], s[4:5], 2
	v_add_f32_e32 v0, v0, v5
	s_add_u32 s0, s3, s0
	s_waitcnt lgkmcnt(0)
	v_add_f32_e32 v2, v0, v6
	v_mul_lo_u32 v0, v56, s18
	s_addc_u32 s1, s6, s1
	v_add3_u32 v0, s2, v57, v0
	v_mov_b32_e32 v1, 0
	v_lshl_add_u64 v[0:1], v[0:1], 2, s[0:1]
	global_store_dword v[0:1], v2, off
.LBB95_8:
	s_endpgm
	.section	.rodata,"a",@progbits
	.p2align	6, 0x0
	.amdhsa_kernel _ZL9mul_mat_fIfLi64ELi3ELi7ELb0EEvPKT_PKfPKiPfiiiiiiiiiiiiiiii
		.amdhsa_group_segment_fixed_size 0
		.amdhsa_private_segment_fixed_size 0
		.amdhsa_kernarg_size 96
		.amdhsa_user_sgpr_count 2
		.amdhsa_user_sgpr_dispatch_ptr 0
		.amdhsa_user_sgpr_queue_ptr 0
		.amdhsa_user_sgpr_kernarg_segment_ptr 1
		.amdhsa_user_sgpr_dispatch_id 0
		.amdhsa_user_sgpr_kernarg_preload_length 0
		.amdhsa_user_sgpr_kernarg_preload_offset 0
		.amdhsa_user_sgpr_private_segment_size 0
		.amdhsa_uses_dynamic_stack 0
		.amdhsa_enable_private_segment 0
		.amdhsa_system_sgpr_workgroup_id_x 1
		.amdhsa_system_sgpr_workgroup_id_y 1
		.amdhsa_system_sgpr_workgroup_id_z 1
		.amdhsa_system_sgpr_workgroup_info 0
		.amdhsa_system_vgpr_workitem_id 1
		.amdhsa_next_free_vgpr 110
		.amdhsa_next_free_sgpr 81
		.amdhsa_accum_offset 112
		.amdhsa_reserve_vcc 1
		.amdhsa_float_round_mode_32 0
		.amdhsa_float_round_mode_16_64 0
		.amdhsa_float_denorm_mode_32 3
		.amdhsa_float_denorm_mode_16_64 3
		.amdhsa_dx10_clamp 1
		.amdhsa_ieee_mode 1
		.amdhsa_fp16_overflow 0
		.amdhsa_tg_split 0
		.amdhsa_exception_fp_ieee_invalid_op 0
		.amdhsa_exception_fp_denorm_src 0
		.amdhsa_exception_fp_ieee_div_zero 0
		.amdhsa_exception_fp_ieee_overflow 0
		.amdhsa_exception_fp_ieee_underflow 0
		.amdhsa_exception_fp_ieee_inexact 0
		.amdhsa_exception_int_div_zero 0
	.end_amdhsa_kernel
	.section	.text._ZL9mul_mat_fIfLi64ELi3ELi7ELb0EEvPKT_PKfPKiPfiiiiiiiiiiiiiiii,"axG",@progbits,_ZL9mul_mat_fIfLi64ELi3ELi7ELb0EEvPKT_PKfPKiPfiiiiiiiiiiiiiiii,comdat
.Lfunc_end95:
	.size	_ZL9mul_mat_fIfLi64ELi3ELi7ELb0EEvPKT_PKfPKiPfiiiiiiiiiiiiiiii, .Lfunc_end95-_ZL9mul_mat_fIfLi64ELi3ELi7ELb0EEvPKT_PKfPKiPfiiiiiiiiiiiiiiii
                                        ; -- End function
	.set _ZL9mul_mat_fIfLi64ELi3ELi7ELb0EEvPKT_PKfPKiPfiiiiiiiiiiiiiiii.num_vgpr, 110
	.set _ZL9mul_mat_fIfLi64ELi3ELi7ELb0EEvPKT_PKfPKiPfiiiiiiiiiiiiiiii.num_agpr, 0
	.set _ZL9mul_mat_fIfLi64ELi3ELi7ELb0EEvPKT_PKfPKiPfiiiiiiiiiiiiiiii.numbered_sgpr, 81
	.set _ZL9mul_mat_fIfLi64ELi3ELi7ELb0EEvPKT_PKfPKiPfiiiiiiiiiiiiiiii.num_named_barrier, 0
	.set _ZL9mul_mat_fIfLi64ELi3ELi7ELb0EEvPKT_PKfPKiPfiiiiiiiiiiiiiiii.private_seg_size, 0
	.set _ZL9mul_mat_fIfLi64ELi3ELi7ELb0EEvPKT_PKfPKiPfiiiiiiiiiiiiiiii.uses_vcc, 1
	.set _ZL9mul_mat_fIfLi64ELi3ELi7ELb0EEvPKT_PKfPKiPfiiiiiiiiiiiiiiii.uses_flat_scratch, 0
	.set _ZL9mul_mat_fIfLi64ELi3ELi7ELb0EEvPKT_PKfPKiPfiiiiiiiiiiiiiiii.has_dyn_sized_stack, 0
	.set _ZL9mul_mat_fIfLi64ELi3ELi7ELb0EEvPKT_PKfPKiPfiiiiiiiiiiiiiiii.has_recursion, 0
	.set _ZL9mul_mat_fIfLi64ELi3ELi7ELb0EEvPKT_PKfPKiPfiiiiiiiiiiiiiiii.has_indirect_call, 0
	.section	.AMDGPU.csdata,"",@progbits
; Kernel info:
; codeLenInByte = 4808
; TotalNumSgprs: 87
; NumVgprs: 110
; NumAgprs: 0
; TotalNumVgprs: 110
; ScratchSize: 0
; MemoryBound: 0
; FloatMode: 240
; IeeeMode: 1
; LDSByteSize: 0 bytes/workgroup (compile time only)
; SGPRBlocks: 10
; VGPRBlocks: 13
; NumSGPRsForWavesPerEU: 87
; NumVGPRsForWavesPerEU: 110
; AccumOffset: 112
; Occupancy: 4
; WaveLimiterHint : 0
; COMPUTE_PGM_RSRC2:SCRATCH_EN: 0
; COMPUTE_PGM_RSRC2:USER_SGPR: 2
; COMPUTE_PGM_RSRC2:TRAP_HANDLER: 0
; COMPUTE_PGM_RSRC2:TGID_X_EN: 1
; COMPUTE_PGM_RSRC2:TGID_Y_EN: 1
; COMPUTE_PGM_RSRC2:TGID_Z_EN: 1
; COMPUTE_PGM_RSRC2:TIDIG_COMP_CNT: 1
; COMPUTE_PGM_RSRC3_GFX90A:ACCUM_OFFSET: 27
; COMPUTE_PGM_RSRC3_GFX90A:TG_SPLIT: 0
	.section	.text._ZL13mul_mat_f_idsIfLi64ELi3ELi8EEvPKT_PKfPKiS6_S6_Pfiiiiiiiiiiiiii15HIP_vector_typeIjLj3EES9_,"axG",@progbits,_ZL13mul_mat_f_idsIfLi64ELi3ELi8EEvPKT_PKfPKiS6_S6_Pfiiiiiiiiiiiiii15HIP_vector_typeIjLj3EES9_,comdat
	.globl	_ZL13mul_mat_f_idsIfLi64ELi3ELi8EEvPKT_PKfPKiS6_S6_Pfiiiiiiiiiiiiii15HIP_vector_typeIjLj3EES9_ ; -- Begin function _ZL13mul_mat_f_idsIfLi64ELi3ELi8EEvPKT_PKfPKiS6_S6_Pfiiiiiiiiiiiiii15HIP_vector_typeIjLj3EES9_
	.p2align	8
	.type	_ZL13mul_mat_f_idsIfLi64ELi3ELi8EEvPKT_PKfPKiS6_S6_Pfiiiiiiiiiiiiii15HIP_vector_typeIjLj3EES9_,@function
_ZL13mul_mat_f_idsIfLi64ELi3ELi8EEvPKT_PKfPKiS6_S6_Pfiiiiiiiiiiiiii15HIP_vector_typeIjLj3EES9_: ; @_ZL13mul_mat_f_idsIfLi64ELi3ELi8EEvPKT_PKfPKiS6_S6_Pfiiiiiiiiiiiiii15HIP_vector_typeIjLj3EES9_
; %bb.0:
	s_load_dwordx2 s[6:7], s[0:1], 0x20
	s_mov_b32 s34, s3
	s_ashr_i32 s35, s3, 31
	s_lshl_b64 s[8:9], s[34:35], 2
	s_waitcnt lgkmcnt(0)
	s_add_u32 s6, s6, s8
	s_addc_u32 s7, s7, s9
	s_load_dwordx2 s[26:27], s[6:7], 0x0
	s_waitcnt lgkmcnt(0)
	s_sub_i32 s33, s27, s26
	s_add_i32 s3, s33, 2
	s_mul_hi_i32 s3, s3, 0x55555556
	s_lshr_b32 s5, s3, 31
	s_add_i32 s3, s3, s5
	s_cmp_ge_i32 s4, s3
	s_cbranch_scc1 .LBB96_20
; %bb.1:
	v_bfe_u32 v85, v0, 10, 10
	v_lshlrev_b32_e32 v86, 6, v85
	v_and_b32_e32 v84, 0x3ff, v0
	s_load_dwordx4 s[12:15], s[0:1], 0x30
	s_load_dwordx2 s[20:21], s[0:1], 0x40
	s_load_dwordx4 s[8:11], s[0:1], 0x4c
	s_load_dwordx4 s[16:19], s[0:1], 0x68
	s_load_dwordx2 s[24:25], s[0:1], 0x78
	v_add_u32_e32 v88, v86, v84
	s_ashr_i32 s27, s26, 31
	s_waitcnt lgkmcnt(0)
	v_cmp_le_i32_e32 vcc, s12, v88
	v_and_b32_e32 v87, 15, v84
	s_and_saveexec_b64 s[6:7], vcc
	s_xor_b64 s[6:7], exec, s[6:7]
; %bb.2:
	v_and_b32_e32 v87, 15, v84
                                        ; implicit-def: $vgpr88
; %bb.3:
	s_or_saveexec_b64 s[30:31], s[6:7]
	s_load_dwordx2 s[28:29], s[0:1], 0x18
	s_load_dwordx2 s[6:7], s[0:1], 0x28
                                        ; implicit-def: $vgpr104 : SGPR spill to VGPR lane
	v_mov_b32_e32 v11, 0
	s_lshl_b32 s11, s2, 6
	s_mul_i32 s2, s4, 3
	v_mov_b32_e32 v10, v11
	s_waitcnt lgkmcnt(0)
	v_writelane_b32 v104, s6, 0
	v_mov_b32_e32 v9, v11
	v_mov_b32_e32 v8, v11
	;; [unrolled: 1-line block ×14, first 2 shown]
	v_writelane_b32 v104, s7, 1
	s_xor_b64 exec, exec, s[30:31]
	s_cbranch_execz .LBB96_16
; %bb.4:
	s_load_dwordx4 s[4:7], s[0:1], 0x0
	s_load_dwordx2 s[22:23], s[0:1], 0x10
	s_mul_i32 s0, s8, s34
	s_ashr_i32 s1, s0, 31
	v_writelane_b32 v104, s24, 2
	s_lshl_b64 s[44:45], s[0:1], 2
	s_waitcnt lgkmcnt(0)
	s_add_u32 s0, s4, s44
	v_writelane_b32 v104, s25, 3
	s_mul_i32 s24, s15, s11
	s_addc_u32 s1, s5, s45
	s_ashr_i32 s25, s24, 31
	s_lshl_b64 s[46:47], s[24:25], 2
	s_add_u32 s0, s0, s46
	s_addc_u32 s1, s1, s47
	s_lshl_b64 s[24:25], s[26:27], 2
	s_add_u32 s8, s22, s24
	s_addc_u32 s24, s23, s25
	s_movk_i32 s3, 0x1080
	s_cmp_lt_i32 s2, s33
	v_mad_u32_u24 v1, v85, s3, 0
	s_cselect_b64 s[34:35], -1, 0
	s_ashr_i32 s3, s2, 31
	s_lshl_b64 s[22:23], s[2:3], 2
	s_add_u32 s36, s8, s22
	s_addc_u32 s37, s24, s23
	s_add_i32 s3, s2, 1
	s_cmp_lt_i32 s3, s33
	s_cselect_b64 s[38:39], -1, 0
	s_add_i32 s3, s2, 2
	s_cmp_lt_i32 s3, s33
	s_cselect_b64 s[40:41], -1, 0
	s_ashr_i32 s23, s15, 31
	s_mov_b32 s22, s15
	s_add_i32 s3, s15, s15
	s_lshl_b32 s48, s15, 2
	s_lshl_b32 s52, s15, 3
	;; [unrolled: 1-line block ×4, first 2 shown]
	s_lshl_b64 s[42:43], s[22:23], 2
	v_lshrrev_b32_e32 v3, 1, v84
	s_add_u32 s22, s44, s46
	v_lshlrev_b32_e32 v0, 2, v84
	v_mul_u32_u24_e32 v2, 0x108, v87
	v_and_b32_e32 v3, 0x1f8, v3
	s_addc_u32 s23, s45, s47
	v_lshlrev_b32_e32 v16, 8, v85
	v_mov_b32_e32 v17, 0
	v_add_u32_e32 v89, v1, v0
	v_add3_u32 v90, v1, v2, v3
	v_lshl_add_u64 v[2:3], s[22:23], 0, v[16:17]
	v_mov_b32_e32 v1, v17
	v_lshl_add_u64 v[0:1], v[2:3], 0, v[0:1]
	s_mul_i32 s8, s15, 3
	s_mul_i32 s49, s15, 5
	;; [unrolled: 1-line block ×43, first 2 shown]
	v_lshl_add_u64 v[18:19], s[4:5], 0, v[0:1]
	v_mov_b32_e32 v12, 0
	v_mov_b32_e32 v13, v17
	;; [unrolled: 1-line block ×16, first 2 shown]
	s_mul_i32 s90, s15, 50
	s_mul_i32 s91, s15, 51
	;; [unrolled: 1-line block ×14, first 2 shown]
	s_mov_b64 s[4:5], 0
	s_branch .LBB96_6
.LBB96_5:                               ;   in Loop: Header=BB96_6 Depth=1
	s_waitcnt vmcnt(0)
	ds_write2_b32 v89, v16, v92 offset1:66
	ds_write2_b32 v89, v91, v17 offset0:132 offset1:198
	v_add_u32_e32 v16, 0x400, v89
	ds_write2_b32 v16, v17, v17 offset0:8 offset1:74
	ds_write2_b32 v16, v17, v17 offset0:140 offset1:206
	v_add_u32_e32 v16, 0x800, v89
	ds_write2_b32 v16, v17, v17 offset0:16 offset1:82
	;; [unrolled: 3-line block ×3, first 2 shown]
	ds_write2_b32 v16, v17, v17 offset0:156 offset1:222
	ds_read2_b64 v[92:95], v90 offset1:4
	v_add_u32_e32 v88, 0x200, v88
	s_waitcnt lgkmcnt(0)
	v_mfma_f32_16x16x4_f32 v[8:11], v50, v92, v[8:11]
	s_mov_b64 vcc, 0x800
	v_lshl_add_u64 v[18:19], v[18:19], 0, vcc
	v_cmp_le_i32_e32 vcc, s12, v88
	s_or_b64 s[4:5], vcc, s[4:5]
	v_mfma_f32_16x16x4_f32 v[4:7], v62, v92, v[4:7]
	v_mfma_f32_16x16x4_f32 v[0:3], v76, v92, v[0:3]
	;; [unrolled: 1-line block ×15, first 2 shown]
	ds_read2_b64 v[80:83], v90 offset0:8 offset1:12
	s_waitcnt lgkmcnt(0)
	v_mfma_f32_16x16x4_f32 v[8:11], v36, v80, v[8:11]
	v_mfma_f32_16x16x4_f32 v[4:7], v54, v80, v[4:7]
	;; [unrolled: 1-line block ×14, first 2 shown]
	ds_read2_b64 v[48:51], v90 offset0:16 offset1:20
	v_mfma_f32_16x16x4_f32 v[0:3], v61, v83, v[0:3]
	v_mfma_f32_16x16x4_f32 v[12:15], v75, v83, v[12:15]
	s_waitcnt lgkmcnt(0)
	v_mfma_f32_16x16x4_f32 v[8:11], v28, v48, v[8:11]
	v_mfma_f32_16x16x4_f32 v[4:7], v40, v48, v[4:7]
	;; [unrolled: 1-line block ×14, first 2 shown]
	ds_read2_b64 v[32:35], v90 offset0:24 offset1:28
	v_mfma_f32_16x16x4_f32 v[0:3], v53, v51, v[0:3]
	v_mfma_f32_16x16x4_f32 v[12:15], v69, v51, v[12:15]
	s_waitcnt lgkmcnt(0)
	v_mfma_f32_16x16x4_f32 v[8:11], v22, v32, v[8:11]
	v_mfma_f32_16x16x4_f32 v[4:7], v30, v32, v[4:7]
	;; [unrolled: 1-line block ×16, first 2 shown]
	s_andn2_b64 exec, exec, s[4:5]
	s_cbranch_execz .LBB96_15
.LBB96_6:                               ; =>This Inner Loop Header: Depth=1
	v_lshl_add_u64 v[20:21], v[18:19], 0, s[42:43]
	global_load_dword v16, v[18:19], off
	global_load_dword v46, v[20:21], off
	v_add_u32_e32 v20, s3, v88
	v_ashrrev_i32_e32 v21, 31, v20
	v_add_u32_e32 v22, s8, v88
	v_add_u32_e32 v24, s48, v88
	;; [unrolled: 1-line block ×5, first 2 shown]
	v_lshl_add_u64 v[20:21], v[20:21], 2, s[0:1]
	v_ashrrev_i32_e32 v23, 31, v22
	v_ashrrev_i32_e32 v25, 31, v24
	;; [unrolled: 1-line block ×5, first 2 shown]
	v_lshl_add_u64 v[22:23], v[22:23], 2, s[0:1]
	v_lshl_add_u64 v[24:25], v[24:25], 2, s[0:1]
	v_lshl_add_u64 v[26:27], v[26:27], 2, s[0:1]
	v_lshl_add_u64 v[28:29], v[28:29], 2, s[0:1]
	v_lshl_add_u64 v[30:31], v[30:31], 2, s[0:1]
	global_load_dword v47, v[20:21], off
	global_load_dword v48, v[22:23], off
	;; [unrolled: 1-line block ×6, first 2 shown]
	v_add_u32_e32 v20, s52, v88
	v_add_u32_e32 v38, s61, v88
	;; [unrolled: 1-line block ×10, first 2 shown]
	v_ashrrev_i32_e32 v21, 31, v20
	v_ashrrev_i32_e32 v39, 31, v38
	;; [unrolled: 1-line block ×10, first 2 shown]
	v_lshl_add_u64 v[20:21], v[20:21], 2, s[0:1]
	v_lshl_add_u64 v[38:39], v[38:39], 2, s[0:1]
	v_add_u32_e32 v40, s62, v88
	v_add_u32_e32 v44, s64, v88
	v_lshl_add_u64 v[22:23], v[22:23], 2, s[0:1]
	v_lshl_add_u64 v[24:25], v[24:25], 2, s[0:1]
	v_lshl_add_u64 v[26:27], v[26:27], 2, s[0:1]
	v_lshl_add_u64 v[28:29], v[28:29], 2, s[0:1]
	v_lshl_add_u64 v[30:31], v[30:31], 2, s[0:1]
	v_lshl_add_u64 v[32:33], v[32:33], 2, s[0:1]
	v_lshl_add_u64 v[34:35], v[34:35], 2, s[0:1]
	v_lshl_add_u64 v[36:37], v[36:37], 2, s[0:1]
	global_load_dword v53, v[20:21], off
	global_load_dword v54, v[22:23], off
	;; [unrolled: 1-line block ×9, first 2 shown]
	s_nop 0
	global_load_dword v38, v[38:39], off
	v_add_u32_e32 v20, s65, v88
	v_add_u32_e32 v42, s63, v88
	v_ashrrev_i32_e32 v41, 31, v40
	v_ashrrev_i32_e32 v45, 31, v44
	;; [unrolled: 1-line block ×3, first 2 shown]
	v_add_u32_e32 v22, s66, v88
	v_add_u32_e32 v24, s67, v88
	;; [unrolled: 1-line block ×4, first 2 shown]
	v_ashrrev_i32_e32 v43, 31, v42
	v_lshl_add_u64 v[40:41], v[40:41], 2, s[0:1]
	v_lshl_add_u64 v[44:45], v[44:45], 2, s[0:1]
	;; [unrolled: 1-line block ×3, first 2 shown]
	v_ashrrev_i32_e32 v23, 31, v22
	v_ashrrev_i32_e32 v25, 31, v24
	;; [unrolled: 1-line block ×4, first 2 shown]
	v_lshl_add_u64 v[42:43], v[42:43], 2, s[0:1]
	v_lshl_add_u64 v[22:23], v[22:23], 2, s[0:1]
	;; [unrolled: 1-line block ×5, first 2 shown]
	v_add_u32_e32 v30, s75, v88
	v_add_u32_e32 v32, s76, v88
	v_add_u32_e32 v34, s77, v88
	v_ashrrev_i32_e32 v31, 31, v30
	v_ashrrev_i32_e32 v33, 31, v32
	;; [unrolled: 1-line block ×3, first 2 shown]
	v_lshl_add_u64 v[30:31], v[30:31], 2, s[0:1]
	s_waitcnt vmcnt(17)
	ds_write_b32 v89, v16
	s_waitcnt vmcnt(16)
	ds_write_b32 v89, v46 offset:264
	s_waitcnt vmcnt(15)
	ds_write_b32 v89, v47 offset:528
	;; [unrolled: 2-line block ×7, first 2 shown]
	global_load_dword v16, v[40:41], off
	global_load_dword v39, v[42:43], off
	s_nop 0
	global_load_dword v40, v[44:45], off
	global_load_dword v41, v[20:21], off
	s_nop 0
	global_load_dword v44, v[22:23], off
	global_load_dword v45, v[24:25], off
	;; [unrolled: 1-line block ×4, first 2 shown]
	v_add_u32_e32 v20, s70, v88
	v_ashrrev_i32_e32 v21, 31, v20
	v_add_u32_e32 v22, s71, v88
	v_add_u32_e32 v24, s72, v88
	;; [unrolled: 1-line block ×4, first 2 shown]
	v_lshl_add_u64 v[20:21], v[20:21], 2, s[0:1]
	v_ashrrev_i32_e32 v23, 31, v22
	v_ashrrev_i32_e32 v25, 31, v24
	v_ashrrev_i32_e32 v27, 31, v26
	v_ashrrev_i32_e32 v29, 31, v28
	v_lshl_add_u64 v[22:23], v[22:23], 2, s[0:1]
	v_lshl_add_u64 v[24:25], v[24:25], 2, s[0:1]
	v_lshl_add_u64 v[26:27], v[26:27], 2, s[0:1]
	v_lshl_add_u64 v[28:29], v[28:29], 2, s[0:1]
	v_lshl_add_u64 v[32:33], v[32:33], 2, s[0:1]
	v_lshl_add_u64 v[34:35], v[34:35], 2, s[0:1]
	global_load_dword v48, v[20:21], off
	global_load_dword v49, v[22:23], off
	global_load_dword v52, v[24:25], off
	global_load_dword v62, v[26:27], off
	global_load_dword v63, v[28:29], off
	global_load_dword v64, v[30:31], off
	global_load_dword v65, v[32:33], off
	global_load_dword v66, v[34:35], off
	v_add_u32_e32 v20, s78, v88
	v_ashrrev_i32_e32 v21, 31, v20
	v_add_u32_e32 v22, s79, v88
	v_add_u32_e32 v24, s80, v88
	v_add_u32_e32 v26, s81, v88
	v_add_u32_e32 v28, s82, v88
	v_add_u32_e32 v30, s83, v88
	v_add_u32_e32 v32, s84, v88
	v_add_u32_e32 v34, s85, v88
	v_lshl_add_u64 v[20:21], v[20:21], 2, s[0:1]
	v_ashrrev_i32_e32 v23, 31, v22
	v_ashrrev_i32_e32 v25, 31, v24
	v_ashrrev_i32_e32 v27, 31, v26
	v_ashrrev_i32_e32 v29, 31, v28
	v_ashrrev_i32_e32 v31, 31, v30
	v_ashrrev_i32_e32 v33, 31, v32
	v_ashrrev_i32_e32 v35, 31, v34
	v_lshl_add_u64 v[22:23], v[22:23], 2, s[0:1]
	v_lshl_add_u64 v[24:25], v[24:25], 2, s[0:1]
	v_lshl_add_u64 v[26:27], v[26:27], 2, s[0:1]
	v_lshl_add_u64 v[28:29], v[28:29], 2, s[0:1]
	v_lshl_add_u64 v[30:31], v[30:31], 2, s[0:1]
	v_lshl_add_u64 v[32:33], v[32:33], 2, s[0:1]
	v_lshl_add_u64 v[34:35], v[34:35], 2, s[0:1]
	global_load_dword v67, v[20:21], off
	global_load_dword v68, v[22:23], off
	global_load_dword v69, v[24:25], off
	global_load_dword v70, v[26:27], off
	global_load_dword v71, v[28:29], off
	global_load_dword v72, v[30:31], off
	global_load_dword v73, v[32:33], off
	global_load_dword v74, v[34:35], off
	v_add_u32_e32 v20, s44, v88
	v_ashrrev_i32_e32 v21, 31, v20
	v_add_u32_e32 v22, s45, v88
	v_add_u32_e32 v24, s46, v88
	v_add_u32_e32 v26, s47, v88
	v_add_u32_e32 v28, s86, v88
	v_add_u32_e32 v30, s87, v88
	v_add_u32_e32 v32, s88, v88
	v_add_u32_e32 v34, s89, v88
	v_lshl_add_u64 v[20:21], v[20:21], 2, s[0:1]
	v_ashrrev_i32_e32 v23, 31, v22
	v_ashrrev_i32_e32 v25, 31, v24
	v_ashrrev_i32_e32 v27, 31, v26
	v_ashrrev_i32_e32 v29, 31, v28
	v_ashrrev_i32_e32 v31, 31, v30
	v_ashrrev_i32_e32 v33, 31, v32
	v_ashrrev_i32_e32 v35, 31, v34
	v_lshl_add_u64 v[22:23], v[22:23], 2, s[0:1]
	;; [unrolled: 32-line block ×3, first 2 shown]
	v_lshl_add_u64 v[24:25], v[24:25], 2, s[0:1]
	v_lshl_add_u64 v[26:27], v[26:27], 2, s[0:1]
	;; [unrolled: 1-line block ×6, first 2 shown]
	global_load_dword v83, v[20:21], off
	global_load_dword v91, v[22:23], off
	;; [unrolled: 1-line block ×8, first 2 shown]
	v_add_u32_e32 v20, s98, v88
	v_ashrrev_i32_e32 v21, 31, v20
	v_add_u32_e32 v22, s99, v88
	v_add_u32_e32 v24, s24, v88
	;; [unrolled: 1-line block ×5, first 2 shown]
	v_lshl_add_u64 v[20:21], v[20:21], 2, s[0:1]
	v_ashrrev_i32_e32 v23, 31, v22
	v_ashrrev_i32_e32 v25, 31, v24
	;; [unrolled: 1-line block ×5, first 2 shown]
	v_lshl_add_u64 v[22:23], v[22:23], 2, s[0:1]
	v_lshl_add_u64 v[24:25], v[24:25], 2, s[0:1]
	;; [unrolled: 1-line block ×5, first 2 shown]
	global_load_dword v98, v[20:21], off
	global_load_dword v99, v[22:23], off
	;; [unrolled: 1-line block ×6, first 2 shown]
	s_waitcnt vmcnt(55)
	ds_write_b32 v89, v53 offset:2112
	s_waitcnt vmcnt(54)
	ds_write_b32 v89, v54 offset:2376
	s_waitcnt vmcnt(53)
	ds_write_b32 v89, v55 offset:2640
	s_waitcnt vmcnt(52)
	ds_write_b32 v89, v56 offset:2904
	s_waitcnt vmcnt(51)
	ds_write_b32 v89, v57 offset:3168
	s_waitcnt vmcnt(50)
	ds_write_b32 v89, v58 offset:3432
	s_waitcnt vmcnt(49)
	ds_write_b32 v89, v59 offset:3696
	s_waitcnt vmcnt(48)
	ds_write_b32 v89, v60 offset:3960
	ds_read_b64 v[50:51], v90
	ds_read_b64 v[42:43], v90 offset:32
	ds_read_b64 v[36:37], v90 offset:64
	ds_read_b64 v[32:33], v90 offset:96
	ds_read_b64 v[28:29], v90 offset:128
	ds_read_b64 v[24:25], v90 offset:160
	ds_read_b64 v[22:23], v90 offset:192
	ds_read_b64 v[20:21], v90 offset:224
	s_waitcnt vmcnt(47)
	ds_write_b32 v89, v61
	s_waitcnt vmcnt(46)
	ds_write_b32 v89, v38 offset:264
	s_waitcnt vmcnt(45)
	ds_write_b32 v89, v16 offset:528
	s_waitcnt vmcnt(44)
	ds_write_b32 v89, v39 offset:792
	s_waitcnt vmcnt(43)
	ds_write_b32 v89, v40 offset:1056
	s_waitcnt vmcnt(42)
	ds_write_b32 v89, v41 offset:1320
	s_waitcnt vmcnt(41)
	ds_write_b32 v89, v44 offset:1584
	s_waitcnt vmcnt(40)
	ds_write_b32 v89, v45 offset:1848
	s_waitcnt vmcnt(39)
	ds_write_b32 v89, v46 offset:2112
	s_waitcnt vmcnt(38)
	ds_write_b32 v89, v47 offset:2376
	s_waitcnt vmcnt(37)
	ds_write_b32 v89, v48 offset:2640
	s_waitcnt vmcnt(36)
	ds_write_b32 v89, v49 offset:2904
	s_waitcnt vmcnt(35)
	ds_write_b32 v89, v52 offset:3168
	s_waitcnt vmcnt(34)
	ds_write_b32 v89, v62 offset:3432
	s_waitcnt vmcnt(33)
	ds_write_b32 v89, v63 offset:3696
	s_waitcnt vmcnt(32)
	ds_write_b32 v89, v64 offset:3960
	ds_read_b64 v[62:63], v90
	ds_read_b64 v[58:59], v90 offset:32
	ds_read_b64 v[54:55], v90 offset:64
	ds_read_b64 v[48:49], v90 offset:96
	ds_read_b64 v[40:41], v90 offset:128
	ds_read_b64 v[34:35], v90 offset:160
	ds_read_b64 v[30:31], v90 offset:192
	ds_read_b64 v[26:27], v90 offset:224
	s_waitcnt vmcnt(31)
	ds_write_b32 v89, v65
	s_waitcnt vmcnt(30)
	ds_write_b32 v89, v66 offset:264
	s_waitcnt vmcnt(29)
	ds_write_b32 v89, v67 offset:528
	s_waitcnt vmcnt(28)
	ds_write_b32 v89, v68 offset:792
	s_waitcnt vmcnt(27)
	ds_write_b32 v89, v69 offset:1056
	s_waitcnt vmcnt(26)
	ds_write_b32 v89, v70 offset:1320
	s_waitcnt vmcnt(25)
	ds_write_b32 v89, v71 offset:1584
	s_waitcnt vmcnt(24)
	ds_write_b32 v89, v72 offset:1848
	;; [unrolled: 40-line block ×3, first 2 shown]
	s_waitcnt vmcnt(7)
	ds_write_b32 v89, v96 offset:2112
	s_waitcnt vmcnt(6)
	ds_write_b32 v89, v97 offset:2376
	;; [unrolled: 2-line block ×8, first 2 shown]
	ds_read_b64 v[82:83], v90
	ds_read_b64 v[80:81], v90 offset:32
	ds_read_b64 v[78:79], v90 offset:64
	;; [unrolled: 1-line block ×7, first 2 shown]
	s_andn2_b64 vcc, exec, s[34:35]
	v_mov_b32_e32 v16, 0
	s_cbranch_vccnz .LBB96_9
; %bb.7:                                ;   in Loop: Header=BB96_6 Depth=1
	s_load_dword s23, s[36:37], 0x0
	v_mov_b32_e32 v16, 0
	s_waitcnt lgkmcnt(0)
	s_mul_hi_u32 vcc_lo, s23, s16
	s_add_i32 vcc_lo, s23, vcc_lo
	s_lshr_b32 vcc_lo, vcc_lo, s17
	s_cmp_ge_i32 vcc_lo, s13
	s_cbranch_scc1 .LBB96_9
; %bb.8:                                ;   in Loop: Header=BB96_6 Depth=1
	s_mul_i32 vcc_hi, vcc_lo, s18
	s_sub_i32 s23, s23, vcc_hi
	s_mul_i32 s23, s23, s9
	s_mul_i32 vcc_lo, vcc_lo, s20
	s_add_i32 vcc_lo, vcc_lo, s23
	v_add_u32_e32 v92, vcc_lo, v88
	v_ashrrev_i32_e32 v93, 31, v92
	v_lshl_add_u64 v[92:93], v[92:93], 2, s[6:7]
	global_load_dword v16, v[92:93], off
.LBB96_9:                               ;   in Loop: Header=BB96_6 Depth=1
	v_mov_b32_e32 v91, 0
	s_andn2_b64 vcc, exec, s[38:39]
	v_mov_b32_e32 v92, 0
	s_cbranch_vccnz .LBB96_12
; %bb.10:                               ;   in Loop: Header=BB96_6 Depth=1
	s_load_dword s23, s[36:37], 0x4
	v_mov_b32_e32 v92, 0
	s_waitcnt lgkmcnt(0)
	s_mul_hi_u32 vcc_lo, s23, s16
	s_add_i32 vcc_lo, s23, vcc_lo
	s_lshr_b32 vcc_lo, vcc_lo, s17
	s_cmp_ge_i32 vcc_lo, s13
	s_cbranch_scc1 .LBB96_12
; %bb.11:                               ;   in Loop: Header=BB96_6 Depth=1
	s_mul_i32 vcc_hi, vcc_lo, s18
	s_sub_i32 s23, s23, vcc_hi
	s_mul_i32 s23, s23, s9
	s_mul_i32 vcc_lo, vcc_lo, s20
	s_add_i32 vcc_lo, vcc_lo, s23
	v_add_u32_e32 v92, vcc_lo, v88
	v_ashrrev_i32_e32 v93, 31, v92
	v_lshl_add_u64 v[92:93], v[92:93], 2, s[6:7]
	global_load_dword v92, v[92:93], off
.LBB96_12:                              ;   in Loop: Header=BB96_6 Depth=1
	s_andn2_b64 vcc, exec, s[40:41]
	s_cbranch_vccnz .LBB96_5
; %bb.13:                               ;   in Loop: Header=BB96_6 Depth=1
	s_load_dword s23, s[36:37], 0x8
	v_mov_b32_e32 v91, 0
	s_waitcnt lgkmcnt(0)
	s_mul_hi_u32 vcc_lo, s23, s16
	s_add_i32 vcc_lo, s23, vcc_lo
	s_lshr_b32 vcc_lo, vcc_lo, s17
	s_cmp_ge_i32 vcc_lo, s13
	s_cbranch_scc1 .LBB96_5
; %bb.14:                               ;   in Loop: Header=BB96_6 Depth=1
	s_mul_i32 vcc_hi, vcc_lo, s18
	s_sub_i32 s23, s23, vcc_hi
	s_mul_i32 s23, s23, s9
	s_mul_i32 vcc_lo, vcc_lo, s20
	s_add_i32 vcc_lo, vcc_lo, s23
	v_add_u32_e32 v94, vcc_lo, v88
	v_ashrrev_i32_e32 v95, 31, v94
	v_lshl_add_u64 v[94:95], v[94:95], 2, s[6:7]
	global_load_dword v91, v[94:95], off
	s_branch .LBB96_5
.LBB96_15:
	s_or_b64 exec, exec, s[4:5]
	v_readlane_b32 s24, v104, 2
	v_readlane_b32 s25, v104, 3
.LBB96_16:
	s_or_b64 exec, exec, s[30:31]
	v_lshl_add_u32 v16, v86, 2, 0
	v_mul_u32_u24_e32 v17, 0x808, v87
	v_and_b32_e32 v18, 0x3f0, v84
	v_add3_u32 v16, v16, v17, v18
	v_cmp_gt_u32_e32 vcc, 3, v85
	s_barrier
	ds_write2_b32 v16, v8, v9 offset1:1
	ds_write2_b32 v16, v10, v11 offset0:2 offset1:3
	ds_write2_b32 v16, v4, v5 offset0:16 offset1:17
	;; [unrolled: 1-line block ×7, first 2 shown]
	s_waitcnt lgkmcnt(0)
	s_barrier
	s_and_saveexec_b64 s[0:1], vcc
	s_cbranch_execz .LBB96_20
; %bb.17:
	v_add_u32_e32 v0, s2, v85
	s_cmp_gt_i32 s14, 0
	v_cmp_gt_i32_e32 vcc, s33, v0
	s_cselect_b64 s[0:1], -1, 0
	s_and_b64 s[0:1], s[0:1], vcc
	s_and_b64 exec, exec, s[0:1]
	s_cbranch_execz .LBB96_20
; %bb.18:
	s_lshl_b64 s[0:1], s[26:27], 2
	s_add_u32 s0, s28, s0
	s_addc_u32 s1, s29, s1
	v_ashrrev_i32_e32 v1, 31, v0
	v_lshl_add_u64 v[0:1], v[0:1], 2, s[0:1]
	global_load_dword v0, v[0:1], off
	s_waitcnt vmcnt(0)
	v_mul_hi_u32 v1, v0, s19
	v_add_u32_e32 v1, v0, v1
	v_lshrrev_b32_e32 v1, s24, v1
	v_cmp_gt_i32_e32 vcc, s13, v1
	s_and_b64 exec, exec, vcc
	s_cbranch_execz .LBB96_20
; %bb.19:
	v_lshlrev_b32_e32 v2, 2, v84
	v_mul_u32_u24_e32 v3, 0x808, v85
	v_add3_u32 v8, 0, v2, v3
	ds_read2st64_b32 v[2:3], v8 offset1:1
	ds_read2st64_b32 v[4:5], v8 offset0:2 offset1:3
	ds_read2st64_b32 v[6:7], v8 offset0:4 offset1:5
	;; [unrolled: 1-line block ×3, first 2 shown]
	v_add_u32_e32 v10, s11, v84
	s_waitcnt lgkmcnt(3)
	v_add_f32_e32 v2, 0, v2
	v_add_f32_e32 v2, v2, v3
	s_waitcnt lgkmcnt(2)
	v_add_f32_e32 v2, v2, v4
	v_add_f32_e32 v2, v2, v5
	v_mul_lo_u32 v3, v1, s25
	s_waitcnt lgkmcnt(1)
	v_add_f32_e32 v2, v2, v6
	v_sub_u32_e32 v0, v0, v3
	v_add_f32_e32 v2, v2, v7
	v_mul_lo_u32 v0, v0, s10
	v_mul_lo_u32 v1, v1, s21
	v_readlane_b32 s0, v104, 0
	s_waitcnt lgkmcnt(0)
	v_add_f32_e32 v2, v2, v8
	v_add3_u32 v0, v10, v1, v0
	v_mov_b32_e32 v1, 0
	v_readlane_b32 s1, v104, 1
	v_add_f32_e32 v2, v2, v9
	s_nop 0
	v_lshl_add_u64 v[0:1], v[0:1], 2, s[0:1]
	global_store_dword v[0:1], v2, off
.LBB96_20:
	s_endpgm
	.section	.rodata,"a",@progbits
	.p2align	6, 0x0
	.amdhsa_kernel _ZL13mul_mat_f_idsIfLi64ELi3ELi8EEvPKT_PKfPKiS6_S6_Pfiiiiiiiiiiiiii15HIP_vector_typeIjLj3EES9_
		.amdhsa_group_segment_fixed_size 0
		.amdhsa_private_segment_fixed_size 0
		.amdhsa_kernarg_size 128
		.amdhsa_user_sgpr_count 2
		.amdhsa_user_sgpr_dispatch_ptr 0
		.amdhsa_user_sgpr_queue_ptr 0
		.amdhsa_user_sgpr_kernarg_segment_ptr 1
		.amdhsa_user_sgpr_dispatch_id 0
		.amdhsa_user_sgpr_kernarg_preload_length 0
		.amdhsa_user_sgpr_kernarg_preload_offset 0
		.amdhsa_user_sgpr_private_segment_size 0
		.amdhsa_uses_dynamic_stack 0
		.amdhsa_enable_private_segment 0
		.amdhsa_system_sgpr_workgroup_id_x 1
		.amdhsa_system_sgpr_workgroup_id_y 1
		.amdhsa_system_sgpr_workgroup_id_z 1
		.amdhsa_system_sgpr_workgroup_info 0
		.amdhsa_system_vgpr_workitem_id 1
		.amdhsa_next_free_vgpr 105
		.amdhsa_next_free_sgpr 100
		.amdhsa_accum_offset 108
		.amdhsa_reserve_vcc 1
		.amdhsa_float_round_mode_32 0
		.amdhsa_float_round_mode_16_64 0
		.amdhsa_float_denorm_mode_32 3
		.amdhsa_float_denorm_mode_16_64 3
		.amdhsa_dx10_clamp 1
		.amdhsa_ieee_mode 1
		.amdhsa_fp16_overflow 0
		.amdhsa_tg_split 0
		.amdhsa_exception_fp_ieee_invalid_op 0
		.amdhsa_exception_fp_denorm_src 0
		.amdhsa_exception_fp_ieee_div_zero 0
		.amdhsa_exception_fp_ieee_overflow 0
		.amdhsa_exception_fp_ieee_underflow 0
		.amdhsa_exception_fp_ieee_inexact 0
		.amdhsa_exception_int_div_zero 0
	.end_amdhsa_kernel
	.section	.text._ZL13mul_mat_f_idsIfLi64ELi3ELi8EEvPKT_PKfPKiS6_S6_Pfiiiiiiiiiiiiii15HIP_vector_typeIjLj3EES9_,"axG",@progbits,_ZL13mul_mat_f_idsIfLi64ELi3ELi8EEvPKT_PKfPKiS6_S6_Pfiiiiiiiiiiiiii15HIP_vector_typeIjLj3EES9_,comdat
.Lfunc_end96:
	.size	_ZL13mul_mat_f_idsIfLi64ELi3ELi8EEvPKT_PKfPKiS6_S6_Pfiiiiiiiiiiiiii15HIP_vector_typeIjLj3EES9_, .Lfunc_end96-_ZL13mul_mat_f_idsIfLi64ELi3ELi8EEvPKT_PKfPKiS6_S6_Pfiiiiiiiiiiiiii15HIP_vector_typeIjLj3EES9_
                                        ; -- End function
	.set _ZL13mul_mat_f_idsIfLi64ELi3ELi8EEvPKT_PKfPKiS6_S6_Pfiiiiiiiiiiiiii15HIP_vector_typeIjLj3EES9_.num_vgpr, 105
	.set _ZL13mul_mat_f_idsIfLi64ELi3ELi8EEvPKT_PKfPKiS6_S6_Pfiiiiiiiiiiiiii15HIP_vector_typeIjLj3EES9_.num_agpr, 0
	.set _ZL13mul_mat_f_idsIfLi64ELi3ELi8EEvPKT_PKfPKiS6_S6_Pfiiiiiiiiiiiiii15HIP_vector_typeIjLj3EES9_.numbered_sgpr, 100
	.set _ZL13mul_mat_f_idsIfLi64ELi3ELi8EEvPKT_PKfPKiS6_S6_Pfiiiiiiiiiiiiii15HIP_vector_typeIjLj3EES9_.num_named_barrier, 0
	.set _ZL13mul_mat_f_idsIfLi64ELi3ELi8EEvPKT_PKfPKiS6_S6_Pfiiiiiiiiiiiiii15HIP_vector_typeIjLj3EES9_.private_seg_size, 0
	.set _ZL13mul_mat_f_idsIfLi64ELi3ELi8EEvPKT_PKfPKiS6_S6_Pfiiiiiiiiiiiiii15HIP_vector_typeIjLj3EES9_.uses_vcc, 1
	.set _ZL13mul_mat_f_idsIfLi64ELi3ELi8EEvPKT_PKfPKiS6_S6_Pfiiiiiiiiiiiiii15HIP_vector_typeIjLj3EES9_.uses_flat_scratch, 0
	.set _ZL13mul_mat_f_idsIfLi64ELi3ELi8EEvPKT_PKfPKiS6_S6_Pfiiiiiiiiiiiiii15HIP_vector_typeIjLj3EES9_.has_dyn_sized_stack, 0
	.set _ZL13mul_mat_f_idsIfLi64ELi3ELi8EEvPKT_PKfPKiS6_S6_Pfiiiiiiiiiiiiii15HIP_vector_typeIjLj3EES9_.has_recursion, 0
	.set _ZL13mul_mat_f_idsIfLi64ELi3ELi8EEvPKT_PKfPKiS6_S6_Pfiiiiiiiiiiiiii15HIP_vector_typeIjLj3EES9_.has_indirect_call, 0
	.section	.AMDGPU.csdata,"",@progbits
; Kernel info:
; codeLenInByte = 4788
; TotalNumSgprs: 106
; NumVgprs: 105
; NumAgprs: 0
; TotalNumVgprs: 105
; ScratchSize: 0
; MemoryBound: 0
; FloatMode: 240
; IeeeMode: 1
; LDSByteSize: 0 bytes/workgroup (compile time only)
; SGPRBlocks: 13
; VGPRBlocks: 13
; NumSGPRsForWavesPerEU: 106
; NumVGPRsForWavesPerEU: 105
; AccumOffset: 108
; Occupancy: 4
; WaveLimiterHint : 1
; COMPUTE_PGM_RSRC2:SCRATCH_EN: 0
; COMPUTE_PGM_RSRC2:USER_SGPR: 2
; COMPUTE_PGM_RSRC2:TRAP_HANDLER: 0
; COMPUTE_PGM_RSRC2:TGID_X_EN: 1
; COMPUTE_PGM_RSRC2:TGID_Y_EN: 1
; COMPUTE_PGM_RSRC2:TGID_Z_EN: 1
; COMPUTE_PGM_RSRC2:TIDIG_COMP_CNT: 1
; COMPUTE_PGM_RSRC3_GFX90A:ACCUM_OFFSET: 26
; COMPUTE_PGM_RSRC3_GFX90A:TG_SPLIT: 0
	.section	.text._ZL9mul_mat_fIfLi64ELi3ELi8ELb1EEvPKT_PKfPKiPfiiiiiiiiiiiiiiii,"axG",@progbits,_ZL9mul_mat_fIfLi64ELi3ELi8ELb1EEvPKT_PKfPKiPfiiiiiiiiiiiiiiii,comdat
	.globl	_ZL9mul_mat_fIfLi64ELi3ELi8ELb1EEvPKT_PKfPKiPfiiiiiiiiiiiiiiii ; -- Begin function _ZL9mul_mat_fIfLi64ELi3ELi8ELb1EEvPKT_PKfPKiPfiiiiiiiiiiiiiiii
	.p2align	8
	.type	_ZL9mul_mat_fIfLi64ELi3ELi8ELb1EEvPKT_PKfPKiPfiiiiiiiiiiiiiiii,@function
_ZL9mul_mat_fIfLi64ELi3ELi8ELb1EEvPKT_PKfPKiPfiiiiiiiiiiiiiiii: ; @_ZL9mul_mat_fIfLi64ELi3ELi8ELb1EEvPKT_PKfPKiPfiiiiiiiiiiiiiiii
; %bb.0:
	s_load_dwordx8 s[8:15], s[0:1], 0x20
	v_bfe_u32 v17, v0, 10, 10
	v_and_b32_e32 v16, 0x3ff, v0
	v_mul_i32_i24_e32 v91, 0xffffef84, v17
	s_waitcnt lgkmcnt(0)
	s_add_i32 s5, s9, 2
	s_mul_hi_i32 s5, s5, 0x55555556
	s_lshr_b32 s6, s5, 31
	s_add_i32 s5, s5, s6
	v_cvt_f32_u32_e32 v1, s5
	s_load_dwordx8 s[16:23], s[0:1], 0x44
	s_load_dword s6, s[0:1], 0x64
	s_add_u32 s28, s0, 0x60
	s_addc_u32 s29, s1, 0
	v_rcp_iflag_f32_e32 v1, v1
	s_sub_i32 s7, 0, s5
	s_waitcnt lgkmcnt(0)
	s_abs_i32 s23, s19
	s_abs_i32 s33, s4
	v_mul_f32_e32 v1, 0x4f7ffffe, v1
	v_cvt_u32_f32_e32 v1, v1
	v_mul_lo_u32 v2, s7, v1
	v_mul_hi_u32 v2, v1, v2
	v_add_u32_e32 v1, v1, v2
	v_mul_hi_u32 v1, s6, v1
	v_mul_lo_u32 v2, v1, s5
	v_sub_u32_e32 v2, s6, v2
	v_add_u32_e32 v3, 1, v1
	v_subrev_u32_e32 v4, s5, v2
	v_cmp_le_u32_e32 vcc, s5, v2
	s_nop 1
	v_cndmask_b32_e32 v1, v1, v3, vcc
	v_cndmask_b32_e32 v2, v2, v4, vcc
	v_add_u32_e32 v3, 1, v1
	v_cmp_le_u32_e32 vcc, s5, v2
	s_sub_i32 s5, 0, s23
	s_nop 0
	v_cndmask_b32_e32 v1, v1, v3, vcc
	v_cvt_f32_u32_e32 v2, v1
	v_cvt_f32_u32_e32 v3, s23
	v_sub_u32_e32 v4, 0, v1
	v_cmp_eq_u32_e32 vcc, 0, v16
	v_rcp_iflag_f32_e32 v2, v2
	v_rcp_iflag_f32_e32 v3, v3
	v_mul_f32_e32 v2, 0x4f7ffffe, v2
	v_cvt_u32_f32_e32 v2, v2
	v_mul_f32_e32 v3, 0x4f7ffffe, v3
	v_cvt_u32_f32_e32 v3, v3
	v_mul_lo_u32 v4, v4, v2
	v_mul_hi_u32 v4, v2, v4
	v_add_u32_e32 v2, v2, v4
	v_mul_lo_u32 v4, s5, v3
	v_mul_hi_u32 v4, v3, v4
	v_add_u32_e32 v3, v3, v4
	s_movk_i32 s5, 0x1080
	v_mov_b32_e32 v4, 0x100
	v_mul_hi_u32 v2, s3, v2
	v_mad_u32_u24 v90, v17, s5, v4
	s_and_saveexec_b64 s[6:7], vcc
; %bb.1:
	v_add_u32_e32 v4, v90, v91
	v_mov_b32_e32 v5, -1
	ds_write_b32 v4, v5
; %bb.2:
	s_or_b64 exec, exec, s[6:7]
	v_mul_hi_u32 v18, s33, v3
	v_mul_lo_u32 v3, v2, v1
	v_sub_u32_e32 v3, s3, v3
	v_add_u32_e32 v4, 1, v2
	v_sub_u32_e32 v5, v3, v1
	v_cmp_ge_u32_e32 vcc, v3, v1
	s_load_dwordx2 s[26:27], s[0:1], 0x8
	s_load_dwordx2 s[24:25], s[0:1], 0x18
	v_cndmask_b32_e32 v2, v2, v4, vcc
	v_cndmask_b32_e32 v3, v3, v5, vcc
	v_add_u32_e32 v4, 1, v2
	v_cmp_ge_u32_e32 vcc, v3, v1
	v_cmp_gt_i32_e64 s[6:7], s10, v16
	s_nop 0
	v_cndmask_b32_e32 v2, v2, v4, vcc
	v_mul_lo_u32 v92, v2, 3
	v_add_u32_e32 v93, v92, v17
	v_mul_lo_u32 v1, v2, v1
	v_cmp_gt_i32_e32 vcc, s9, v93
	v_sub_u32_e32 v19, s3, v1
	s_and_b64 s[6:7], vcc, s[6:7]
	v_mov_b32_e32 v1, 0
	s_and_saveexec_b64 s[30:31], s[6:7]
	s_cbranch_execz .LBB97_8
; %bb.3:
	s_load_dwordx2 s[6:7], s[0:1], 0x10
	v_mul_hi_i32 v3, v92, s15
	v_mul_lo_u32 v2, v92, s15
	v_mul_lo_u32 v4, s15, v17
	v_lshlrev_b64 v[2:3], 2, v[2:3]
	s_waitcnt lgkmcnt(0)
	v_lshl_add_u64 v[2:3], s[6:7], 0, v[2:3]
	v_ashrrev_i32_e32 v5, 31, v4
	v_lshl_add_u64 v[2:3], v[4:5], 2, v[2:3]
	v_mul_lo_u32 v4, v16, s14
	s_lshl_b32 s3, s14, 6
	v_mov_b32_e32 v1, 0
	s_mov_b64 s[14:15], 0
	v_add_u32_e32 v6, v90, v91
	v_mov_b32_e32 v7, v16
	s_branch .LBB97_5
.LBB97_4:                               ;   in Loop: Header=BB97_5 Depth=1
	s_or_b64 exec, exec, s[34:35]
	v_add_u32_e32 v7, 64, v7
	v_cmp_le_i32_e64 s[6:7], s10, v7
	s_xor_b64 s[34:35], vcc, -1
	s_or_b64 s[6:7], s[34:35], s[6:7]
	s_and_b64 s[6:7], exec, s[6:7]
	s_or_b64 s[14:15], s[6:7], s[14:15]
	v_add_u32_e32 v4, s3, v4
	s_andn2_b64 exec, exec, s[14:15]
	s_cbranch_execz .LBB97_7
.LBB97_5:                               ; =>This Inner Loop Header: Depth=1
	v_ashrrev_i32_e32 v5, 31, v4
	v_lshl_add_u64 v[8:9], v[4:5], 2, v[2:3]
	global_load_dword v5, v[8:9], off
	s_waitcnt vmcnt(0)
	v_cmp_ne_u32_e32 vcc, v5, v19
	v_cmp_eq_u32_e64 s[6:7], v5, v19
	s_and_saveexec_b64 s[34:35], s[6:7]
	s_cbranch_execz .LBB97_4
; %bb.6:                                ;   in Loop: Header=BB97_5 Depth=1
	v_mov_b32_e32 v1, 1
	ds_write_b32 v6, v7
	s_branch .LBB97_4
.LBB97_7:
	s_or_b64 exec, exec, s[14:15]
.LBB97_8:
	s_or_b64 exec, exec, s[30:31]
	s_load_dwordx2 s[6:7], s[0:1], 0x0
	v_or_b32_dpp v1, v1, v1 row_shl:1 row_mask:0xf bank_mask:0xf bound_ctrl:1
	s_load_dwordx2 s[0:1], s[28:29], 0xc
	s_ashr_i32 s3, s4, 31
	v_or_b32_dpp v1, v1, v1 row_shl:2 row_mask:0xf bank_mask:0xf bound_ctrl:1
	s_ashr_i32 s10, s19, 31
	s_waitcnt lgkmcnt(0)
	s_and_b32 s5, s1, 0xffff
	s_lshr_b32 s1, s0, 16
	s_and_b32 s0, s0, 0xffff
	s_mul_i32 s14, s1, s0
	v_or_b32_dpp v1, v1, v1 row_shl:4 row_mask:0xf bank_mask:0xf bound_ctrl:1
	s_bfe_i32 s14, s14, 0x180000
	s_mul_i32 s5, s14, s5
	v_or_b32_dpp v1, v1, v1 row_shl:8 row_mask:0xf bank_mask:0xf bound_ctrl:1
	s_add_i32 s14, s5, 63
	s_bitcmp1_b32 exec_hi, 0
	v_mov_b32_dpp v2, v1 wave_shl:1 row_mask:0xf bank_mask:0xf bound_ctrl:1
	s_nop 1
	v_or_b32_dpp v1, v2, v1 row_mirror row_mask:0xf bank_mask:0xf bound_ctrl:1
	s_nop 0
	v_readlane_b32 s5, v1, 32
	s_cselect_b32 s5, s5, 0
	v_readlane_b32 s15, v1, 0
	s_or_b32 s5, s5, s15
	s_andn2_b32 s14, s14, 63
	s_cmp_lg_u32 s14, 64
	v_mov_b32_e32 v1, s5
	s_cbranch_scc0 .LBB97_15
; %bb.9:
	v_bfe_u32 v0, v0, 20, 10
	v_mbcnt_lo_u32_b32 v1, -1, 0
	v_mad_u32_u24 v0, v0, s1, v17
	v_mbcnt_hi_u32_b32 v2, -1, v1
	v_mad_u64_u32 v[0:1], s[0:1], v0, s0, v[16:17]
	v_lshrrev_b32_e32 v1, 6, v0
	v_or_b32_e32 v1, v2, v1
	v_cmp_eq_u32_e32 vcc, 0, v1
	s_and_saveexec_b64 s[0:1], vcc
; %bb.10:
	v_mov_b32_e32 v1, 0
	v_mov_b32_e32 v3, s5
	ds_write_b32 v1, v3
; %bb.11:
	s_or_b64 exec, exec, s[0:1]
	v_cmp_eq_u32_e32 vcc, 0, v2
	v_cmp_lt_u32_e64 s[0:1], 63, v0
	s_and_b64 s[14:15], s[0:1], vcc
	s_waitcnt lgkmcnt(0)
	s_barrier
	s_and_saveexec_b64 s[0:1], s[14:15]
	s_cbranch_execz .LBB97_14
; %bb.12:
	v_mbcnt_lo_u32_b32 v0, exec_lo, 0
	v_mbcnt_hi_u32_b32 v0, exec_hi, v0
	v_cmp_eq_u32_e32 vcc, 0, v0
	s_and_b64 exec, exec, vcc
; %bb.13:
	v_mov_b32_e32 v0, 0
	v_mov_b32_e32 v1, s5
	ds_or_b32 v0, v1
.LBB97_14:
	s_or_b64 exec, exec, s[0:1]
	v_mov_b32_e32 v0, 0
	s_waitcnt lgkmcnt(0)
	s_barrier
	ds_read_b32 v1, v0
	s_waitcnt lgkmcnt(0)
	s_barrier
.LBB97_15:
	v_cmp_ne_u32_e32 vcc, 0, v1
	s_cbranch_vccz .LBB97_37
; %bb.16:
	v_lshlrev_b32_e32 v94, 6, v17
	v_add_u32_e32 v96, v94, v16
	v_cmp_le_i32_e32 vcc, s8, v96
	v_and_b32_e32 v95, 15, v16
	s_and_saveexec_b64 s[0:1], vcc
	s_xor_b64 s[0:1], exec, s[0:1]
; %bb.17:
	v_and_b32_e32 v95, 15, v16
                                        ; implicit-def: $vgpr96
                                        ; implicit-def: $vgpr18
                                        ; implicit-def: $vgpr19
; %bb.18:
	s_or_saveexec_b64 s[14:15], s[0:1]
	v_mov_b32_e32 v11, 0
	s_lshl_b32 s5, s2, 6
	v_mov_b32_e32 v10, v11
	v_mov_b32_e32 v9, v11
	;; [unrolled: 1-line block ×15, first 2 shown]
	s_xor_b64 exec, exec, s[14:15]
	s_cbranch_execz .LBB97_34
; %bb.19:
	v_mul_lo_u32 v0, v18, s23
	v_sub_u32_e32 v0, s33, v0
	v_add_u32_e32 v1, 1, v18
	v_subrev_u32_e32 v2, s23, v0
	v_cmp_le_u32_e32 vcc, s23, v0
	s_xor_b32 s0, s3, s10
	s_mul_hi_i32 s3, s21, s4
	v_cndmask_b32_e32 v1, v18, v1, vcc
	v_cndmask_b32_e32 v0, v0, v2, vcc
	v_add_u32_e32 v2, 1, v1
	v_cmp_le_u32_e32 vcc, s23, v0
	s_mul_i32 s2, s21, s4
	s_lshl_b64 s[2:3], s[2:3], 2
	v_cndmask_b32_e32 v0, v1, v2, vcc
	v_xor_b32_e32 v0, s0, v0
	v_subrev_u32_e32 v0, s0, v0
	v_mul_hi_i32 v1, v0, s20
	v_mul_lo_u32 v0, v0, s20
	v_mul_lo_u32 v2, v19, s16
	s_mul_i32 s0, s11, s5
	v_ashrrev_i32_e32 v3, 31, v2
	v_lshlrev_b64 v[0:1], 2, v[0:1]
	s_ashr_i32 s1, s0, 31
	v_lshl_add_u64 v[4:5], s[6:7], 0, v[0:1]
	v_lshlrev_b64 v[2:3], 2, v[2:3]
	s_lshl_b64 s[0:1], s[0:1], 2
	v_lshl_add_u64 v[4:5], v[4:5], 0, v[2:3]
	v_mul_hi_i32 v7, v92, s12
	v_mul_lo_u32 v6, v92, s12
	s_add_u32 s2, s26, s2
	v_lshl_add_u64 v[18:19], v[4:5], 0, s[0:1]
	s_addc_u32 s3, s27, s3
	v_lshlrev_b64 v[4:5], 2, v[6:7]
	v_lshl_add_u64 v[0:1], v[0:1], 0, s[0:1]
	v_lshl_add_u64 v[20:21], s[2:3], 0, v[4:5]
	v_lshrrev_b32_e32 v5, 1, v16
	v_lshl_add_u64 v[0:1], v[0:1], 0, v[2:3]
	v_mul_u32_u24_e32 v4, 0x108, v95
	v_and_b32_e32 v5, 0x1f8, v5
	v_add_u32_e32 v26, 1, v92
	v_add_u32_e32 v27, 2, v92
	s_ashr_i32 s3, s11, 31
	s_mov_b32 s2, s11
	v_lshl_add_u64 v[0:1], s[6:7], 0, v[0:1]
	v_lshlrev_b32_e32 v22, 2, v96
	v_mov_b32_e32 v23, 0
	v_lshl_add_u32 v97, v16, 2, v90
	v_add3_u32 v98, v90, v4, v5
	s_lshl_b32 s16, s12, 1
	s_add_i32 s19, s11, s11
	s_mul_i32 s23, s11, 3
	s_lshl_b32 s28, s11, 2
	s_mul_i32 s29, s11, 5
	s_mul_i32 s30, s11, 6
	;; [unrolled: 1-line block ×3, first 2 shown]
	s_lshl_b32 s33, s11, 3
	s_mul_i32 s34, s11, 9
	s_mul_i32 s35, s11, 10
	;; [unrolled: 1-line block ×7, first 2 shown]
	s_lshl_b32 s41, s11, 4
	s_mul_i32 s42, s11, 17
	s_mul_i32 s43, s11, 18
	;; [unrolled: 1-line block ×15, first 2 shown]
	s_lshl_b32 s57, s11, 5
	s_mul_i32 s58, s11, 33
	s_mul_i32 s59, s11, 34
	;; [unrolled: 1-line block ×22, first 2 shown]
	v_cmp_gt_i32_e64 s[0:1], s9, v92
	s_mul_i32 s80, s11, 55
	s_mul_i32 s81, s11, 56
	s_lshl_b64 s[20:21], s[2:3], 2
	v_lshl_add_u64 v[24:25], v[0:1], 0, v[22:23]
	v_mov_b32_e32 v22, 0x100
	v_mov_b32_e32 v12, 0
	;; [unrolled: 1-line block ×17, first 2 shown]
	s_mul_i32 s82, s11, 57
	s_mul_i32 s83, s11, 58
	;; [unrolled: 1-line block ×7, first 2 shown]
	v_cmp_gt_i32_e64 s[2:3], s9, v26
	v_cmp_gt_i32_e64 s[6:7], s9, v27
	s_mov_b64 s[10:11], 0
	s_mov_b64 s[26:27], 0x800
	s_branch .LBB97_22
.LBB97_20:                              ;   in Loop: Header=BB97_22 Depth=1
	v_mul_lo_u32 v99, v99, s17
	v_add_u32_e32 v99, s16, v99
	v_add_u32_e32 v100, v99, v96
	v_ashrrev_i32_e32 v101, 31, v100
	v_lshl_add_u64 v[100:101], v[100:101], 2, v[20:21]
	global_load_dword v99, v[100:101], off
.LBB97_21:                              ;   in Loop: Header=BB97_22 Depth=1
	s_waitcnt vmcnt(0)
	ds_write2_b32 v97, v99, v23 offset0:148 offset1:214
	v_add_u32_e32 v99, 0x400, v97
	ds_write2_b32 v99, v23, v23 offset0:24 offset1:90
	ds_write2_b32 v99, v23, v23 offset0:156 offset1:222
	v_add_u32_e32 v99, 0x800, v97
	ds_write2_b32 v99, v23, v23 offset0:32 offset1:98
	;; [unrolled: 3-line block ×3, first 2 shown]
	ds_write2_b32 v99, v23, v23 offset0:172 offset1:238
	ds_read2_b64 v[100:103], v98 offset0:8 offset1:12
	v_add_u32_e32 v96, 0x200, v96
	s_waitcnt lgkmcnt(0)
	v_mfma_f32_16x16x4_f32 v[8:11], v56, v100, v[8:11]
	v_cmp_le_i32_e32 vcc, s8, v96
	v_lshl_add_u64 v[24:25], v[24:25], 0, s[26:27]
	s_or_b64 s[10:11], vcc, s[10:11]
	v_mfma_f32_16x16x4_f32 v[4:7], v68, v100, v[4:7]
	v_mfma_f32_16x16x4_f32 v[0:3], v80, v100, v[0:3]
	;; [unrolled: 1-line block ×15, first 2 shown]
	ds_read2_b64 v[86:89], v98 offset0:16 offset1:20
	s_waitcnt lgkmcnt(0)
	v_mfma_f32_16x16x4_f32 v[8:11], v42, v86, v[8:11]
	v_mfma_f32_16x16x4_f32 v[4:7], v60, v86, v[4:7]
	;; [unrolled: 1-line block ×15, first 2 shown]
	ds_read2_b64 v[64:67], v98 offset0:24 offset1:28
	v_mfma_f32_16x16x4_f32 v[12:15], v83, v89, v[12:15]
	s_waitcnt lgkmcnt(0)
	v_mfma_f32_16x16x4_f32 v[8:11], v34, v64, v[8:11]
	v_mfma_f32_16x16x4_f32 v[4:7], v46, v64, v[4:7]
	;; [unrolled: 1-line block ×14, first 2 shown]
	ds_read2_b64 v[38:41], v98 offset0:32 offset1:36
	v_mfma_f32_16x16x4_f32 v[0:3], v59, v67, v[0:3]
	v_mfma_f32_16x16x4_f32 v[12:15], v75, v67, v[12:15]
	s_waitcnt lgkmcnt(0)
	v_mfma_f32_16x16x4_f32 v[8:11], v28, v38, v[8:11]
	v_mfma_f32_16x16x4_f32 v[4:7], v36, v38, v[4:7]
	;; [unrolled: 1-line block ×16, first 2 shown]
	s_andn2_b64 exec, exec, s[10:11]
	s_cbranch_execz .LBB97_33
.LBB97_22:                              ; =>This Inner Loop Header: Depth=1
	v_lshl_add_u64 v[26:27], v[24:25], 0, s[20:21]
	global_load_dword v52, v[24:25], off
	global_load_dword v53, v[26:27], off
	v_add_u32_e32 v26, s19, v96
	v_ashrrev_i32_e32 v27, 31, v26
	v_add_u32_e32 v28, s23, v96
	v_add_u32_e32 v30, s28, v96
	;; [unrolled: 1-line block ×5, first 2 shown]
	v_lshl_add_u64 v[26:27], v[26:27], 2, v[18:19]
	v_ashrrev_i32_e32 v29, 31, v28
	v_ashrrev_i32_e32 v31, 31, v30
	;; [unrolled: 1-line block ×5, first 2 shown]
	v_lshl_add_u64 v[28:29], v[28:29], 2, v[18:19]
	v_lshl_add_u64 v[30:31], v[30:31], 2, v[18:19]
	;; [unrolled: 1-line block ×5, first 2 shown]
	global_load_dword v54, v[26:27], off
	global_load_dword v55, v[28:29], off
	;; [unrolled: 1-line block ×6, first 2 shown]
	v_add_u32_e32 v26, s33, v96
	v_add_u32_e32 v44, s42, v96
	;; [unrolled: 1-line block ×10, first 2 shown]
	v_ashrrev_i32_e32 v27, 31, v26
	v_ashrrev_i32_e32 v45, 31, v44
	;; [unrolled: 1-line block ×10, first 2 shown]
	v_lshl_add_u64 v[26:27], v[26:27], 2, v[18:19]
	v_lshl_add_u64 v[44:45], v[44:45], 2, v[18:19]
	v_add_u32_e32 v46, s43, v96
	v_add_u32_e32 v50, s45, v96
	v_lshl_add_u64 v[28:29], v[28:29], 2, v[18:19]
	v_lshl_add_u64 v[30:31], v[30:31], 2, v[18:19]
	;; [unrolled: 1-line block ×8, first 2 shown]
	global_load_dword v60, v[26:27], off
	global_load_dword v61, v[28:29], off
	;; [unrolled: 1-line block ×9, first 2 shown]
	s_nop 0
	global_load_dword v44, v[44:45], off
	v_add_u32_e32 v26, s46, v96
	v_add_u32_e32 v48, s44, v96
	v_ashrrev_i32_e32 v47, 31, v46
	v_ashrrev_i32_e32 v51, 31, v50
	;; [unrolled: 1-line block ×3, first 2 shown]
	v_add_u32_e32 v28, s47, v96
	v_add_u32_e32 v30, s48, v96
	;; [unrolled: 1-line block ×4, first 2 shown]
	v_ashrrev_i32_e32 v49, 31, v48
	v_lshl_add_u64 v[46:47], v[46:47], 2, v[18:19]
	v_lshl_add_u64 v[50:51], v[50:51], 2, v[18:19]
	;; [unrolled: 1-line block ×3, first 2 shown]
	v_ashrrev_i32_e32 v29, 31, v28
	v_ashrrev_i32_e32 v31, 31, v30
	;; [unrolled: 1-line block ×4, first 2 shown]
	v_lshl_add_u64 v[48:49], v[48:49], 2, v[18:19]
	v_lshl_add_u64 v[28:29], v[28:29], 2, v[18:19]
	;; [unrolled: 1-line block ×5, first 2 shown]
	v_add_u32_e32 v36, s56, v96
	v_add_u32_e32 v38, s57, v96
	;; [unrolled: 1-line block ×3, first 2 shown]
	v_ashrrev_i32_e32 v37, 31, v36
	v_ashrrev_i32_e32 v39, 31, v38
	;; [unrolled: 1-line block ×3, first 2 shown]
	v_lshl_add_u64 v[36:37], v[36:37], 2, v[18:19]
	s_waitcnt vmcnt(17)
	ds_write_b32 v97, v52 offset:64
	s_waitcnt vmcnt(16)
	ds_write_b32 v97, v53 offset:328
	;; [unrolled: 2-line block ×8, first 2 shown]
	global_load_dword v45, v[46:47], off
	s_nop 0
	global_load_dword v46, v[48:49], off
	global_load_dword v47, v[50:51], off
	s_nop 0
	global_load_dword v50, v[26:27], off
	global_load_dword v51, v[28:29], off
	;; [unrolled: 1-line block ×5, first 2 shown]
	v_add_u32_e32 v26, s51, v96
	v_ashrrev_i32_e32 v27, 31, v26
	v_add_u32_e32 v28, s52, v96
	v_add_u32_e32 v30, s53, v96
	;; [unrolled: 1-line block ×4, first 2 shown]
	v_lshl_add_u64 v[26:27], v[26:27], 2, v[18:19]
	v_ashrrev_i32_e32 v29, 31, v28
	v_ashrrev_i32_e32 v31, 31, v30
	;; [unrolled: 1-line block ×4, first 2 shown]
	v_lshl_add_u64 v[28:29], v[28:29], 2, v[18:19]
	v_lshl_add_u64 v[30:31], v[30:31], 2, v[18:19]
	v_lshl_add_u64 v[32:33], v[32:33], 2, v[18:19]
	v_lshl_add_u64 v[34:35], v[34:35], 2, v[18:19]
	v_lshl_add_u64 v[38:39], v[38:39], 2, v[18:19]
	v_lshl_add_u64 v[40:41], v[40:41], 2, v[18:19]
	global_load_dword v55, v[26:27], off
	global_load_dword v58, v[28:29], off
	global_load_dword v59, v[30:31], off
	global_load_dword v69, v[32:33], off
	global_load_dword v70, v[34:35], off
	global_load_dword v71, v[36:37], off
	global_load_dword v72, v[38:39], off
	global_load_dword v73, v[40:41], off
	v_add_u32_e32 v26, s59, v96
	v_ashrrev_i32_e32 v27, 31, v26
	v_add_u32_e32 v28, s60, v96
	v_add_u32_e32 v30, s61, v96
	v_add_u32_e32 v32, s62, v96
	v_add_u32_e32 v34, s63, v96
	v_add_u32_e32 v36, s64, v96
	v_add_u32_e32 v38, s65, v96
	v_add_u32_e32 v40, s66, v96
	v_lshl_add_u64 v[26:27], v[26:27], 2, v[18:19]
	v_ashrrev_i32_e32 v29, 31, v28
	v_ashrrev_i32_e32 v31, 31, v30
	v_ashrrev_i32_e32 v33, 31, v32
	v_ashrrev_i32_e32 v35, 31, v34
	v_ashrrev_i32_e32 v37, 31, v36
	v_ashrrev_i32_e32 v39, 31, v38
	v_ashrrev_i32_e32 v41, 31, v40
	v_lshl_add_u64 v[28:29], v[28:29], 2, v[18:19]
	v_lshl_add_u64 v[30:31], v[30:31], 2, v[18:19]
	v_lshl_add_u64 v[32:33], v[32:33], 2, v[18:19]
	v_lshl_add_u64 v[34:35], v[34:35], 2, v[18:19]
	v_lshl_add_u64 v[36:37], v[36:37], 2, v[18:19]
	v_lshl_add_u64 v[38:39], v[38:39], 2, v[18:19]
	v_lshl_add_u64 v[40:41], v[40:41], 2, v[18:19]
	global_load_dword v74, v[26:27], off
	global_load_dword v75, v[28:29], off
	global_load_dword v76, v[30:31], off
	global_load_dword v77, v[32:33], off
	global_load_dword v78, v[34:35], off
	global_load_dword v79, v[36:37], off
	global_load_dword v80, v[38:39], off
	global_load_dword v81, v[40:41], off
	v_add_u32_e32 v26, s67, v96
	v_ashrrev_i32_e32 v27, 31, v26
	v_add_u32_e32 v28, s68, v96
	v_add_u32_e32 v30, s69, v96
	v_add_u32_e32 v32, s70, v96
	v_add_u32_e32 v34, s71, v96
	v_add_u32_e32 v36, s72, v96
	v_add_u32_e32 v38, s73, v96
	v_add_u32_e32 v40, s74, v96
	v_lshl_add_u64 v[26:27], v[26:27], 2, v[18:19]
	v_ashrrev_i32_e32 v29, 31, v28
	v_ashrrev_i32_e32 v31, 31, v30
	v_ashrrev_i32_e32 v33, 31, v32
	v_ashrrev_i32_e32 v35, 31, v34
	v_ashrrev_i32_e32 v37, 31, v36
	v_ashrrev_i32_e32 v39, 31, v38
	v_ashrrev_i32_e32 v41, 31, v40
	v_lshl_add_u64 v[28:29], v[28:29], 2, v[18:19]
	;; [unrolled: 32-line block ×3, first 2 shown]
	v_lshl_add_u64 v[30:31], v[30:31], 2, v[18:19]
	v_lshl_add_u64 v[32:33], v[32:33], 2, v[18:19]
	;; [unrolled: 1-line block ×6, first 2 shown]
	global_load_dword v99, v[26:27], off
	global_load_dword v100, v[28:29], off
	;; [unrolled: 1-line block ×8, first 2 shown]
	v_add_u32_e32 v26, s83, v96
	v_ashrrev_i32_e32 v27, 31, v26
	v_add_u32_e32 v28, s84, v96
	v_add_u32_e32 v30, s85, v96
	;; [unrolled: 1-line block ×5, first 2 shown]
	v_lshl_add_u64 v[26:27], v[26:27], 2, v[18:19]
	v_ashrrev_i32_e32 v29, 31, v28
	v_ashrrev_i32_e32 v31, 31, v30
	;; [unrolled: 1-line block ×5, first 2 shown]
	v_lshl_add_u64 v[28:29], v[28:29], 2, v[18:19]
	v_lshl_add_u64 v[30:31], v[30:31], 2, v[18:19]
	;; [unrolled: 1-line block ×5, first 2 shown]
	global_load_dword v107, v[26:27], off
	global_load_dword v108, v[28:29], off
	;; [unrolled: 1-line block ×6, first 2 shown]
	s_waitcnt vmcnt(55)
	ds_write_b32 v97, v60 offset:2176
	s_waitcnt vmcnt(54)
	ds_write_b32 v97, v61 offset:2440
	s_waitcnt vmcnt(53)
	ds_write_b32 v97, v62 offset:2704
	s_waitcnt vmcnt(52)
	ds_write_b32 v97, v63 offset:2968
	s_waitcnt vmcnt(51)
	ds_write_b32 v97, v64 offset:3232
	s_waitcnt vmcnt(50)
	ds_write_b32 v97, v65 offset:3496
	s_waitcnt vmcnt(49)
	ds_write_b32 v97, v66 offset:3760
	s_waitcnt vmcnt(48)
	ds_write_b32 v97, v67 offset:4024
	ds_read_b64 v[56:57], v98 offset:64
	ds_read_b64 v[48:49], v98 offset:96
	ds_read_b64 v[42:43], v98 offset:128
	ds_read_b64 v[38:39], v98 offset:160
	ds_read_b64 v[34:35], v98 offset:192
	ds_read_b64 v[30:31], v98 offset:224
	ds_read_b64 v[28:29], v98 offset:256
	ds_read_b64 v[26:27], v98 offset:288
	s_waitcnt vmcnt(47)
	ds_write_b32 v97, v68 offset:64
	s_waitcnt vmcnt(46)
	ds_write_b32 v97, v44 offset:328
	s_waitcnt vmcnt(45)
	ds_write_b32 v97, v45 offset:592
	s_waitcnt vmcnt(44)
	ds_write_b32 v97, v46 offset:856
	s_waitcnt vmcnt(43)
	ds_write_b32 v97, v47 offset:1120
	s_waitcnt vmcnt(42)
	ds_write_b32 v97, v50 offset:1384
	s_waitcnt vmcnt(41)
	ds_write_b32 v97, v51 offset:1648
	s_waitcnt vmcnt(40)
	ds_write_b32 v97, v52 offset:1912
	s_waitcnt vmcnt(39)
	ds_write_b32 v97, v53 offset:2176
	s_waitcnt vmcnt(38)
	ds_write_b32 v97, v54 offset:2440
	s_waitcnt vmcnt(37)
	ds_write_b32 v97, v55 offset:2704
	s_waitcnt vmcnt(36)
	ds_write_b32 v97, v58 offset:2968
	s_waitcnt vmcnt(35)
	ds_write_b32 v97, v59 offset:3232
	s_waitcnt vmcnt(34)
	ds_write_b32 v97, v69 offset:3496
	s_waitcnt vmcnt(33)
	ds_write_b32 v97, v70 offset:3760
	s_waitcnt vmcnt(32)
	ds_write_b32 v97, v71 offset:4024
	ds_read_b64 v[68:69], v98 offset:64
	ds_read_b64 v[64:65], v98 offset:96
	ds_read_b64 v[60:61], v98 offset:128
	ds_read_b64 v[52:53], v98 offset:160
	ds_read_b64 v[46:47], v98 offset:192
	ds_read_b64 v[40:41], v98 offset:224
	ds_read_b64 v[36:37], v98 offset:256
	ds_read_b64 v[32:33], v98 offset:288
	s_waitcnt vmcnt(31)
	ds_write_b32 v97, v72 offset:64
	s_waitcnt vmcnt(30)
	ds_write_b32 v97, v73 offset:328
	s_waitcnt vmcnt(29)
	ds_write_b32 v97, v74 offset:592
	s_waitcnt vmcnt(28)
	ds_write_b32 v97, v75 offset:856
	s_waitcnt vmcnt(27)
	ds_write_b32 v97, v76 offset:1120
	s_waitcnt vmcnt(26)
	ds_write_b32 v97, v77 offset:1384
	s_waitcnt vmcnt(25)
	ds_write_b32 v97, v78 offset:1648
	s_waitcnt vmcnt(24)
	ds_write_b32 v97, v79 offset:1912
	;; [unrolled: 40-line block ×3, first 2 shown]
	s_waitcnt vmcnt(7)
	ds_write_b32 v97, v105 offset:2176
	s_waitcnt vmcnt(6)
	ds_write_b32 v97, v106 offset:2440
	;; [unrolled: 2-line block ×8, first 2 shown]
	ds_read_b64 v[88:89], v98 offset:64
	ds_read_b64 v[86:87], v98 offset:96
	;; [unrolled: 1-line block ×8, first 2 shown]
	s_andn2_b64 vcc, exec, s[0:1]
	v_mov_b32_e32 v99, 0
	s_cbranch_vccnz .LBB97_26
; %bb.23:                               ;   in Loop: Header=BB97_22 Depth=1
	ds_read_b32 v99, v22
	s_waitcnt lgkmcnt(0)
	v_cmp_gt_i32_e32 vcc, 0, v99
	s_cbranch_vccnz .LBB97_25
; %bb.24:                               ;   in Loop: Header=BB97_22 Depth=1
	v_mul_lo_u32 v99, v99, s17
	v_add_u32_e32 v100, v96, v99
	v_ashrrev_i32_e32 v101, 31, v100
	v_lshl_add_u64 v[100:101], v[100:101], 2, v[20:21]
	global_load_dword v99, v[100:101], off
	s_branch .LBB97_26
.LBB97_25:                              ;   in Loop: Header=BB97_22 Depth=1
	v_mov_b32_e32 v99, 0
.LBB97_26:                              ;   in Loop: Header=BB97_22 Depth=1
	s_waitcnt vmcnt(0)
	ds_write_b32 v97, v99 offset:64
	v_mov_b32_e32 v99, 0
	s_andn2_b64 vcc, exec, s[2:3]
	v_mov_b32_e32 v100, 0
	s_cbranch_vccnz .LBB97_29
; %bb.27:                               ;   in Loop: Header=BB97_22 Depth=1
	ds_read_b32 v100, v22 offset:4
	s_waitcnt lgkmcnt(0)
	v_cmp_gt_i32_e32 vcc, 0, v100
	s_cbranch_vccnz .LBB97_32
; %bb.28:                               ;   in Loop: Header=BB97_22 Depth=1
	v_mul_lo_u32 v100, v100, s17
	v_add_u32_e32 v100, s12, v100
	v_add_u32_e32 v100, v100, v96
	v_ashrrev_i32_e32 v101, 31, v100
	v_lshl_add_u64 v[100:101], v[100:101], 2, v[20:21]
	global_load_dword v100, v[100:101], off
.LBB97_29:                              ;   in Loop: Header=BB97_22 Depth=1
	s_andn2_b64 vcc, exec, s[6:7]
	s_waitcnt vmcnt(0)
	ds_write_b32 v97, v100 offset:328
	s_cbranch_vccnz .LBB97_21
.LBB97_30:                              ;   in Loop: Header=BB97_22 Depth=1
	ds_read_b32 v99, v22 offset:8
	s_waitcnt lgkmcnt(0)
	v_cmp_gt_i32_e32 vcc, 0, v99
	s_cbranch_vccz .LBB97_20
; %bb.31:                               ;   in Loop: Header=BB97_22 Depth=1
	v_mov_b32_e32 v99, 0
	s_branch .LBB97_21
.LBB97_32:                              ;   in Loop: Header=BB97_22 Depth=1
	v_mov_b32_e32 v100, 0
	s_andn2_b64 vcc, exec, s[6:7]
	ds_write_b32 v97, v100 offset:328
	s_cbranch_vccnz .LBB97_21
	s_branch .LBB97_30
.LBB97_33:
	s_or_b64 exec, exec, s[10:11]
.LBB97_34:
	s_or_b64 exec, exec, s[14:15]
	v_mov_b32_e32 v18, 0x100
	v_lshl_add_u32 v18, v94, 2, v18
	v_mul_u32_u24_e32 v19, 0x808, v95
	v_and_b32_e32 v20, 0x3f0, v16
	v_add3_u32 v18, v18, v19, v20
	v_cmp_gt_u32_e32 vcc, 3, v17
	s_barrier
	ds_write2_b32 v18, v8, v9 offset0:16 offset1:17
	ds_write2_b32 v18, v10, v11 offset0:18 offset1:19
	;; [unrolled: 1-line block ×8, first 2 shown]
	s_waitcnt lgkmcnt(0)
	s_barrier
	s_and_saveexec_b64 s[0:1], vcc
	s_cbranch_execz .LBB97_37
; %bb.35:
	v_add_u32_e32 v0, v90, v91
	ds_read_b32 v0, v0
	v_cmp_gt_i32_e64 s[0:1], s9, v93
	s_waitcnt lgkmcnt(0)
	v_cmp_lt_i32_e32 vcc, -1, v0
	s_and_b64 s[0:1], vcc, s[0:1]
	s_and_b64 exec, exec, s[0:1]
	s_cbranch_execz .LBB97_37
; %bb.36:
	v_lshlrev_b32_e32 v1, 2, v16
	s_movk_i32 s2, 0x100
	v_mul_u32_u24_e32 v4, 0x808, v17
	v_add3_u32 v1, s2, v1, v4
	ds_read2_b32 v[4:5], v1 offset0:16 offset1:80
	ds_read2_b32 v[6:7], v1 offset0:144 offset1:208
	v_add_u32_e32 v1, 64, v1
	ds_read2st64_b32 v[8:9], v1 offset0:4 offset1:5
	s_mul_hi_i32 s1, s22, s4
	s_waitcnt lgkmcnt(2)
	v_add_f32_e32 v4, 0, v4
	v_add_f32_e32 v10, v4, v5
	ds_read2st64_b32 v[4:5], v1 offset0:6 offset1:7
	s_waitcnt lgkmcnt(2)
	v_add_f32_e32 v1, v10, v6
	v_add_f32_e32 v1, v1, v7
	s_mul_i32 s0, s22, s4
	s_waitcnt lgkmcnt(1)
	v_add_f32_e32 v1, v1, v8
	s_lshl_b64 s[0:1], s[0:1], 2
	v_add_f32_e32 v1, v1, v9
	v_mul_hi_i32 v3, v92, s13
	v_mul_lo_u32 v2, v92, s13
	s_add_u32 s0, s24, s0
	s_waitcnt lgkmcnt(0)
	v_add_f32_e32 v1, v1, v4
	s_addc_u32 s1, s25, s1
	v_lshlrev_b64 v[2:3], 2, v[2:3]
	v_add_f32_e32 v4, v1, v5
	v_add_u32_e32 v1, s5, v16
	v_mul_lo_u32 v5, s13, v17
	v_mul_lo_u32 v0, v0, s18
	v_lshl_add_u64 v[2:3], s[0:1], 0, v[2:3]
	v_add3_u32 v0, v1, v5, v0
	v_mov_b32_e32 v1, 0
	v_lshl_add_u64 v[0:1], v[0:1], 2, v[2:3]
	global_store_dword v[0:1], v4, off
.LBB97_37:
	s_endpgm
	.section	.rodata,"a",@progbits
	.p2align	6, 0x0
	.amdhsa_kernel _ZL9mul_mat_fIfLi64ELi3ELi8ELb1EEvPKT_PKfPKiPfiiiiiiiiiiiiiiii
		.amdhsa_group_segment_fixed_size 256
		.amdhsa_private_segment_fixed_size 0
		.amdhsa_kernarg_size 352
		.amdhsa_user_sgpr_count 2
		.amdhsa_user_sgpr_dispatch_ptr 0
		.amdhsa_user_sgpr_queue_ptr 0
		.amdhsa_user_sgpr_kernarg_segment_ptr 1
		.amdhsa_user_sgpr_dispatch_id 0
		.amdhsa_user_sgpr_kernarg_preload_length 0
		.amdhsa_user_sgpr_kernarg_preload_offset 0
		.amdhsa_user_sgpr_private_segment_size 0
		.amdhsa_uses_dynamic_stack 0
		.amdhsa_enable_private_segment 0
		.amdhsa_system_sgpr_workgroup_id_x 1
		.amdhsa_system_sgpr_workgroup_id_y 1
		.amdhsa_system_sgpr_workgroup_id_z 1
		.amdhsa_system_sgpr_workgroup_info 0
		.amdhsa_system_vgpr_workitem_id 2
		.amdhsa_next_free_vgpr 113
		.amdhsa_next_free_sgpr 89
		.amdhsa_accum_offset 116
		.amdhsa_reserve_vcc 1
		.amdhsa_float_round_mode_32 0
		.amdhsa_float_round_mode_16_64 0
		.amdhsa_float_denorm_mode_32 3
		.amdhsa_float_denorm_mode_16_64 3
		.amdhsa_dx10_clamp 1
		.amdhsa_ieee_mode 1
		.amdhsa_fp16_overflow 0
		.amdhsa_tg_split 0
		.amdhsa_exception_fp_ieee_invalid_op 0
		.amdhsa_exception_fp_denorm_src 0
		.amdhsa_exception_fp_ieee_div_zero 0
		.amdhsa_exception_fp_ieee_overflow 0
		.amdhsa_exception_fp_ieee_underflow 0
		.amdhsa_exception_fp_ieee_inexact 0
		.amdhsa_exception_int_div_zero 0
	.end_amdhsa_kernel
	.section	.text._ZL9mul_mat_fIfLi64ELi3ELi8ELb1EEvPKT_PKfPKiPfiiiiiiiiiiiiiiii,"axG",@progbits,_ZL9mul_mat_fIfLi64ELi3ELi8ELb1EEvPKT_PKfPKiPfiiiiiiiiiiiiiiii,comdat
.Lfunc_end97:
	.size	_ZL9mul_mat_fIfLi64ELi3ELi8ELb1EEvPKT_PKfPKiPfiiiiiiiiiiiiiiii, .Lfunc_end97-_ZL9mul_mat_fIfLi64ELi3ELi8ELb1EEvPKT_PKfPKiPfiiiiiiiiiiiiiiii
                                        ; -- End function
	.set _ZL9mul_mat_fIfLi64ELi3ELi8ELb1EEvPKT_PKfPKiPfiiiiiiiiiiiiiiii.num_vgpr, 113
	.set _ZL9mul_mat_fIfLi64ELi3ELi8ELb1EEvPKT_PKfPKiPfiiiiiiiiiiiiiiii.num_agpr, 0
	.set _ZL9mul_mat_fIfLi64ELi3ELi8ELb1EEvPKT_PKfPKiPfiiiiiiiiiiiiiiii.numbered_sgpr, 89
	.set _ZL9mul_mat_fIfLi64ELi3ELi8ELb1EEvPKT_PKfPKiPfiiiiiiiiiiiiiiii.num_named_barrier, 0
	.set _ZL9mul_mat_fIfLi64ELi3ELi8ELb1EEvPKT_PKfPKiPfiiiiiiiiiiiiiiii.private_seg_size, 0
	.set _ZL9mul_mat_fIfLi64ELi3ELi8ELb1EEvPKT_PKfPKiPfiiiiiiiiiiiiiiii.uses_vcc, 1
	.set _ZL9mul_mat_fIfLi64ELi3ELi8ELb1EEvPKT_PKfPKiPfiiiiiiiiiiiiiiii.uses_flat_scratch, 0
	.set _ZL9mul_mat_fIfLi64ELi3ELi8ELb1EEvPKT_PKfPKiPfiiiiiiiiiiiiiiii.has_dyn_sized_stack, 0
	.set _ZL9mul_mat_fIfLi64ELi3ELi8ELb1EEvPKT_PKfPKiPfiiiiiiiiiiiiiiii.has_recursion, 0
	.set _ZL9mul_mat_fIfLi64ELi3ELi8ELb1EEvPKT_PKfPKiPfiiiiiiiiiiiiiiii.has_indirect_call, 0
	.section	.AMDGPU.csdata,"",@progbits
; Kernel info:
; codeLenInByte = 5664
; TotalNumSgprs: 95
; NumVgprs: 113
; NumAgprs: 0
; TotalNumVgprs: 113
; ScratchSize: 0
; MemoryBound: 0
; FloatMode: 240
; IeeeMode: 1
; LDSByteSize: 256 bytes/workgroup (compile time only)
; SGPRBlocks: 11
; VGPRBlocks: 14
; NumSGPRsForWavesPerEU: 95
; NumVGPRsForWavesPerEU: 113
; AccumOffset: 116
; Occupancy: 4
; WaveLimiterHint : 0
; COMPUTE_PGM_RSRC2:SCRATCH_EN: 0
; COMPUTE_PGM_RSRC2:USER_SGPR: 2
; COMPUTE_PGM_RSRC2:TRAP_HANDLER: 0
; COMPUTE_PGM_RSRC2:TGID_X_EN: 1
; COMPUTE_PGM_RSRC2:TGID_Y_EN: 1
; COMPUTE_PGM_RSRC2:TGID_Z_EN: 1
; COMPUTE_PGM_RSRC2:TIDIG_COMP_CNT: 2
; COMPUTE_PGM_RSRC3_GFX90A:ACCUM_OFFSET: 28
; COMPUTE_PGM_RSRC3_GFX90A:TG_SPLIT: 0
	.section	.text._ZL9mul_mat_fIfLi64ELi3ELi8ELb0EEvPKT_PKfPKiPfiiiiiiiiiiiiiiii,"axG",@progbits,_ZL9mul_mat_fIfLi64ELi3ELi8ELb0EEvPKT_PKfPKiPfiiiiiiiiiiiiiiii,comdat
	.globl	_ZL9mul_mat_fIfLi64ELi3ELi8ELb0EEvPKT_PKfPKiPfiiiiiiiiiiiiiiii ; -- Begin function _ZL9mul_mat_fIfLi64ELi3ELi8ELb0EEvPKT_PKfPKiPfiiiiiiiiiiiiiiii
	.p2align	8
	.type	_ZL9mul_mat_fIfLi64ELi3ELi8ELb0EEvPKT_PKfPKiPfiiiiiiiiiiiiiiii,@function
_ZL9mul_mat_fIfLi64ELi3ELi8ELb0EEvPKT_PKfPKiPfiiiiiiiiiiiiiiii: ; @_ZL9mul_mat_fIfLi64ELi3ELi8ELb0EEvPKT_PKfPKiPfiiiiiiiiiiiiiiii
; %bb.0:
	s_load_dword s5, s[0:1], 0x20
	s_load_dwordx4 s[16:19], s[0:1], 0x2c
	v_bfe_u32 v56, v0, 10, 10
	v_lshlrev_b32_e32 v58, 6, v56
	v_and_b32_e32 v57, 0x3ff, v0
	v_add_u32_e32 v60, v58, v57
	s_waitcnt lgkmcnt(0)
	s_ashr_i32 s19, s4, 31
	v_cmp_le_i32_e32 vcc, s5, v60
	v_and_b32_e32 v59, 15, v57
	s_and_saveexec_b64 s[6:7], vcc
	s_xor_b64 s[6:7], exec, s[6:7]
; %bb.1:
	v_and_b32_e32 v59, 15, v57
                                        ; implicit-def: $vgpr60
; %bb.2:
	s_or_saveexec_b64 s[24:25], s[6:7]
	s_load_dwordx8 s[8:15], s[0:1], 0x40
	s_load_dwordx2 s[6:7], s[0:1], 0x18
	v_mov_b32_e32 v15, 0
	s_lshl_b32 s2, s2, 6
	v_lshlrev_b32_e32 v16, 2, v57
	v_mov_b32_e32 v14, v15
	v_mov_b32_e32 v13, v15
	;; [unrolled: 1-line block ×15, first 2 shown]
	s_xor_b64 exec, exec, s[24:25]
	s_cbranch_execz .LBB98_6
; %bb.3:
	s_waitcnt lgkmcnt(0)
	s_abs_i32 s26, s8
	v_cvt_f32_u32_e32 v0, s26
	s_abs_i32 s27, s12
	v_cvt_f32_u32_e32 v1, s27
	s_sub_i32 s20, 0, s26
	v_rcp_iflag_f32_e32 v0, v0
	s_abs_i32 s28, s3
	v_rcp_iflag_f32_e32 v1, v1
	s_sub_i32 s21, 0, s27
	v_mul_f32_e32 v0, 0x4f7ffffe, v0
	v_cvt_u32_f32_e32 v0, v0
	v_mul_f32_e32 v1, 0x4f7ffffe, v1
	v_cvt_u32_f32_e32 v1, v1
	s_abs_i32 s29, s4
	v_mul_lo_u32 v2, s20, v0
	v_mul_hi_u32 v2, v0, v2
	v_add_u32_e32 v0, v0, v2
	v_mul_hi_u32 v0, s28, v0
	v_mul_lo_u32 v3, s21, v1
	v_mul_lo_u32 v2, v0, s26
	v_mul_hi_u32 v3, v1, v3
	v_sub_u32_e32 v2, s28, v2
	v_add_u32_e32 v1, v1, v3
	v_add_u32_e32 v3, 1, v0
	v_subrev_u32_e32 v4, s26, v2
	v_cmp_le_u32_e32 vcc, s26, v2
	s_load_dwordx4 s[20:23], s[0:1], 0x0
	s_ashr_i32 s0, s3, 31
	v_cndmask_b32_e32 v0, v0, v3, vcc
	v_cndmask_b32_e32 v2, v2, v4, vcc
	s_ashr_i32 s1, s8, 31
	v_add_u32_e32 v3, 1, v0
	v_cmp_le_u32_e32 vcc, s26, v2
	s_xor_b32 s0, s0, s1
	v_mul_hi_u32 v1, s29, v1
	v_cndmask_b32_e32 v0, v0, v3, vcc
	v_xor_b32_e32 v0, s0, v0
	v_subrev_u32_e32 v2, s0, v0
	v_mul_lo_u32 v0, v1, s27
	v_sub_u32_e32 v0, s29, v0
	v_add_u32_e32 v3, 1, v1
	v_subrev_u32_e32 v4, s27, v0
	v_cmp_le_u32_e32 vcc, s27, v0
	s_ashr_i32 s8, s12, 31
	s_xor_b32 s0, s19, s8
	v_cndmask_b32_e32 v1, v1, v3, vcc
	v_cndmask_b32_e32 v0, v0, v4, vcc
	v_add_u32_e32 v3, 1, v1
	v_cmp_le_u32_e32 vcc, s27, v0
	v_mul_lo_u32 v2, v2, s9
	s_mul_hi_i32 s9, s14, s4
	v_cndmask_b32_e32 v0, v1, v3, vcc
	s_mul_i32 s8, s14, s4
	v_xor_b32_e32 v0, s0, v0
	s_lshl_b64 s[8:9], s[8:9], 2
	v_subrev_u32_e32 v0, s0, v0
	s_mul_i32 s0, s16, s2
	s_mul_i32 s26, s10, s3
	s_waitcnt lgkmcnt(0)
	s_add_u32 s10, s22, s8
	v_mul_hi_i32 v1, v0, s13
	v_mul_lo_u32 v0, v0, s13
	s_addc_u32 s14, s23, s9
	s_ashr_i32 s1, s0, 31
	s_ashr_i32 s27, s26, 31
	v_ashrrev_i32_e32 v3, 31, v2
	v_lshlrev_b64 v[0:1], 2, v[0:1]
	s_lshl_b64 s[12:13], s[0:1], 2
	s_lshl_b64 s[66:67], s[26:27], 2
	v_lshl_add_u64 v[4:5], s[20:21], 0, v[0:1]
	v_lshlrev_b64 v[2:3], 2, v[2:3]
	s_add_u32 s0, s10, s66
	v_lshl_add_u64 v[4:5], v[4:5], 0, v[2:3]
	s_addc_u32 s1, s14, s67
	s_movk_i32 s10, 0x1080
	s_ashr_i32 s69, s16, 31
	s_mov_b32 s68, s16
	s_ashr_i32 s71, s17, 31
	s_mov_b32 s70, s17
	v_lshl_add_u64 v[18:19], v[4:5], 0, s[12:13]
	v_mad_u32_u24 v4, v56, s10, 0
	v_lshrrev_b32_e32 v6, 1, v57
	s_add_i32 s10, s16, s16
	s_add_i32 s14, s17, s17
	s_lshl_b32 s19, s16, 2
	s_lshl_b32 s29, s16, 3
	;; [unrolled: 1-line block ×4, first 2 shown]
	s_lshl_b64 s[72:73], s[68:69], 2
	s_lshl_b64 s[74:75], s[70:71], 2
	v_mul_u32_u24_e32 v5, 0x108, v59
	v_and_b32_e32 v6, 0x1f8, v6
	s_add_u32 s76, s22, s66
	v_mov_b32_e32 v17, 0
	v_add3_u32 v62, v4, v5, v6
	s_addc_u32 s77, s23, s67
	v_lshl_add_u64 v[2:3], s[20:21], 0, v[2:3]
	v_lshlrev_b32_e32 v6, 8, v56
	v_mov_b32_e32 v7, v17
	v_lshl_add_u64 v[2:3], v[2:3], 0, s[12:13]
	v_lshl_add_u64 v[8:9], s[8:9], 0, v[6:7]
	s_add_u32 s8, s76, s74
	v_add_u32_e32 v61, v4, v16
	v_lshl_add_u64 v[4:5], v[2:3], 0, s[72:73]
	s_addc_u32 s9, s77, s75
	v_lshl_add_u64 v[0:1], v[0:1], 0, v[6:7]
	s_mul_i32 s17, s16, 3
	s_mul_i32 s26, s16, 5
	;; [unrolled: 1-line block ×49, first 2 shown]
	v_lshl_add_u64 v[20:21], s[8:9], 0, v[8:9]
	s_mul_i32 s74, s16, 56
	s_mul_i32 s75, s16, 57
	v_lshl_add_u64 v[22:23], s[76:77], 0, v[8:9]
	s_mul_i32 s76, s16, 58
	s_mul_i32 s77, s16, 59
	v_lshl_add_u64 v[24:25], v[4:5], 0, v[0:1]
	v_lshl_add_u64 v[26:27], v[2:3], 0, v[0:1]
	v_mov_b32_e32 v0, v17
	v_mov_b32_e32 v1, v17
	;; [unrolled: 1-line block ×15, first 2 shown]
	s_mul_i32 s78, s16, 60
	s_mul_i32 s79, s16, 61
	;; [unrolled: 1-line block ×4, first 2 shown]
	s_mov_b64 s[8:9], 0
	s_mov_b64 s[12:13], 0x800
.LBB98_4:                               ; =>This Inner Loop Header: Depth=1
	v_add_u32_e32 v42, s10, v60
	v_add_u32_e32 v38, s19, v60
	;; [unrolled: 1-line block ×14, first 2 shown]
	v_ashrrev_i32_e32 v43, 31, v42
	v_ashrrev_i32_e32 v39, 31, v38
	;; [unrolled: 1-line block ×8, first 2 shown]
	v_lshl_add_u64 v[52:53], v[26:27], 0, v[16:17]
	v_lshl_add_u64 v[54:55], v[24:25], 0, v[16:17]
	;; [unrolled: 1-line block ×3, first 2 shown]
	v_add_u32_e32 v72, s38, v60
	v_add_u32_e32 v74, s39, v60
	v_ashrrev_i32_e32 v51, 31, v50
	v_lshl_add_u64 v[42:43], v[42:43], 2, v[18:19]
	v_ashrrev_i32_e32 v49, 31, v48
	v_lshl_add_u64 v[38:39], v[38:39], 2, v[18:19]
	;; [unrolled: 2-line block ×4, first 2 shown]
	v_lshl_add_u64 v[30:31], v[30:31], 2, v[18:19]
	v_lshl_add_u64 v[40:41], v[40:41], 2, v[18:19]
	;; [unrolled: 1-line block ×4, first 2 shown]
	v_ashrrev_i32_e32 v69, 31, v68
	v_ashrrev_i32_e32 v71, 31, v70
	v_lshl_add_u64 v[66:67], v[20:21], 0, v[16:17]
	v_add_u32_e32 v76, s40, v60
	v_add_u32_e32 v78, s41, v60
	global_load_dword v63, v[52:53], off
	s_nop 0
	global_load_dword v54, v[54:55], off
	s_nop 0
	global_load_dword v52, v[64:65], off
	global_load_dword v53, v[66:67], off
	v_lshl_add_u64 v[50:51], v[50:51], 2, v[18:19]
	global_load_dword v42, v[42:43], off
	s_nop 0
	global_load_dword v43, v[50:51], off
	v_lshl_add_u64 v[48:49], v[48:49], 2, v[18:19]
	global_load_dword v38, v[38:39], off
	s_nop 0
	;; [unrolled: 4-line block ×4, first 2 shown]
	global_load_dword v33, v[44:45], off
	s_nop 0
	global_load_dword v30, v[30:31], off
	s_nop 0
	;; [unrolled: 2-line block ×4, first 2 shown]
	global_load_dword v29, v[36:37], off
	v_lshl_add_u64 v[36:37], v[68:69], 2, v[18:19]
	v_lshl_add_u64 v[40:41], v[70:71], 2, v[18:19]
	v_ashrrev_i32_e32 v73, 31, v72
	v_ashrrev_i32_e32 v75, 31, v74
	v_add_u32_e32 v80, s42, v60
	v_add_u32_e32 v82, s43, v60
	global_load_dword v36, v[36:37], off
	s_nop 0
	global_load_dword v37, v[40:41], off
	v_lshl_add_u64 v[40:41], v[72:73], 2, v[18:19]
	v_lshl_add_u64 v[44:45], v[74:75], 2, v[18:19]
	v_ashrrev_i32_e32 v77, 31, v76
	v_ashrrev_i32_e32 v79, 31, v78
	v_add_u32_e32 v84, s44, v60
	v_add_u32_e32 v86, s45, v60
	global_load_dword v40, v[40:41], off
	s_nop 0
	global_load_dword v41, v[44:45], off
	v_lshl_add_u64 v[44:45], v[76:77], 2, v[18:19]
	v_lshl_add_u64 v[46:47], v[78:79], 2, v[18:19]
	v_ashrrev_i32_e32 v81, 31, v80
	v_ashrrev_i32_e32 v83, 31, v82
	v_add_u32_e32 v88, s46, v60
	v_add_u32_e32 v64, s48, v60
	;; [unrolled: 1-line block ×4, first 2 shown]
	global_load_dword v44, v[44:45], off
	s_nop 0
	global_load_dword v45, v[46:47], off
	v_lshl_add_u64 v[46:47], v[80:81], 2, v[18:19]
	v_lshl_add_u64 v[48:49], v[82:83], 2, v[18:19]
	v_ashrrev_i32_e32 v85, 31, v84
	v_ashrrev_i32_e32 v87, 31, v86
	v_add_u32_e32 v90, s47, v60
	v_add_u32_e32 v66, s49, v60
	v_add_u32_e32 v96, s52, v60
	v_add_u32_e32 v98, s53, v60
	global_load_dword v46, v[46:47], off
	s_nop 0
	global_load_dword v47, v[48:49], off
	v_lshl_add_u64 v[48:49], v[84:85], 2, v[18:19]
	v_lshl_add_u64 v[50:51], v[86:87], 2, v[18:19]
	v_ashrrev_i32_e32 v89, 31, v88
	v_ashrrev_i32_e32 v65, 31, v64
	;; [unrolled: 1-line block ×4, first 2 shown]
	v_add_u32_e32 v100, s54, v60
	v_add_u32_e32 v68, s55, v60
	;; [unrolled: 1-line block ×4, first 2 shown]
	global_load_dword v48, v[48:49], off
	s_nop 0
	global_load_dword v49, v[50:51], off
	v_ashrrev_i32_e32 v91, 31, v90
	v_lshl_add_u64 v[50:51], v[88:89], 2, v[18:19]
	v_ashrrev_i32_e32 v67, 31, v66
	v_lshl_add_u64 v[64:65], v[64:65], 2, v[18:19]
	v_lshl_add_u64 v[80:81], v[92:93], 2, v[18:19]
	;; [unrolled: 1-line block ×3, first 2 shown]
	v_ashrrev_i32_e32 v97, 31, v96
	v_ashrrev_i32_e32 v99, 31, v98
	v_add_u32_e32 v74, s58, v60
	v_add_u32_e32 v76, s59, v60
	v_lshl_add_u64 v[78:79], v[90:91], 2, v[18:19]
	global_load_dword v50, v[50:51], off
	s_nop 0
	global_load_dword v51, v[78:79], off
	v_lshl_add_u64 v[66:67], v[66:67], 2, v[18:19]
	global_load_dword v55, v[64:65], off
	s_nop 0
	global_load_dword v64, v[66:67], off
	global_load_dword v65, v[80:81], off
	;; [unrolled: 1-line block ×3, first 2 shown]
	v_lshl_add_u64 v[82:83], v[96:97], 2, v[18:19]
	v_lshl_add_u64 v[84:85], v[98:99], 2, v[18:19]
	v_ashrrev_i32_e32 v101, 31, v100
	v_ashrrev_i32_e32 v69, 31, v68
	;; [unrolled: 1-line block ×4, first 2 shown]
	v_add_u32_e32 v78, s60, v60
	v_add_u32_e32 v66, s61, v60
	global_load_dword v87, v[82:83], off
	global_load_dword v88, v[84:85], off
	v_lshl_add_u64 v[84:85], v[100:101], 2, v[18:19]
	v_lshl_add_u64 v[68:69], v[68:69], 2, v[18:19]
	;; [unrolled: 1-line block ×4, first 2 shown]
	v_ashrrev_i32_e32 v75, 31, v74
	v_ashrrev_i32_e32 v77, 31, v76
	v_add_u32_e32 v80, s62, v60
	v_add_u32_e32 v82, s63, v60
	global_load_dword v84, v[84:85], off
	s_nop 0
	global_load_dword v85, v[68:69], off
	v_add_u32_e32 v68, s64, v60
	global_load_dword v89, v[70:71], off
	global_load_dword v90, v[72:73], off
	v_lshl_add_u64 v[72:73], v[74:75], 2, v[18:19]
	v_lshl_add_u64 v[74:75], v[76:77], 2, v[18:19]
	v_ashrrev_i32_e32 v79, 31, v78
	v_ashrrev_i32_e32 v67, 31, v66
	v_add_u32_e32 v70, s65, v60
	global_load_dword v91, v[72:73], off
	global_load_dword v92, v[74:75], off
	v_lshl_add_u64 v[74:75], v[78:79], 2, v[18:19]
	v_lshl_add_u64 v[66:67], v[66:67], 2, v[18:19]
	v_ashrrev_i32_e32 v81, 31, v80
	v_ashrrev_i32_e32 v83, 31, v82
	;; [unrolled: 1-line block ×3, first 2 shown]
	v_add_u32_e32 v72, s22, v60
	global_load_dword v78, v[74:75], off
	global_load_dword v79, v[66:67], off
	v_add_u32_e32 v66, s23, v60
	v_lshl_add_u64 v[74:75], v[80:81], 2, v[18:19]
	v_lshl_add_u64 v[76:77], v[82:83], 2, v[18:19]
	v_ashrrev_i32_e32 v71, 31, v70
	v_lshl_add_u64 v[68:69], v[68:69], 2, v[18:19]
	global_load_dword v80, v[74:75], off
	s_nop 0
	global_load_dword v76, v[76:77], off
	v_add_u32_e32 v74, s20, v60
	v_lshl_add_u64 v[70:71], v[70:71], 2, v[18:19]
	global_load_dword v77, v[68:69], off
	global_load_dword v81, v[70:71], off
	v_add_u32_e32 v68, s21, v60
	v_ashrrev_i32_e32 v73, 31, v72
	v_ashrrev_i32_e32 v67, 31, v66
	v_lshl_add_u64 v[70:71], v[72:73], 2, v[18:19]
	v_lshl_add_u64 v[66:67], v[66:67], 2, v[18:19]
	v_ashrrev_i32_e32 v75, 31, v74
	v_ashrrev_i32_e32 v69, 31, v68
	global_load_dword v72, v[70:71], off
	global_load_dword v73, v[66:67], off
	v_add_u32_e32 v66, s66, v60
	v_lshl_add_u64 v[70:71], v[74:75], 2, v[18:19]
	v_lshl_add_u64 v[68:69], v[68:69], 2, v[18:19]
	global_load_dword v74, v[70:71], off
	global_load_dword v75, v[68:69], off
	v_add_u32_e32 v68, s67, v60
	v_ashrrev_i32_e32 v67, 31, v66
	v_ashrrev_i32_e32 v69, 31, v68
	v_lshl_add_u64 v[66:67], v[66:67], 2, v[18:19]
	v_lshl_add_u64 v[68:69], v[68:69], 2, v[18:19]
	global_load_dword v93, v[66:67], off
	global_load_dword v94, v[68:69], off
	v_add_u32_e32 v66, s68, v60
	v_ashrrev_i32_e32 v67, 31, v66
	v_lshl_add_u64 v[66:67], v[66:67], 2, v[18:19]
	global_load_dword v95, v[66:67], off
	v_add_u32_e32 v66, s69, v60
	v_ashrrev_i32_e32 v67, 31, v66
	v_lshl_add_u64 v[66:67], v[66:67], 2, v[18:19]
	;; [unrolled: 4-line block ×15, first 2 shown]
	global_load_dword v109, v[66:67], off
	s_waitcnt vmcnt(62)
	ds_write_b32 v61, v63
	ds_write_b32 v61, v54 offset:264
	ds_write_b32 v61, v42 offset:528
	s_waitcnt vmcnt(61)
	ds_write_b32 v61, v43 offset:792
	s_waitcnt vmcnt(60)
	ds_write_b32 v61, v38 offset:1056
	s_waitcnt vmcnt(59)
	ds_write_b32 v61, v39 offset:1320
	s_waitcnt vmcnt(58)
	ds_write_b32 v61, v34 offset:1584
	s_waitcnt vmcnt(57)
	ds_write_b32 v61, v35 offset:1848
	s_waitcnt vmcnt(56)
	ds_write_b32 v61, v32 offset:2112
	s_waitcnt vmcnt(55)
	ds_write_b32 v61, v33 offset:2376
	s_waitcnt vmcnt(54)
	ds_write_b32 v61, v30 offset:2640
	s_waitcnt vmcnt(53)
	ds_write_b32 v61, v31 offset:2904
	s_waitcnt vmcnt(52)
	ds_write_b32 v61, v28 offset:3168
	s_waitcnt vmcnt(51)
	ds_write_b32 v61, v29 offset:3432
	s_waitcnt vmcnt(50)
	ds_write_b32 v61, v36 offset:3696
	s_waitcnt vmcnt(49)
	ds_write_b32 v61, v37 offset:3960
	ds_read_b64 v[38:39], v62
	ds_read_b64 v[42:43], v62 offset:32
	ds_read_b64 v[66:67], v62 offset:64
	ds_read_b64 v[68:69], v62 offset:96
	ds_read_b64 v[70:71], v62 offset:128
	ds_read_b64 v[36:37], v62 offset:160
	ds_read_b64 v[32:33], v62 offset:192
	ds_read_b64 v[28:29], v62 offset:224
	s_waitcnt vmcnt(48)
	ds_write_b32 v61, v40
	s_waitcnt vmcnt(47)
	ds_write_b32 v61, v41 offset:264
	s_waitcnt vmcnt(46)
	ds_write_b32 v61, v44 offset:528
	s_waitcnt vmcnt(45)
	ds_write_b32 v61, v45 offset:792
	s_waitcnt vmcnt(44)
	ds_write_b32 v61, v46 offset:1056
	s_waitcnt vmcnt(43)
	ds_write_b32 v61, v47 offset:1320
	s_waitcnt vmcnt(42)
	ds_write_b32 v61, v48 offset:1584
	s_waitcnt vmcnt(41)
	ds_write_b32 v61, v49 offset:1848
	s_waitcnt vmcnt(40)
	ds_write_b32 v61, v50 offset:2112
	s_waitcnt vmcnt(39)
	ds_write_b32 v61, v51 offset:2376
	s_waitcnt vmcnt(38)
	ds_write_b32 v61, v55 offset:2640
	s_waitcnt vmcnt(37)
	ds_write_b32 v61, v64 offset:2904
	s_waitcnt vmcnt(36)
	ds_write_b32 v61, v65 offset:3168
	s_waitcnt vmcnt(35)
	ds_write_b32 v61, v86 offset:3432
	s_waitcnt vmcnt(34)
	ds_write_b32 v61, v87 offset:3696
	s_waitcnt vmcnt(33)
	ds_write_b32 v61, v88 offset:3960
	ds_read_b64 v[40:41], v62
	ds_read_b64 v[44:45], v62 offset:32
	ds_read_b64 v[46:47], v62 offset:64
	ds_read_b64 v[48:49], v62 offset:96
	ds_read_b64 v[50:51], v62 offset:128
	ds_read_b64 v[54:55], v62 offset:160
	ds_read_b64 v[64:65], v62 offset:192
	ds_read_b64 v[30:31], v62 offset:224
	s_waitcnt vmcnt(32)
	ds_write_b32 v61, v84
	s_waitcnt vmcnt(31)
	ds_write_b32 v61, v85 offset:264
	s_waitcnt vmcnt(30)
	;; [unrolled: 40-line block ×3, first 2 shown]
	ds_write_b32 v61, v95 offset:528
	s_waitcnt vmcnt(13)
	ds_write_b32 v61, v96 offset:792
	s_waitcnt vmcnt(12)
	ds_write_b32 v61, v97 offset:1056
	s_waitcnt vmcnt(11)
	ds_write_b32 v61, v98 offset:1320
	s_waitcnt vmcnt(10)
	ds_write_b32 v61, v99 offset:1584
	s_waitcnt vmcnt(9)
	ds_write_b32 v61, v100 offset:1848
	s_waitcnt vmcnt(8)
	ds_write_b32 v61, v101 offset:2112
	s_waitcnt vmcnt(7)
	ds_write_b32 v61, v102 offset:2376
	s_waitcnt vmcnt(6)
	ds_write_b32 v61, v103 offset:2640
	s_waitcnt vmcnt(5)
	ds_write_b32 v61, v104 offset:2904
	s_waitcnt vmcnt(4)
	ds_write_b32 v61, v105 offset:3168
	s_waitcnt vmcnt(3)
	ds_write_b32 v61, v106 offset:3432
	s_waitcnt vmcnt(2)
	ds_write_b32 v61, v107 offset:3696
	s_waitcnt vmcnt(1)
	ds_write_b32 v61, v108 offset:3960
	ds_read_b64 v[86:87], v62
	ds_read_b64 v[88:89], v62 offset:32
	ds_read_b64 v[90:91], v62 offset:64
	;; [unrolled: 1-line block ×7, first 2 shown]
	ds_write_b32 v61, v52
	ds_write_b32 v61, v53 offset:264
	s_waitcnt vmcnt(0)
	ds_write_b32 v61, v109 offset:528
	ds_write_b32 v61, v17 offset:792
	ds_write_b32 v61, v17 offset:1056
	ds_write_b32 v61, v17 offset:1320
	ds_write_b32 v61, v17 offset:1584
	ds_write_b32 v61, v17 offset:1848
	ds_write_b32 v61, v17 offset:2112
	ds_write_b32 v61, v17 offset:2376
	ds_write_b32 v61, v17 offset:2640
	ds_write_b32 v61, v17 offset:2904
	ds_write_b32 v61, v17 offset:3168
	ds_write_b32 v61, v17 offset:3432
	ds_write_b32 v61, v17 offset:3696
	ds_write_b32 v61, v17 offset:3960
	ds_read_b64 v[52:53], v62
	s_waitcnt lgkmcnt(0)
	v_mfma_f32_16x16x4_f32 v[12:15], v38, v52, v[12:15]
	v_add_u32_e32 v60, 0x200, v60
	v_cmp_le_i32_e32 vcc, s5, v60
	v_lshl_add_u64 v[24:25], v[24:25], 0, s[12:13]
	v_lshl_add_u64 v[26:27], v[26:27], 0, s[12:13]
	;; [unrolled: 1-line block ×3, first 2 shown]
	s_or_b64 s[8:9], vcc, s[8:9]
	v_lshl_add_u64 v[22:23], v[22:23], 0, s[12:13]
	v_mfma_f32_16x16x4_f32 v[8:11], v40, v52, v[8:11]
	v_mfma_f32_16x16x4_f32 v[4:7], v72, v52, v[4:7]
	;; [unrolled: 1-line block ×4, first 2 shown]
	ds_read_b64 v[38:39], v62 offset:32
	v_mfma_f32_16x16x4_f32 v[8:11], v41, v53, v[8:11]
	v_mfma_f32_16x16x4_f32 v[4:7], v73, v53, v[4:7]
	;; [unrolled: 1-line block ×3, first 2 shown]
	s_waitcnt lgkmcnt(0)
	v_mfma_f32_16x16x4_f32 v[12:15], v42, v38, v[12:15]
	v_mfma_f32_16x16x4_f32 v[8:11], v44, v38, v[8:11]
	v_mfma_f32_16x16x4_f32 v[4:7], v74, v38, v[4:7]
	v_mfma_f32_16x16x4_f32 v[0:3], v88, v38, v[0:3]
	v_mfma_f32_16x16x4_f32 v[12:15], v43, v39, v[12:15]
	v_mfma_f32_16x16x4_f32 v[8:11], v45, v39, v[8:11]
	v_mfma_f32_16x16x4_f32 v[4:7], v75, v39, v[4:7]
	v_mfma_f32_16x16x4_f32 v[0:3], v89, v39, v[0:3]
	ds_read_b64 v[38:39], v62 offset:64
	s_waitcnt lgkmcnt(0)
	v_mfma_f32_16x16x4_f32 v[12:15], v66, v38, v[12:15]
	v_mfma_f32_16x16x4_f32 v[8:11], v46, v38, v[8:11]
	v_mfma_f32_16x16x4_f32 v[4:7], v76, v38, v[4:7]
	v_mfma_f32_16x16x4_f32 v[0:3], v90, v38, v[0:3]
	v_mfma_f32_16x16x4_f32 v[12:15], v67, v39, v[12:15]
	v_mfma_f32_16x16x4_f32 v[8:11], v47, v39, v[8:11]
	v_mfma_f32_16x16x4_f32 v[4:7], v77, v39, v[4:7]
	v_mfma_f32_16x16x4_f32 v[0:3], v91, v39, v[0:3]
	ds_read_b64 v[38:39], v62 offset:96
	;; [unrolled: 10-line block ×4, first 2 shown]
	s_waitcnt lgkmcnt(0)
	v_mfma_f32_16x16x4_f32 v[12:15], v36, v38, v[12:15]
	v_mfma_f32_16x16x4_f32 v[8:11], v54, v38, v[8:11]
	;; [unrolled: 1-line block ×5, first 2 shown]
	ds_read_b64 v[36:37], v62 offset:192
	v_mfma_f32_16x16x4_f32 v[8:11], v55, v39, v[8:11]
	v_mfma_f32_16x16x4_f32 v[4:7], v83, v39, v[4:7]
	v_mfma_f32_16x16x4_f32 v[0:3], v97, v39, v[0:3]
	s_waitcnt lgkmcnt(0)
	v_mfma_f32_16x16x4_f32 v[12:15], v32, v36, v[12:15]
	v_mfma_f32_16x16x4_f32 v[8:11], v64, v36, v[8:11]
	;; [unrolled: 1-line block ×5, first 2 shown]
	ds_read_b64 v[32:33], v62 offset:224
	v_mfma_f32_16x16x4_f32 v[8:11], v65, v37, v[8:11]
	v_mfma_f32_16x16x4_f32 v[4:7], v85, v37, v[4:7]
	;; [unrolled: 1-line block ×3, first 2 shown]
	s_waitcnt lgkmcnt(0)
	v_mfma_f32_16x16x4_f32 v[12:15], v28, v32, v[12:15]
	v_mfma_f32_16x16x4_f32 v[8:11], v30, v32, v[8:11]
	v_mfma_f32_16x16x4_f32 v[4:7], v34, v32, v[4:7]
	v_mfma_f32_16x16x4_f32 v[0:3], v100, v32, v[0:3]
	v_mfma_f32_16x16x4_f32 v[12:15], v29, v33, v[12:15]
	v_mfma_f32_16x16x4_f32 v[8:11], v31, v33, v[8:11]
	v_mfma_f32_16x16x4_f32 v[4:7], v35, v33, v[4:7]
	v_mfma_f32_16x16x4_f32 v[0:3], v101, v33, v[0:3]
	s_andn2_b64 exec, exec, s[8:9]
	s_cbranch_execnz .LBB98_4
; %bb.5:
	s_or_b64 exec, exec, s[8:9]
.LBB98_6:
	s_or_b64 exec, exec, s[24:25]
	v_lshl_add_u32 v17, v58, 2, 0
	v_mul_u32_u24_e32 v18, 0x808, v59
	v_and_b32_e32 v19, 0x3f0, v57
	v_add3_u32 v17, v17, v18, v19
	v_cmp_gt_u32_e32 vcc, 3, v56
	s_waitcnt lgkmcnt(0)
	s_barrier
	ds_write2_b32 v17, v12, v13 offset1:1
	ds_write2_b32 v17, v14, v15 offset0:2 offset1:3
	ds_write2_b32 v17, v8, v9 offset0:16 offset1:17
	ds_write2_b32 v17, v10, v11 offset0:18 offset1:19
	ds_write2_b32 v17, v4, v5 offset0:32 offset1:33
	ds_write2_b32 v17, v6, v7 offset0:34 offset1:35
	ds_write2_b32 v17, v0, v1 offset0:48 offset1:49
	ds_write2_b32 v17, v2, v3 offset0:50 offset1:51
	s_waitcnt lgkmcnt(0)
	s_barrier
	s_and_saveexec_b64 s[0:1], vcc
	s_cbranch_execz .LBB98_8
; %bb.7:
	v_mul_u32_u24_e32 v0, 0x808, v56
	v_add3_u32 v8, 0, v16, v0
	ds_read2st64_b32 v[2:3], v8 offset1:1
	ds_read2st64_b32 v[4:5], v8 offset0:2 offset1:3
	ds_read2st64_b32 v[6:7], v8 offset0:4 offset1:5
	;; [unrolled: 1-line block ×3, first 2 shown]
	s_mul_hi_i32 s1, s15, s4
	s_mul_i32 s0, s15, s4
	s_lshl_b64 s[0:1], s[0:1], 2
	s_waitcnt lgkmcnt(3)
	v_add_f32_e32 v2, 0, v2
	v_add_f32_e32 v2, v2, v3
	s_mul_i32 s4, s11, s3
	s_add_u32 s3, s6, s0
	s_waitcnt lgkmcnt(2)
	v_add_f32_e32 v2, v2, v4
	s_addc_u32 s6, s7, s1
	s_ashr_i32 s5, s4, 31
	v_add_f32_e32 v2, v2, v5
	s_lshl_b64 s[0:1], s[4:5], 2
	s_waitcnt lgkmcnt(1)
	v_add_f32_e32 v2, v2, v6
	s_add_u32 s0, s3, s0
	v_mul_lo_u32 v0, s18, v56
	v_add_f32_e32 v2, v2, v7
	s_addc_u32 s1, s6, s1
	v_add3_u32 v0, s2, v57, v0
	v_mov_b32_e32 v1, 0
	s_waitcnt lgkmcnt(0)
	v_add_f32_e32 v2, v2, v8
	v_add_f32_e32 v2, v2, v9
	v_lshl_add_u64 v[0:1], v[0:1], 2, s[0:1]
	global_store_dword v[0:1], v2, off
.LBB98_8:
	s_endpgm
	.section	.rodata,"a",@progbits
	.p2align	6, 0x0
	.amdhsa_kernel _ZL9mul_mat_fIfLi64ELi3ELi8ELb0EEvPKT_PKfPKiPfiiiiiiiiiiiiiiii
		.amdhsa_group_segment_fixed_size 0
		.amdhsa_private_segment_fixed_size 0
		.amdhsa_kernarg_size 96
		.amdhsa_user_sgpr_count 2
		.amdhsa_user_sgpr_dispatch_ptr 0
		.amdhsa_user_sgpr_queue_ptr 0
		.amdhsa_user_sgpr_kernarg_segment_ptr 1
		.amdhsa_user_sgpr_dispatch_id 0
		.amdhsa_user_sgpr_kernarg_preload_length 0
		.amdhsa_user_sgpr_kernarg_preload_offset 0
		.amdhsa_user_sgpr_private_segment_size 0
		.amdhsa_uses_dynamic_stack 0
		.amdhsa_enable_private_segment 0
		.amdhsa_system_sgpr_workgroup_id_x 1
		.amdhsa_system_sgpr_workgroup_id_y 1
		.amdhsa_system_sgpr_workgroup_id_z 1
		.amdhsa_system_sgpr_workgroup_info 0
		.amdhsa_system_vgpr_workitem_id 1
		.amdhsa_next_free_vgpr 110
		.amdhsa_next_free_sgpr 81
		.amdhsa_accum_offset 112
		.amdhsa_reserve_vcc 1
		.amdhsa_float_round_mode_32 0
		.amdhsa_float_round_mode_16_64 0
		.amdhsa_float_denorm_mode_32 3
		.amdhsa_float_denorm_mode_16_64 3
		.amdhsa_dx10_clamp 1
		.amdhsa_ieee_mode 1
		.amdhsa_fp16_overflow 0
		.amdhsa_tg_split 0
		.amdhsa_exception_fp_ieee_invalid_op 0
		.amdhsa_exception_fp_denorm_src 0
		.amdhsa_exception_fp_ieee_div_zero 0
		.amdhsa_exception_fp_ieee_overflow 0
		.amdhsa_exception_fp_ieee_underflow 0
		.amdhsa_exception_fp_ieee_inexact 0
		.amdhsa_exception_int_div_zero 0
	.end_amdhsa_kernel
	.section	.text._ZL9mul_mat_fIfLi64ELi3ELi8ELb0EEvPKT_PKfPKiPfiiiiiiiiiiiiiiii,"axG",@progbits,_ZL9mul_mat_fIfLi64ELi3ELi8ELb0EEvPKT_PKfPKiPfiiiiiiiiiiiiiiii,comdat
.Lfunc_end98:
	.size	_ZL9mul_mat_fIfLi64ELi3ELi8ELb0EEvPKT_PKfPKiPfiiiiiiiiiiiiiiii, .Lfunc_end98-_ZL9mul_mat_fIfLi64ELi3ELi8ELb0EEvPKT_PKfPKiPfiiiiiiiiiiiiiiii
                                        ; -- End function
	.set _ZL9mul_mat_fIfLi64ELi3ELi8ELb0EEvPKT_PKfPKiPfiiiiiiiiiiiiiiii.num_vgpr, 110
	.set _ZL9mul_mat_fIfLi64ELi3ELi8ELb0EEvPKT_PKfPKiPfiiiiiiiiiiiiiiii.num_agpr, 0
	.set _ZL9mul_mat_fIfLi64ELi3ELi8ELb0EEvPKT_PKfPKiPfiiiiiiiiiiiiiiii.numbered_sgpr, 81
	.set _ZL9mul_mat_fIfLi64ELi3ELi8ELb0EEvPKT_PKfPKiPfiiiiiiiiiiiiiiii.num_named_barrier, 0
	.set _ZL9mul_mat_fIfLi64ELi3ELi8ELb0EEvPKT_PKfPKiPfiiiiiiiiiiiiiiii.private_seg_size, 0
	.set _ZL9mul_mat_fIfLi64ELi3ELi8ELb0EEvPKT_PKfPKiPfiiiiiiiiiiiiiiii.uses_vcc, 1
	.set _ZL9mul_mat_fIfLi64ELi3ELi8ELb0EEvPKT_PKfPKiPfiiiiiiiiiiiiiiii.uses_flat_scratch, 0
	.set _ZL9mul_mat_fIfLi64ELi3ELi8ELb0EEvPKT_PKfPKiPfiiiiiiiiiiiiiiii.has_dyn_sized_stack, 0
	.set _ZL9mul_mat_fIfLi64ELi3ELi8ELb0EEvPKT_PKfPKiPfiiiiiiiiiiiiiiii.has_recursion, 0
	.set _ZL9mul_mat_fIfLi64ELi3ELi8ELb0EEvPKT_PKfPKiPfiiiiiiiiiiiiiiii.has_indirect_call, 0
	.section	.AMDGPU.csdata,"",@progbits
; Kernel info:
; codeLenInByte = 4812
; TotalNumSgprs: 87
; NumVgprs: 110
; NumAgprs: 0
; TotalNumVgprs: 110
; ScratchSize: 0
; MemoryBound: 0
; FloatMode: 240
; IeeeMode: 1
; LDSByteSize: 0 bytes/workgroup (compile time only)
; SGPRBlocks: 10
; VGPRBlocks: 13
; NumSGPRsForWavesPerEU: 87
; NumVGPRsForWavesPerEU: 110
; AccumOffset: 112
; Occupancy: 4
; WaveLimiterHint : 0
; COMPUTE_PGM_RSRC2:SCRATCH_EN: 0
; COMPUTE_PGM_RSRC2:USER_SGPR: 2
; COMPUTE_PGM_RSRC2:TRAP_HANDLER: 0
; COMPUTE_PGM_RSRC2:TGID_X_EN: 1
; COMPUTE_PGM_RSRC2:TGID_Y_EN: 1
; COMPUTE_PGM_RSRC2:TGID_Z_EN: 1
; COMPUTE_PGM_RSRC2:TIDIG_COMP_CNT: 1
; COMPUTE_PGM_RSRC3_GFX90A:ACCUM_OFFSET: 27
; COMPUTE_PGM_RSRC3_GFX90A:TG_SPLIT: 0
	.section	.text._ZL13mul_mat_f_idsI7__half2Li64ELi3ELi1EEvPKT_PKfPKiS7_S7_Pfiiiiiiiiiiiiii15HIP_vector_typeIjLj3EESA_,"axG",@progbits,_ZL13mul_mat_f_idsI7__half2Li64ELi3ELi1EEvPKT_PKfPKiS7_S7_Pfiiiiiiiiiiiiii15HIP_vector_typeIjLj3EESA_,comdat
	.globl	_ZL13mul_mat_f_idsI7__half2Li64ELi3ELi1EEvPKT_PKfPKiS7_S7_Pfiiiiiiiiiiiiii15HIP_vector_typeIjLj3EESA_ ; -- Begin function _ZL13mul_mat_f_idsI7__half2Li64ELi3ELi1EEvPKT_PKfPKiS7_S7_Pfiiiiiiiiiiiiii15HIP_vector_typeIjLj3EESA_
	.p2align	8
	.type	_ZL13mul_mat_f_idsI7__half2Li64ELi3ELi1EEvPKT_PKfPKiS7_S7_Pfiiiiiiiiiiiiii15HIP_vector_typeIjLj3EESA_,@function
_ZL13mul_mat_f_idsI7__half2Li64ELi3ELi1EEvPKT_PKfPKiS7_S7_Pfiiiiiiiiiiiiii15HIP_vector_typeIjLj3EESA_: ; @_ZL13mul_mat_f_idsI7__half2Li64ELi3ELi1EEvPKT_PKfPKiS7_S7_Pfiiiiiiiiiiiiii15HIP_vector_typeIjLj3EESA_
; %bb.0:
	s_load_dwordx2 s[6:7], s[0:1], 0x20
	s_mov_b32 s34, s3
	s_ashr_i32 s35, s3, 31
	s_lshl_b64 s[8:9], s[34:35], 2
	s_waitcnt lgkmcnt(0)
	s_add_u32 s6, s6, s8
	s_addc_u32 s7, s7, s9
	s_load_dwordx2 s[26:27], s[6:7], 0x0
	s_waitcnt lgkmcnt(0)
	s_sub_i32 s33, s27, s26
	s_add_i32 s3, s33, 2
	s_mul_hi_i32 s3, s3, 0x55555556
	s_lshr_b32 s5, s3, 31
	s_add_i32 s3, s3, s5
	s_cmp_ge_i32 s4, s3
	s_cbranch_scc1 .LBB99_25
; %bb.1:
	v_bfe_u32 v2, v0, 10, 10
	v_lshlrev_b32_e32 v70, 6, v2
	v_and_b32_e32 v3, 0x3ff, v0
	s_load_dwordx4 s[12:15], s[0:1], 0x30
	s_load_dwordx2 s[20:21], s[0:1], 0x40
	s_load_dwordx4 s[8:11], s[0:1], 0x4c
	s_load_dwordx4 s[16:19], s[0:1], 0x68
	s_load_dwordx2 s[24:25], s[0:1], 0x78
	v_or_b32_e32 v72, v70, v3
	s_ashr_i32 s27, s26, 31
	s_waitcnt lgkmcnt(0)
	v_cmp_le_i32_e32 vcc, s12, v72
	v_and_b32_e32 v0, 15, v3
                                        ; implicit-def: $vgpr71
	s_and_saveexec_b64 s[6:7], vcc
	s_xor_b64 s[6:7], exec, s[6:7]
; %bb.2:
	v_mul_u32_u24_e32 v71, 0x108, v0
                                        ; implicit-def: $vgpr72
                                        ; implicit-def: $vgpr0
; %bb.3:
	s_or_saveexec_b64 s[30:31], s[6:7]
	s_load_dwordx2 s[28:29], s[0:1], 0x18
	s_load_dwordx2 s[6:7], s[0:1], 0x28
                                        ; implicit-def: $vgpr82 : SGPR spill to VGPR lane
	s_lshl_b32 s3, s2, 6
	s_mul_i32 s2, s4, 3
	v_mov_b32_e32 v1, 0
	v_accvgpr_write_b32 a4, 0
	s_waitcnt lgkmcnt(0)
	v_writelane_b32 v82, s6, 0
	v_accvgpr_write_b32 a5, 0
	v_accvgpr_write_b32 a6, 0
	v_accvgpr_write_b32 a7, 0
	v_accvgpr_write_b32 a0, 0
	v_accvgpr_write_b32 a1, 0
	v_accvgpr_write_b32 a2, 0
	v_accvgpr_write_b32 a3, 0
	v_accvgpr_write_b32 a8, 0
	v_accvgpr_write_b32 a9, 0
	v_accvgpr_write_b32 a10, 0
	v_accvgpr_write_b32 a11, 0
	v_accvgpr_write_b32 a12, 0
	v_accvgpr_write_b32 a13, 0
	v_accvgpr_write_b32 a14, 0
	v_accvgpr_write_b32 a15, 0
	v_writelane_b32 v82, s7, 1
	s_xor_b64 exec, exec, s[30:31]
	s_cbranch_execz .LBB99_16
; %bb.4:
	s_load_dwordx4 s[4:7], s[0:1], 0x0
	s_load_dwordx2 s[22:23], s[0:1], 0x10
	s_mul_i32 s0, s8, s34
	s_ashr_i32 s1, s0, 31
	v_writelane_b32 v82, s24, 2
	s_lshl_b64 s[44:45], s[0:1], 2
	s_waitcnt lgkmcnt(0)
	s_add_u32 s0, s4, s44
	v_writelane_b32 v82, s25, 3
	s_mul_i32 s24, s15, s3
	s_addc_u32 s1, s5, s45
	s_ashr_i32 s25, s24, 31
	s_lshl_b64 s[46:47], s[24:25], 2
	s_add_u32 s0, s0, s46
	s_addc_u32 s1, s1, s47
	s_lshl_b64 s[24:25], s[26:27], 2
	s_add_u32 s8, s22, s24
	s_addc_u32 s11, s23, s25
	v_writelane_b32 v82, s3, 4
	s_movk_i32 s3, 0x1080
	s_cmp_lt_i32 s2, s33
	v_mad_u32_u24 v5, v2, s3, 0
	s_cselect_b64 s[34:35], -1, 0
	s_ashr_i32 s3, s2, 31
	s_lshl_b64 s[22:23], s[2:3], 2
	s_add_u32 s36, s8, s22
	s_addc_u32 s37, s11, s23
	s_add_i32 s3, s2, 1
	s_cmp_lt_i32 s3, s33
	s_cselect_b64 s[38:39], -1, 0
	s_add_i32 s3, s2, 2
	s_cmp_lt_i32 s3, s33
	s_cselect_b64 s[40:41], -1, 0
	s_ashr_i32 s23, s15, 31
	s_mov_b32 s22, s15
	v_mul_u32_u24_e32 v71, 0x108, v0
	v_lshrrev_b32_e32 v0, 1, v3
	s_add_i32 s3, s15, s15
	s_lshl_b32 s48, s15, 2
	s_lshl_b32 s52, s15, 3
	;; [unrolled: 1-line block ×4, first 2 shown]
	s_lshl_b64 s[42:43], s[22:23], 2
	v_and_b32_e32 v0, 0x1f8, v0
	s_add_u32 s22, s44, s46
	v_lshlrev_b32_e32 v4, 2, v3
	v_add3_u32 v74, v5, v71, v0
	s_addc_u32 s23, s45, s47
	v_lshlrev_b32_e32 v0, 8, v2
	v_add_u32_e32 v73, v5, v4
	v_lshl_add_u64 v[6:7], s[22:23], 0, v[0:1]
	v_mov_b32_e32 v5, v1
	v_lshl_add_u64 v[4:5], v[6:7], 0, v[4:5]
	s_mul_i32 s8, s15, 3
	s_mul_i32 s49, s15, 5
	;; [unrolled: 1-line block ×43, first 2 shown]
	v_accvgpr_write_b32 a15, 0
	v_accvgpr_write_b32 a14, 0
	;; [unrolled: 1-line block ×16, first 2 shown]
	v_lshl_add_u64 v[4:5], s[4:5], 0, v[4:5]
	s_mul_i32 s90, s15, 50
	s_mul_i32 s91, s15, 51
	;; [unrolled: 1-line block ×14, first 2 shown]
	s_mov_b32 s22, 0x5040100
	s_mov_b64 s[4:5], 0
	s_branch .LBB99_6
.LBB99_5:                               ;   in Loop: Header=BB99_6 Depth=1
	v_perm_b32 v0, v0, v75, s22
	v_perm_b32 v75, v77, v78, s22
	ds_write2_b32 v73, v0, v75 offset1:66
	v_perm_b32 v0, v79, v76, s22
	ds_write2_b32 v73, v0, v1 offset0:132 offset1:198
	v_add_u32_e32 v0, 0x400, v73
	ds_write2_b32 v0, v1, v1 offset0:8 offset1:74
	ds_write2_b32 v0, v1, v1 offset0:140 offset1:206
	v_add_u32_e32 v0, 0x800, v73
	ds_write2_b32 v0, v1, v1 offset0:16 offset1:82
	;; [unrolled: 3-line block ×3, first 2 shown]
	ds_write2_b32 v0, v1, v1 offset0:156 offset1:222
	ds_read2_b64 v[76:79], v74 offset1:4
	s_waitcnt lgkmcnt(0)
	v_mfma_f32_16x16x16_f16 a[4:7], v[12:13], v[76:77], a[4:7]
	v_add_u32_e32 v72, 64, v72
	s_mov_b64 vcc, 0x100
	v_lshl_add_u64 v[4:5], v[4:5], 0, vcc
	v_mfma_f32_16x16x16_f16 a[0:3], v[38:39], v[76:77], a[0:3]
	v_cmp_le_i32_e32 vcc, s12, v72
	s_or_b64 s[4:5], vcc, s[4:5]
	v_mfma_f32_16x16x16_f16 a[8:11], v[52:53], v[76:77], a[8:11]
	v_mfma_f32_16x16x16_f16 a[12:15], v[68:69], v[76:77], a[12:15]
	;; [unrolled: 1-line block ×3, first 2 shown]
	ds_read2_b64 v[10:13], v74 offset0:8 offset1:12
	v_mfma_f32_16x16x16_f16 a[0:3], v[36:37], v[78:79], a[0:3]
	v_mfma_f32_16x16x16_f16 a[8:11], v[50:51], v[78:79], a[8:11]
	;; [unrolled: 1-line block ×3, first 2 shown]
	s_waitcnt lgkmcnt(0)
	v_mfma_f32_16x16x16_f16 a[4:7], v[8:9], v[10:11], a[4:7]
	v_mfma_f32_16x16x16_f16 a[0:3], v[32:33], v[10:11], a[0:3]
	;; [unrolled: 1-line block ×5, first 2 shown]
	ds_read2_b64 v[6:9], v74 offset0:16 offset1:20
	v_mfma_f32_16x16x16_f16 a[0:3], v[30:31], v[12:13], a[0:3]
	v_mfma_f32_16x16x16_f16 a[8:11], v[46:47], v[12:13], a[8:11]
	;; [unrolled: 1-line block ×3, first 2 shown]
	s_waitcnt lgkmcnt(0)
	v_mfma_f32_16x16x16_f16 a[4:7], v[20:21], v[6:7], a[4:7]
	v_mfma_f32_16x16x16_f16 a[0:3], v[28:29], v[6:7], a[0:3]
	;; [unrolled: 1-line block ×8, first 2 shown]
	ds_read2_b64 v[6:9], v74 offset0:24 offset1:28
	s_waitcnt lgkmcnt(0)
	v_mfma_f32_16x16x16_f16 a[4:7], v[16:17], v[6:7], a[4:7]
	v_mfma_f32_16x16x16_f16 a[0:3], v[24:25], v[6:7], a[0:3]
	;; [unrolled: 1-line block ×8, first 2 shown]
	s_andn2_b64 exec, exec, s[4:5]
	s_cbranch_execz .LBB99_15
.LBB99_6:                               ; =>This Inner Loop Header: Depth=1
	v_lshl_add_u64 v[6:7], v[4:5], 0, s[42:43]
	global_load_dword v0, v[4:5], off
	global_load_dword v22, v[6:7], off
	v_add_u32_e32 v6, s3, v72
	v_add_u32_e32 v10, s48, v72
	v_add_u32_e32 v12, s49, v72
	v_add_u32_e32 v18, s52, v72
	v_ashrrev_i32_e32 v7, 31, v6
	v_add_u32_e32 v8, s8, v72
	v_ashrrev_i32_e32 v11, 31, v10
	v_ashrrev_i32_e32 v13, 31, v12
	v_add_u32_e32 v14, s50, v72
	v_add_u32_e32 v16, s51, v72
	v_ashrrev_i32_e32 v19, 31, v18
	v_add_u32_e32 v20, s53, v72
	v_lshl_add_u64 v[6:7], v[6:7], 2, s[0:1]
	v_ashrrev_i32_e32 v9, 31, v8
	v_lshl_add_u64 v[10:11], v[10:11], 2, s[0:1]
	v_lshl_add_u64 v[12:13], v[12:13], 2, s[0:1]
	v_ashrrev_i32_e32 v15, 31, v14
	v_ashrrev_i32_e32 v17, 31, v16
	v_lshl_add_u64 v[18:19], v[18:19], 2, s[0:1]
	v_ashrrev_i32_e32 v21, 31, v20
	v_lshl_add_u64 v[8:9], v[8:9], 2, s[0:1]
	v_lshl_add_u64 v[14:15], v[14:15], 2, s[0:1]
	;; [unrolled: 1-line block ×4, first 2 shown]
	global_load_dword v23, v[6:7], off
	global_load_dword v24, v[8:9], off
	;; [unrolled: 1-line block ×6, first 2 shown]
	s_nop 0
	global_load_dword v18, v[18:19], off
	s_nop 0
	global_load_dword v19, v[20:21], off
	v_add_u32_e32 v6, s54, v72
	v_add_u32_e32 v10, s56, v72
	;; [unrolled: 1-line block ×3, first 2 shown]
	v_ashrrev_i32_e32 v7, 31, v6
	v_add_u32_e32 v8, s55, v72
	v_ashrrev_i32_e32 v11, 31, v10
	v_ashrrev_i32_e32 v13, 31, v12
	v_add_u32_e32 v14, s58, v72
	v_add_u32_e32 v16, s59, v72
	v_lshl_add_u64 v[6:7], v[6:7], 2, s[0:1]
	v_ashrrev_i32_e32 v9, 31, v8
	v_lshl_add_u64 v[10:11], v[10:11], 2, s[0:1]
	v_lshl_add_u64 v[12:13], v[12:13], 2, s[0:1]
	v_ashrrev_i32_e32 v15, 31, v14
	v_ashrrev_i32_e32 v17, 31, v16
	v_lshl_add_u64 v[8:9], v[8:9], 2, s[0:1]
	v_lshl_add_u64 v[14:15], v[14:15], 2, s[0:1]
	;; [unrolled: 1-line block ×3, first 2 shown]
	global_load_dword v20, v[6:7], off
	global_load_dword v21, v[8:9], off
	s_nop 0
	global_load_dword v10, v[10:11], off
	s_nop 0
	global_load_dword v11, v[12:13], off
	s_nop 0
	global_load_dword v12, v[14:15], off
	global_load_dword v13, v[16:17], off
	v_add_u32_e32 v6, s60, v72
	v_add_u32_e32 v8, s61, v72
	v_ashrrev_i32_e32 v7, 31, v6
	v_ashrrev_i32_e32 v9, 31, v8
	v_lshl_add_u64 v[6:7], v[6:7], 2, s[0:1]
	v_add_u32_e32 v14, s62, v72
	v_lshl_add_u64 v[8:9], v[8:9], 2, s[0:1]
	global_load_dword v30, v[6:7], off
	global_load_dword v31, v[8:9], off
	v_ashrrev_i32_e32 v15, 31, v14
	v_add_u32_e32 v16, s63, v72
	v_lshl_add_u64 v[14:15], v[14:15], 2, s[0:1]
	v_ashrrev_i32_e32 v17, 31, v16
	v_lshl_add_u64 v[16:17], v[16:17], 2, s[0:1]
	s_andn2_b64 vcc, exec, s[34:35]
	s_waitcnt vmcnt(17)
	ds_write_b32 v73, v0
	s_waitcnt vmcnt(16)
	ds_write_b32 v73, v22 offset:264
	s_waitcnt vmcnt(15)
	ds_write_b32 v73, v23 offset:528
	;; [unrolled: 2-line block ×15, first 2 shown]
	v_add_u32_e32 v18, s64, v72
	v_add_u32_e32 v20, s65, v72
	;; [unrolled: 1-line block ×6, first 2 shown]
	v_ashrrev_i32_e32 v19, 31, v18
	v_ashrrev_i32_e32 v21, 31, v20
	v_ashrrev_i32_e32 v23, 31, v22
	v_ashrrev_i32_e32 v25, 31, v24
	v_ashrrev_i32_e32 v27, 31, v26
	v_ashrrev_i32_e32 v29, 31, v28
	ds_read_b64 v[12:13], v74
	ds_read_b64 v[10:11], v74 offset:32
	ds_read_b64 v[8:9], v74 offset:64
	;; [unrolled: 1-line block ×3, first 2 shown]
	v_lshl_add_u64 v[18:19], v[18:19], 2, s[0:1]
	v_lshl_add_u64 v[20:21], v[20:21], 2, s[0:1]
	v_lshl_add_u64 v[22:23], v[22:23], 2, s[0:1]
	v_lshl_add_u64 v[24:25], v[24:25], 2, s[0:1]
	v_lshl_add_u64 v[26:27], v[26:27], 2, s[0:1]
	v_lshl_add_u64 v[28:29], v[28:29], 2, s[0:1]
	global_load_dword v0, v[14:15], off
	global_load_dword v32, v[16:17], off
	global_load_dword v33, v[18:19], off
	global_load_dword v34, v[20:21], off
	global_load_dword v35, v[22:23], off
	global_load_dword v36, v[24:25], off
	global_load_dword v37, v[26:27], off
	global_load_dword v38, v[28:29], off
	v_add_u32_e32 v14, s70, v72
	v_ashrrev_i32_e32 v15, 31, v14
	v_add_u32_e32 v16, s71, v72
	v_add_u32_e32 v18, s72, v72
	v_add_u32_e32 v20, s73, v72
	v_add_u32_e32 v22, s74, v72
	v_add_u32_e32 v24, s75, v72
	v_add_u32_e32 v26, s76, v72
	v_add_u32_e32 v28, s77, v72
	v_lshl_add_u64 v[14:15], v[14:15], 2, s[0:1]
	v_ashrrev_i32_e32 v17, 31, v16
	v_ashrrev_i32_e32 v19, 31, v18
	v_ashrrev_i32_e32 v21, 31, v20
	v_ashrrev_i32_e32 v23, 31, v22
	v_ashrrev_i32_e32 v25, 31, v24
	v_ashrrev_i32_e32 v27, 31, v26
	v_ashrrev_i32_e32 v29, 31, v28
	v_lshl_add_u64 v[16:17], v[16:17], 2, s[0:1]
	v_lshl_add_u64 v[18:19], v[18:19], 2, s[0:1]
	v_lshl_add_u64 v[20:21], v[20:21], 2, s[0:1]
	v_lshl_add_u64 v[22:23], v[22:23], 2, s[0:1]
	v_lshl_add_u64 v[24:25], v[24:25], 2, s[0:1]
	v_lshl_add_u64 v[26:27], v[26:27], 2, s[0:1]
	v_lshl_add_u64 v[28:29], v[28:29], 2, s[0:1]
	global_load_dword v39, v[14:15], off
	global_load_dword v40, v[16:17], off
	global_load_dword v41, v[18:19], off
	global_load_dword v42, v[20:21], off
	global_load_dword v43, v[22:23], off
	global_load_dword v44, v[24:25], off
	global_load_dword v45, v[26:27], off
	global_load_dword v46, v[28:29], off
	v_add_u32_e32 v14, s78, v72
	v_ashrrev_i32_e32 v15, 31, v14
	v_add_u32_e32 v16, s79, v72
	v_add_u32_e32 v18, s80, v72
	v_add_u32_e32 v20, s81, v72
	v_add_u32_e32 v22, s82, v72
	v_add_u32_e32 v24, s83, v72
	v_add_u32_e32 v26, s84, v72
	v_add_u32_e32 v28, s85, v72
	v_lshl_add_u64 v[14:15], v[14:15], 2, s[0:1]
	v_ashrrev_i32_e32 v17, 31, v16
	v_ashrrev_i32_e32 v19, 31, v18
	v_ashrrev_i32_e32 v21, 31, v20
	v_ashrrev_i32_e32 v23, 31, v22
	v_ashrrev_i32_e32 v25, 31, v24
	v_ashrrev_i32_e32 v27, 31, v26
	v_ashrrev_i32_e32 v29, 31, v28
	v_lshl_add_u64 v[16:17], v[16:17], 2, s[0:1]
	;; [unrolled: 32-line block ×4, first 2 shown]
	v_lshl_add_u64 v[18:19], v[18:19], 2, s[0:1]
	v_lshl_add_u64 v[20:21], v[20:21], 2, s[0:1]
	;; [unrolled: 1-line block ×6, first 2 shown]
	global_load_dword v63, v[14:15], off
	global_load_dword v64, v[16:17], off
	;; [unrolled: 1-line block ×8, first 2 shown]
	v_add_u32_e32 v14, s98, v72
	v_ashrrev_i32_e32 v15, 31, v14
	v_add_u32_e32 v16, s99, v72
	v_add_u32_e32 v18, s24, v72
	;; [unrolled: 1-line block ×5, first 2 shown]
	v_lshl_add_u64 v[14:15], v[14:15], 2, s[0:1]
	v_ashrrev_i32_e32 v17, 31, v16
	v_ashrrev_i32_e32 v19, 31, v18
	;; [unrolled: 1-line block ×5, first 2 shown]
	v_lshl_add_u64 v[16:17], v[16:17], 2, s[0:1]
	v_lshl_add_u64 v[18:19], v[18:19], 2, s[0:1]
	;; [unrolled: 1-line block ×5, first 2 shown]
	global_load_dword v76, v[14:15], off
	global_load_dword v77, v[16:17], off
	;; [unrolled: 1-line block ×6, first 2 shown]
	ds_read_b64 v[20:21], v74 offset:128
	ds_read_b64 v[18:19], v74 offset:160
	ds_read_b64 v[16:17], v74 offset:192
	ds_read_b64 v[14:15], v74 offset:224
	s_waitcnt vmcnt(47)
	ds_write_b32 v73, v30
	s_waitcnt vmcnt(46)
	ds_write_b32 v73, v31 offset:264
	s_waitcnt vmcnt(45)
	ds_write_b32 v73, v0 offset:528
	s_waitcnt vmcnt(44)
	ds_write_b32 v73, v32 offset:792
	s_waitcnt vmcnt(43)
	ds_write_b32 v73, v33 offset:1056
	s_waitcnt vmcnt(42)
	ds_write_b32 v73, v34 offset:1320
	s_waitcnt vmcnt(41)
	ds_write_b32 v73, v35 offset:1584
	s_waitcnt vmcnt(40)
	ds_write_b32 v73, v36 offset:1848
	s_waitcnt vmcnt(39)
	ds_write_b32 v73, v37 offset:2112
	s_waitcnt vmcnt(38)
	ds_write_b32 v73, v38 offset:2376
	s_waitcnt vmcnt(37)
	ds_write_b32 v73, v39 offset:2640
	s_waitcnt vmcnt(36)
	ds_write_b32 v73, v40 offset:2904
	s_waitcnt vmcnt(35)
	ds_write_b32 v73, v41 offset:3168
	s_waitcnt vmcnt(34)
	ds_write_b32 v73, v42 offset:3432
	s_waitcnt vmcnt(33)
	ds_write_b32 v73, v43 offset:3696
	s_waitcnt vmcnt(32)
	ds_write_b32 v73, v44 offset:3960
	ds_read_b64 v[38:39], v74
	ds_read_b64 v[36:37], v74 offset:32
	ds_read_b64 v[32:33], v74 offset:64
	ds_read_b64 v[30:31], v74 offset:96
	ds_read_b64 v[28:29], v74 offset:128
	ds_read_b64 v[26:27], v74 offset:160
	ds_read_b64 v[24:25], v74 offset:192
	ds_read_b64 v[22:23], v74 offset:224
	s_waitcnt vmcnt(31)
	ds_write_b32 v73, v45
	s_waitcnt vmcnt(30)
	ds_write_b32 v73, v46 offset:264
	s_waitcnt vmcnt(29)
	ds_write_b32 v73, v47 offset:528
	s_waitcnt vmcnt(28)
	ds_write_b32 v73, v48 offset:792
	s_waitcnt vmcnt(27)
	ds_write_b32 v73, v49 offset:1056
	s_waitcnt vmcnt(26)
	ds_write_b32 v73, v50 offset:1320
	s_waitcnt vmcnt(25)
	ds_write_b32 v73, v51 offset:1584
	s_waitcnt vmcnt(24)
	ds_write_b32 v73, v52 offset:1848
	s_waitcnt vmcnt(23)
	ds_write_b32 v73, v53 offset:2112
	s_waitcnt vmcnt(22)
	ds_write_b32 v73, v54 offset:2376
	s_waitcnt vmcnt(21)
	ds_write_b32 v73, v55 offset:2640
	s_waitcnt vmcnt(20)
	ds_write_b32 v73, v56 offset:2904
	s_waitcnt vmcnt(19)
	ds_write_b32 v73, v57 offset:3168
	s_waitcnt vmcnt(18)
	ds_write_b32 v73, v58 offset:3432
	s_waitcnt vmcnt(17)
	ds_write_b32 v73, v59 offset:3696
	s_waitcnt vmcnt(16)
	ds_write_b32 v73, v60 offset:3960
	ds_read_b64 v[52:53], v74
	ds_read_b64 v[50:51], v74 offset:32
	ds_read_b64 v[48:49], v74 offset:64
	ds_read_b64 v[46:47], v74 offset:96
	ds_read_b64 v[44:45], v74 offset:128
	ds_read_b64 v[42:43], v74 offset:160
	ds_read_b64 v[40:41], v74 offset:192
	ds_read_b64 v[34:35], v74 offset:224
	s_waitcnt vmcnt(15)
	ds_write_b32 v73, v61
	s_waitcnt vmcnt(14)
	ds_write_b32 v73, v62 offset:264
	s_waitcnt vmcnt(13)
	ds_write_b32 v73, v63 offset:528
	s_waitcnt vmcnt(12)
	ds_write_b32 v73, v64 offset:792
	s_waitcnt vmcnt(11)
	ds_write_b32 v73, v65 offset:1056
	s_waitcnt vmcnt(10)
	ds_write_b32 v73, v66 offset:1320
	s_waitcnt vmcnt(9)
	ds_write_b32 v73, v67 offset:1584
	s_waitcnt vmcnt(8)
	ds_write_b32 v73, v68 offset:1848
	s_waitcnt vmcnt(7)
	ds_write_b32 v73, v69 offset:2112
	s_waitcnt vmcnt(6)
	ds_write_b32 v73, v75 offset:2376
	s_waitcnt vmcnt(5)
	ds_write_b32 v73, v76 offset:2640
	s_waitcnt vmcnt(4)
	ds_write_b32 v73, v77 offset:2904
	s_waitcnt vmcnt(3)
	ds_write_b32 v73, v78 offset:3168
	s_waitcnt vmcnt(2)
	ds_write_b32 v73, v79 offset:3432
	s_waitcnt vmcnt(1)
	ds_write_b32 v73, v80 offset:3696
	s_waitcnt vmcnt(0)
	ds_write_b32 v73, v81 offset:3960
	ds_read_b64 v[68:69], v74
	ds_read_b64 v[66:67], v74 offset:32
	ds_read_b64 v[62:63], v74 offset:64
	ds_read_b64 v[58:59], v74 offset:96
	ds_read_b64 v[64:65], v74 offset:128
	ds_read_b64 v[60:61], v74 offset:160
	;; [unrolled: 1-line block ×4, first 2 shown]
	v_mov_b32_e32 v75, 0
	v_mov_b32_e32 v0, 0
	s_cbranch_vccnz .LBB99_9
; %bb.7:                                ;   in Loop: Header=BB99_6 Depth=1
	s_load_dword s23, s[36:37], 0x0
	v_mov_b32_e32 v0, 0
	v_mov_b32_e32 v75, 0
	s_waitcnt lgkmcnt(0)
	s_mul_hi_u32 vcc_lo, s23, s16
	s_add_i32 vcc_lo, s23, vcc_lo
	s_lshr_b32 vcc_lo, vcc_lo, s17
	s_cmp_ge_i32 vcc_lo, s13
	s_cbranch_scc1 .LBB99_9
; %bb.8:                                ;   in Loop: Header=BB99_6 Depth=1
	s_mul_i32 vcc_hi, vcc_lo, s18
	s_sub_i32 s23, s23, vcc_hi
	s_mul_i32 vcc_lo, vcc_lo, s20
	s_mul_i32 s23, s23, s9
	v_add_u32_e32 v0, vcc_lo, v72
	v_lshl_add_u32 v76, v0, 1, s23
	v_ashrrev_i32_e32 v77, 31, v76
	v_lshl_add_u64 v[76:77], v[76:77], 2, s[6:7]
	global_load_dwordx2 v[76:77], v[76:77], off
	s_waitcnt vmcnt(0)
	v_cvt_f16_f32_e32 v75, v76
	v_cvt_f16_f32_e32 v0, v77
.LBB99_9:                               ;   in Loop: Header=BB99_6 Depth=1
	v_mov_b32_e32 v76, 0
	s_andn2_b64 vcc, exec, s[38:39]
	v_mov_b32_e32 v78, 0
	v_mov_b32_e32 v77, 0
	s_cbranch_vccnz .LBB99_12
; %bb.10:                               ;   in Loop: Header=BB99_6 Depth=1
	s_load_dword s23, s[36:37], 0x4
	v_mov_b32_e32 v77, 0
	v_mov_b32_e32 v78, 0
	s_waitcnt lgkmcnt(0)
	s_mul_hi_u32 vcc_lo, s23, s16
	s_add_i32 vcc_lo, s23, vcc_lo
	s_lshr_b32 vcc_lo, vcc_lo, s17
	s_cmp_ge_i32 vcc_lo, s13
	s_cbranch_scc1 .LBB99_12
; %bb.11:                               ;   in Loop: Header=BB99_6 Depth=1
	s_mul_i32 vcc_hi, vcc_lo, s18
	s_sub_i32 s23, s23, vcc_hi
	s_mul_i32 vcc_lo, vcc_lo, s20
	s_mul_i32 s23, s23, s9
	v_add_u32_e32 v77, vcc_lo, v72
	v_lshl_add_u32 v78, v77, 1, s23
	v_ashrrev_i32_e32 v79, 31, v78
	v_lshl_add_u64 v[78:79], v[78:79], 2, s[6:7]
	global_load_dwordx2 v[78:79], v[78:79], off
	s_waitcnt vmcnt(0)
	v_cvt_f16_f32_e32 v78, v78
	v_cvt_f16_f32_e32 v77, v79
.LBB99_12:                              ;   in Loop: Header=BB99_6 Depth=1
	s_andn2_b64 vcc, exec, s[40:41]
	v_mov_b32_e32 v79, 0
	s_cbranch_vccnz .LBB99_5
; %bb.13:                               ;   in Loop: Header=BB99_6 Depth=1
	s_load_dword s23, s[36:37], 0x8
	v_mov_b32_e32 v79, 0
	v_mov_b32_e32 v76, 0
	s_waitcnt lgkmcnt(0)
	s_mul_hi_u32 vcc_lo, s23, s16
	s_add_i32 vcc_lo, s23, vcc_lo
	s_lshr_b32 vcc_lo, vcc_lo, s17
	s_cmp_ge_i32 vcc_lo, s13
	s_cbranch_scc1 .LBB99_5
; %bb.14:                               ;   in Loop: Header=BB99_6 Depth=1
	s_mul_i32 vcc_hi, vcc_lo, s18
	s_sub_i32 s23, s23, vcc_hi
	s_mul_i32 vcc_lo, vcc_lo, s20
	s_mul_i32 s23, s23, s9
	v_add_u32_e32 v76, vcc_lo, v72
	v_lshl_add_u32 v80, v76, 1, s23
	v_ashrrev_i32_e32 v81, 31, v80
	v_lshl_add_u64 v[80:81], v[80:81], 2, s[6:7]
	global_load_dwordx2 v[80:81], v[80:81], off
	s_waitcnt vmcnt(0)
	v_cvt_f16_f32_e32 v76, v80
	v_cvt_f16_f32_e32 v79, v81
	s_branch .LBB99_5
.LBB99_15:
	s_or_b64 exec, exec, s[4:5]
	v_readlane_b32 s24, v82, 2
	v_readlane_b32 s25, v82, 3
	;; [unrolled: 1-line block ×3, first 2 shown]
.LBB99_16:
	s_or_b64 exec, exec, s[30:31]
	v_lshl_add_u32 v0, v70, 2, 0
	v_and_b32_e32 v1, 0x3f0, v3
	v_add3_u32 v0, v0, v71, v1
	v_accvgpr_read_b32 v1, a5
	v_accvgpr_read_b32 v4, a4
	ds_write2_b32 v0, v4, v1 offset1:1
	v_accvgpr_read_b32 v1, a7
	v_accvgpr_read_b32 v4, a6
	ds_write2_b32 v0, v4, v1 offset0:2 offset1:3
	v_accvgpr_read_b32 v1, a1
	v_accvgpr_read_b32 v4, a0
	ds_write2_b32 v0, v4, v1 offset0:16 offset1:17
	;; [unrolled: 3-line block ×3, first 2 shown]
	v_accvgpr_read_b32 v1, a9
	v_accvgpr_read_b32 v4, a8
	s_lshl_b64 s[0:1], s[26:27], 2
	ds_write2_b32 v0, v4, v1 offset0:32 offset1:33
	v_accvgpr_read_b32 v1, a11
	v_accvgpr_read_b32 v4, a10
	s_add_u32 s4, s28, s0
	ds_write2_b32 v0, v4, v1 offset0:34 offset1:35
	v_accvgpr_read_b32 v1, a13
	v_accvgpr_read_b32 v4, a12
	s_addc_u32 s5, s29, s1
	ds_write2_b32 v0, v4, v1 offset0:48 offset1:49
	v_accvgpr_read_b32 v1, a15
	v_accvgpr_read_b32 v4, a14
	ds_write2_b32 v0, v4, v1 offset0:50 offset1:51
	s_cmp_gt_i32 s14, 0
	v_add_u32_e32 v0, s2, v2
	s_cselect_b64 s[6:7], -1, 0
	v_cmp_gt_i32_e64 s[0:1], s33, v0
	v_cmp_gt_u32_e32 vcc, 3, v2
	s_and_b64 s[0:1], s[6:7], s[0:1]
	v_lshl_add_u32 v5, v3, 2, 0
	v_add_u32_e32 v4, s3, v3
	v_mul_u32_u24_e32 v6, 0x108, v2
	s_and_b64 s[8:9], vcc, s[0:1]
	s_and_saveexec_b64 s[0:1], s[8:9]
	s_cbranch_execz .LBB99_19
; %bb.17:
	v_ashrrev_i32_e32 v1, 31, v0
	v_lshl_add_u64 v[8:9], v[0:1], 2, s[4:5]
	global_load_dword v1, v[8:9], off
	s_waitcnt vmcnt(0)
	v_mul_hi_u32 v3, v1, s19
	v_add_u32_e32 v3, v1, v3
	v_lshrrev_b32_e32 v3, s24, v3
	v_cmp_gt_i32_e32 vcc, s13, v3
	s_and_b64 exec, exec, vcc
	s_cbranch_execz .LBB99_19
; %bb.18:
	v_add_u32_e32 v7, v5, v6
	ds_read_b32 v7, v7
	v_mul_lo_u32 v8, v3, s25
	v_sub_u32_e32 v1, v1, v8
	v_mul_lo_u32 v3, v3, s21
	v_mul_lo_u32 v1, v1, s10
	v_readlane_b32 s8, v82, 0
	v_add3_u32 v8, v4, v3, v1
	v_mov_b32_e32 v9, 0
	v_readlane_b32 s9, v82, 1
	s_waitcnt lgkmcnt(0)
	v_add_f32_e32 v7, 0, v7
	v_lshl_add_u64 v[8:9], v[8:9], 2, s[8:9]
	global_store_dword v[8:9], v7, off
.LBB99_19:
	s_or_b64 exec, exec, s[0:1]
	v_add_u32_e32 v1, 1, v0
	v_cmp_gt_i32_e64 s[0:1], s33, v1
	v_cmp_gt_u32_e32 vcc, 2, v2
	s_and_b64 s[0:1], s[6:7], s[0:1]
	s_and_b64 s[8:9], vcc, s[0:1]
	s_and_saveexec_b64 s[0:1], s[8:9]
	s_cbranch_execz .LBB99_22
; %bb.20:
	s_ashr_i32 s3, s2, 31
	v_mov_b32_e32 v3, 0
	v_lshl_add_u64 v[8:9], v[2:3], 0, s[2:3]
	v_lshl_add_u64 v[8:9], v[8:9], 2, s[4:5]
	global_load_dword v1, v[8:9], off offset:4
	s_waitcnt vmcnt(0)
	v_mul_hi_u32 v7, v1, s19
	v_add_u32_e32 v7, v1, v7
	v_lshrrev_b32_e32 v7, s24, v7
	v_cmp_gt_i32_e32 vcc, s13, v7
	s_and_b64 exec, exec, vcc
	s_cbranch_execz .LBB99_22
; %bb.21:
	v_add_u32_e32 v8, v6, v5
	ds_read_b32 v8, v8 offset:264
	v_mul_lo_u32 v9, v7, s25
	v_sub_u32_e32 v1, v1, v9
	v_mul_lo_u32 v7, v7, s21
	v_mul_lo_u32 v1, v1, s10
	v_readlane_b32 s8, v82, 0
	s_waitcnt lgkmcnt(0)
	v_add_f32_e32 v10, 0, v8
	v_add3_u32 v8, v4, v7, v1
	v_mov_b32_e32 v9, v3
	v_readlane_b32 s9, v82, 1
	s_nop 1
	v_lshl_add_u64 v[8:9], v[8:9], 2, s[8:9]
	global_store_dword v[8:9], v10, off
.LBB99_22:
	s_or_b64 exec, exec, s[0:1]
	v_add_u32_e32 v0, 2, v0
	v_cmp_gt_i32_e64 s[0:1], s33, v0
	v_cmp_eq_u32_e32 vcc, 0, v2
	s_and_b64 s[0:1], s[6:7], s[0:1]
	s_and_b64 s[0:1], vcc, s[0:1]
	s_and_saveexec_b64 s[6:7], s[0:1]
	s_cbranch_execz .LBB99_25
; %bb.23:
	s_ashr_i32 s3, s2, 31
	s_lshl_b64 s[0:1], s[2:3], 2
	s_add_u32 s0, s4, s0
	s_addc_u32 s1, s5, s1
	s_load_dword s0, s[0:1], 0x8
	s_waitcnt lgkmcnt(0)
	s_mul_hi_u32 s1, s0, s19
	s_add_i32 s1, s0, s1
	s_lshr_b32 s1, s1, s24
	s_cmp_ge_i32 s1, s13
	s_cbranch_scc1 .LBB99_25
; %bb.24:
	v_add_u32_e32 v0, v5, v6
	ds_read_b32 v0, v0 offset:528
	s_mul_i32 s2, s1, s25
	s_sub_i32 s0, s0, s2
	s_mul_i32 s1, s1, s21
	s_mul_i32 s0, s0, s10
	s_add_i32 s0, s0, s1
	s_waitcnt lgkmcnt(0)
	v_add_f32_e32 v2, 0, v0
	v_add_u32_e32 v0, s0, v4
	v_readlane_b32 s0, v82, 0
	v_mov_b32_e32 v1, 0
	v_readlane_b32 s1, v82, 1
	s_nop 1
	v_lshl_add_u64 v[0:1], v[0:1], 2, s[0:1]
	global_store_dword v[0:1], v2, off
.LBB99_25:
	s_endpgm
	.section	.rodata,"a",@progbits
	.p2align	6, 0x0
	.amdhsa_kernel _ZL13mul_mat_f_idsI7__half2Li64ELi3ELi1EEvPKT_PKfPKiS7_S7_Pfiiiiiiiiiiiiii15HIP_vector_typeIjLj3EESA_
		.amdhsa_group_segment_fixed_size 0
		.amdhsa_private_segment_fixed_size 0
		.amdhsa_kernarg_size 128
		.amdhsa_user_sgpr_count 2
		.amdhsa_user_sgpr_dispatch_ptr 0
		.amdhsa_user_sgpr_queue_ptr 0
		.amdhsa_user_sgpr_kernarg_segment_ptr 1
		.amdhsa_user_sgpr_dispatch_id 0
		.amdhsa_user_sgpr_kernarg_preload_length 0
		.amdhsa_user_sgpr_kernarg_preload_offset 0
		.amdhsa_user_sgpr_private_segment_size 0
		.amdhsa_uses_dynamic_stack 0
		.amdhsa_enable_private_segment 0
		.amdhsa_system_sgpr_workgroup_id_x 1
		.amdhsa_system_sgpr_workgroup_id_y 1
		.amdhsa_system_sgpr_workgroup_id_z 1
		.amdhsa_system_sgpr_workgroup_info 0
		.amdhsa_system_vgpr_workitem_id 1
		.amdhsa_next_free_vgpr 100
		.amdhsa_next_free_sgpr 100
		.amdhsa_accum_offset 84
		.amdhsa_reserve_vcc 1
		.amdhsa_float_round_mode_32 0
		.amdhsa_float_round_mode_16_64 0
		.amdhsa_float_denorm_mode_32 3
		.amdhsa_float_denorm_mode_16_64 3
		.amdhsa_dx10_clamp 1
		.amdhsa_ieee_mode 1
		.amdhsa_fp16_overflow 0
		.amdhsa_tg_split 0
		.amdhsa_exception_fp_ieee_invalid_op 0
		.amdhsa_exception_fp_denorm_src 0
		.amdhsa_exception_fp_ieee_div_zero 0
		.amdhsa_exception_fp_ieee_overflow 0
		.amdhsa_exception_fp_ieee_underflow 0
		.amdhsa_exception_fp_ieee_inexact 0
		.amdhsa_exception_int_div_zero 0
	.end_amdhsa_kernel
	.section	.text._ZL13mul_mat_f_idsI7__half2Li64ELi3ELi1EEvPKT_PKfPKiS7_S7_Pfiiiiiiiiiiiiii15HIP_vector_typeIjLj3EESA_,"axG",@progbits,_ZL13mul_mat_f_idsI7__half2Li64ELi3ELi1EEvPKT_PKfPKiS7_S7_Pfiiiiiiiiiiiiii15HIP_vector_typeIjLj3EESA_,comdat
.Lfunc_end99:
	.size	_ZL13mul_mat_f_idsI7__half2Li64ELi3ELi1EEvPKT_PKfPKiS7_S7_Pfiiiiiiiiiiiiii15HIP_vector_typeIjLj3EESA_, .Lfunc_end99-_ZL13mul_mat_f_idsI7__half2Li64ELi3ELi1EEvPKT_PKfPKiS7_S7_Pfiiiiiiiiiiiiii15HIP_vector_typeIjLj3EESA_
                                        ; -- End function
	.set _ZL13mul_mat_f_idsI7__half2Li64ELi3ELi1EEvPKT_PKfPKiS7_S7_Pfiiiiiiiiiiiiii15HIP_vector_typeIjLj3EESA_.num_vgpr, 83
	.set _ZL13mul_mat_f_idsI7__half2Li64ELi3ELi1EEvPKT_PKfPKiS7_S7_Pfiiiiiiiiiiiiii15HIP_vector_typeIjLj3EESA_.num_agpr, 16
	.set _ZL13mul_mat_f_idsI7__half2Li64ELi3ELi1EEvPKT_PKfPKiS7_S7_Pfiiiiiiiiiiiiii15HIP_vector_typeIjLj3EESA_.numbered_sgpr, 100
	.set _ZL13mul_mat_f_idsI7__half2Li64ELi3ELi1EEvPKT_PKfPKiS7_S7_Pfiiiiiiiiiiiiii15HIP_vector_typeIjLj3EESA_.num_named_barrier, 0
	.set _ZL13mul_mat_f_idsI7__half2Li64ELi3ELi1EEvPKT_PKfPKiS7_S7_Pfiiiiiiiiiiiiii15HIP_vector_typeIjLj3EESA_.private_seg_size, 0
	.set _ZL13mul_mat_f_idsI7__half2Li64ELi3ELi1EEvPKT_PKfPKiS7_S7_Pfiiiiiiiiiiiiii15HIP_vector_typeIjLj3EESA_.uses_vcc, 1
	.set _ZL13mul_mat_f_idsI7__half2Li64ELi3ELi1EEvPKT_PKfPKiS7_S7_Pfiiiiiiiiiiiiii15HIP_vector_typeIjLj3EESA_.uses_flat_scratch, 0
	.set _ZL13mul_mat_f_idsI7__half2Li64ELi3ELi1EEvPKT_PKfPKiS7_S7_Pfiiiiiiiiiiiiii15HIP_vector_typeIjLj3EESA_.has_dyn_sized_stack, 0
	.set _ZL13mul_mat_f_idsI7__half2Li64ELi3ELi1EEvPKT_PKfPKiS7_S7_Pfiiiiiiiiiiiiii15HIP_vector_typeIjLj3EESA_.has_recursion, 0
	.set _ZL13mul_mat_f_idsI7__half2Li64ELi3ELi1EEvPKT_PKfPKiS7_S7_Pfiiiiiiiiiiiiii15HIP_vector_typeIjLj3EESA_.has_indirect_call, 0
	.section	.AMDGPU.csdata,"",@progbits
; Kernel info:
; codeLenInByte = 5188
; TotalNumSgprs: 106
; NumVgprs: 83
; NumAgprs: 16
; TotalNumVgprs: 100
; ScratchSize: 0
; MemoryBound: 0
; FloatMode: 240
; IeeeMode: 1
; LDSByteSize: 0 bytes/workgroup (compile time only)
; SGPRBlocks: 13
; VGPRBlocks: 12
; NumSGPRsForWavesPerEU: 106
; NumVGPRsForWavesPerEU: 100
; AccumOffset: 84
; Occupancy: 4
; WaveLimiterHint : 1
; COMPUTE_PGM_RSRC2:SCRATCH_EN: 0
; COMPUTE_PGM_RSRC2:USER_SGPR: 2
; COMPUTE_PGM_RSRC2:TRAP_HANDLER: 0
; COMPUTE_PGM_RSRC2:TGID_X_EN: 1
; COMPUTE_PGM_RSRC2:TGID_Y_EN: 1
; COMPUTE_PGM_RSRC2:TGID_Z_EN: 1
; COMPUTE_PGM_RSRC2:TIDIG_COMP_CNT: 1
; COMPUTE_PGM_RSRC3_GFX90A:ACCUM_OFFSET: 20
; COMPUTE_PGM_RSRC3_GFX90A:TG_SPLIT: 0
	.section	.text._ZL9mul_mat_fI7__half2Li64ELi3ELi1ELb1EEvPKT_PKfPKiPfiiiiiiiiiiiiiiii,"axG",@progbits,_ZL9mul_mat_fI7__half2Li64ELi3ELi1ELb1EEvPKT_PKfPKiPfiiiiiiiiiiiiiiii,comdat
	.globl	_ZL9mul_mat_fI7__half2Li64ELi3ELi1ELb1EEvPKT_PKfPKiPfiiiiiiiiiiiiiiii ; -- Begin function _ZL9mul_mat_fI7__half2Li64ELi3ELi1ELb1EEvPKT_PKfPKiPfiiiiiiiiiiiiiiii
	.p2align	8
	.type	_ZL9mul_mat_fI7__half2Li64ELi3ELi1ELb1EEvPKT_PKfPKiPfiiiiiiiiiiiiiiii,@function
_ZL9mul_mat_fI7__half2Li64ELi3ELi1ELb1EEvPKT_PKfPKiPfiiiiiiiiiiiiiiii: ; @_ZL9mul_mat_fI7__half2Li64ELi3ELi1ELb1EEvPKT_PKfPKiPfiiiiiiiiiiiiiiii
; %bb.0:
	s_load_dwordx8 s[20:27], s[0:1], 0x20
	s_waitcnt lgkmcnt(0)
	s_add_i32 s5, s21, 2
	s_mul_hi_i32 s5, s5, 0x55555556
	s_lshr_b32 s6, s5, 31
	s_add_i32 s5, s5, s6
	v_cvt_f32_u32_e32 v1, s5
	s_load_dword s6, s[0:1], 0x64
	s_add_u32 s34, s0, 0x60
	s_addc_u32 s35, s1, 0
	v_rcp_iflag_f32_e32 v1, v1
	s_sub_i32 s7, 0, s5
	s_load_dwordx4 s[28:31], s[0:1], 0x44
	s_load_dwordx2 s[8:9], s[0:1], 0x10
	v_mul_f32_e32 v1, 0x4f7ffffe, v1
	v_cvt_u32_f32_e32 v1, v1
	s_waitcnt lgkmcnt(0)
	s_abs_i32 s33, s31
	v_mul_lo_u32 v2, s7, v1
	v_mul_hi_u32 v2, v1, v2
	v_add_u32_e32 v1, v1, v2
	v_mul_hi_u32 v1, s6, v1
	v_mul_lo_u32 v2, v1, s5
	v_sub_u32_e32 v2, s6, v2
	v_add_u32_e32 v3, 1, v1
	v_subrev_u32_e32 v4, s5, v2
	v_cmp_le_u32_e32 vcc, s5, v2
	s_nop 1
	v_cndmask_b32_e32 v1, v1, v3, vcc
	v_cndmask_b32_e32 v2, v2, v4, vcc
	v_add_u32_e32 v3, 1, v1
	v_cmp_le_u32_e32 vcc, s5, v2
	v_cvt_f32_u32_e32 v4, s33
	v_rcp_iflag_f32_e32 v5, v4
	v_cndmask_b32_e32 v1, v1, v3, vcc
	v_cvt_f32_u32_e32 v2, v1
	v_sub_u32_e32 v4, 0, v1
	v_bfe_u32 v3, v0, 10, 10
	v_rcp_iflag_f32_e32 v2, v2
	s_nop 0
	v_mul_f32_e32 v2, 0x4f7ffffe, v2
	v_cvt_u32_f32_e32 v6, v2
	v_and_b32_e32 v2, 0x3ff, v0
	v_cmp_eq_u32_e32 vcc, 0, v2
	v_mul_lo_u32 v4, v4, v6
	v_mul_hi_u32 v4, v6, v4
	v_add_u32_e32 v4, v6, v4
	v_mul_hi_u32 v4, s3, v4
	s_and_saveexec_b64 s[6:7], vcc
; %bb.1:
	v_mov_b32_e32 v6, 0x100
	v_lshl_add_u32 v6, v3, 2, v6
	v_mov_b32_e32 v7, -1
	ds_write_b32 v6, v7
; %bb.2:
	s_or_b64 exec, exec, s[6:7]
	v_mul_f32_e32 v11, 0x4f7ffffe, v5
	v_mul_lo_u32 v5, v4, v1
	v_sub_u32_e32 v5, s3, v5
	v_add_u32_e32 v6, 1, v4
	v_sub_u32_e32 v7, v5, v1
	v_cmp_ge_u32_e64 s[6:7], v5, v1
	s_nop 1
	v_cndmask_b32_e64 v4, v4, v6, s[6:7]
	v_cndmask_b32_e64 v5, v5, v7, s[6:7]
	v_add_u32_e32 v6, 1, v4
	v_cmp_ge_u32_e64 s[6:7], v5, v1
	s_nop 1
	v_cndmask_b32_e64 v4, v4, v6, s[6:7]
	v_mul_lo_u32 v78, v4, 3
	v_mul_lo_u32 v1, v4, v1
	v_mul_hi_i32 v5, v78, s27
	v_mul_lo_u32 v4, v78, s27
	v_sub_u32_e32 v10, s3, v1
	v_lshlrev_b64 v[4:5], 2, v[4:5]
	v_add_u32_e32 v1, v3, v78
	v_lshl_add_u64 v[4:5], s[8:9], 0, v[4:5]
	v_cmp_gt_i32_e64 s[6:7], s22, v2
	v_cmp_gt_i32_e64 s[12:13], s21, v1
	v_mov_b32_e32 v1, 0
	s_and_saveexec_b64 s[14:15], s[12:13]
	s_cbranch_execz .LBB100_10
; %bb.3:
	v_mov_b32_e32 v1, 0
	s_and_saveexec_b64 s[16:17], s[6:7]
	s_cbranch_execz .LBB100_9
; %bb.4:
	v_mul_lo_u32 v6, v3, s27
	v_ashrrev_i32_e32 v7, 31, v6
	v_mov_b32_e32 v1, 0x100
	v_lshl_add_u64 v[6:7], v[6:7], 2, v[4:5]
	v_lshl_add_u32 v12, v3, 2, v1
	v_mul_lo_u32 v8, v2, s26
	s_lshl_b32 s3, s26, 6
	v_mov_b32_e32 v1, 0
	s_mov_b64 s[18:19], 0
	v_mov_b32_e32 v13, v2
	s_branch .LBB100_6
.LBB100_5:                              ;   in Loop: Header=BB100_6 Depth=1
	s_or_b64 exec, exec, s[36:37]
	v_add_u32_e32 v13, 64, v13
	v_cmp_le_i32_e64 s[10:11], s22, v13
	s_xor_b64 s[8:9], s[8:9], -1
	s_or_b64 s[8:9], s[8:9], s[10:11]
	s_and_b64 s[8:9], exec, s[8:9]
	s_or_b64 s[18:19], s[8:9], s[18:19]
	v_add_u32_e32 v8, s3, v8
	s_andn2_b64 exec, exec, s[18:19]
	s_cbranch_execz .LBB100_8
.LBB100_6:                              ; =>This Inner Loop Header: Depth=1
	v_ashrrev_i32_e32 v9, 31, v8
	v_lshl_add_u64 v[14:15], v[8:9], 2, v[6:7]
	global_load_dword v9, v[14:15], off
	s_waitcnt vmcnt(0)
	v_cmp_ne_u32_e64 s[8:9], v9, v10
	v_cmp_eq_u32_e64 s[10:11], v9, v10
	s_and_saveexec_b64 s[36:37], s[10:11]
	s_cbranch_execz .LBB100_5
; %bb.7:                                ;   in Loop: Header=BB100_6 Depth=1
	v_mov_b32_e32 v1, 1
	ds_write_b32 v12, v13
	s_branch .LBB100_5
.LBB100_8:
	s_or_b64 exec, exec, s[18:19]
.LBB100_9:
	s_or_b64 exec, exec, s[16:17]
.LBB100_10:
	s_or_b64 exec, exec, s[14:15]
	v_cvt_u32_f32_e32 v11, v11
	s_sub_i32 s3, 0, s33
	s_and_saveexec_b64 s[8:9], vcc
; %bb.11:
	v_mov_b32_e32 v6, 0x100
	v_lshl_add_u32 v6, v3, 2, v6
	v_mov_b32_e32 v7, -1
	ds_write_b32 v6, v7 offset:4
; %bb.12:
	s_or_b64 exec, exec, s[8:9]
	v_add_u32_e32 v79, 1, v3
	v_add_u32_e32 v6, v79, v78
	v_mul_lo_u32 v12, s3, v11
	v_cmp_gt_i32_e64 s[16:17], s21, v6
	s_and_saveexec_b64 s[14:15], s[16:17]
	s_cbranch_execz .LBB100_20
; %bb.13:
	s_and_saveexec_b64 s[18:19], s[6:7]
	s_cbranch_execz .LBB100_19
; %bb.14:
	v_mul_lo_u32 v6, v79, s27
	v_ashrrev_i32_e32 v7, 31, v6
	v_mov_b32_e32 v8, 0x100
	v_lshl_add_u64 v[6:7], v[6:7], 2, v[4:5]
	v_lshl_add_u32 v13, v3, 2, v8
	v_mul_lo_u32 v8, v2, s26
	s_lshl_b32 s3, s26, 6
	s_mov_b64 s[36:37], 0
	v_mov_b32_e32 v14, v2
	s_branch .LBB100_16
.LBB100_15:                             ;   in Loop: Header=BB100_16 Depth=1
	s_or_b64 exec, exec, s[38:39]
	v_add_u32_e32 v14, 64, v14
	v_cmp_le_i32_e64 s[10:11], s22, v14
	s_xor_b64 s[8:9], s[8:9], -1
	s_or_b64 s[8:9], s[8:9], s[10:11]
	s_and_b64 s[8:9], exec, s[8:9]
	s_or_b64 s[36:37], s[8:9], s[36:37]
	v_add_u32_e32 v8, s3, v8
	s_andn2_b64 exec, exec, s[36:37]
	s_cbranch_execz .LBB100_18
.LBB100_16:                             ; =>This Inner Loop Header: Depth=1
	v_ashrrev_i32_e32 v9, 31, v8
	v_lshl_add_u64 v[16:17], v[8:9], 2, v[6:7]
	global_load_dword v9, v[16:17], off
	s_waitcnt vmcnt(0)
	v_cmp_ne_u32_e64 s[8:9], v9, v10
	v_cmp_eq_u32_e64 s[10:11], v9, v10
	s_and_saveexec_b64 s[38:39], s[10:11]
	s_cbranch_execz .LBB100_15
; %bb.17:                               ;   in Loop: Header=BB100_16 Depth=1
	v_mov_b32_e32 v1, 1
	ds_write_b32 v13, v14 offset:4
	s_branch .LBB100_15
.LBB100_18:
	s_or_b64 exec, exec, s[36:37]
.LBB100_19:
	s_or_b64 exec, exec, s[18:19]
.LBB100_20:
	s_or_b64 exec, exec, s[14:15]
	v_mul_hi_u32 v6, v11, v12
	s_and_saveexec_b64 s[8:9], vcc
; %bb.21:
	v_mov_b32_e32 v7, 0x100
	v_lshl_add_u32 v7, v3, 2, v7
	v_mov_b32_e32 v8, -1
	ds_write_b32 v7, v8 offset:8
; %bb.22:
	s_or_b64 exec, exec, s[8:9]
	s_load_dwordx4 s[36:39], s[0:1], 0x54
	v_add_u32_e32 v80, 2, v3
	v_add_u32_e32 v8, v11, v6
	;; [unrolled: 1-line block ×3, first 2 shown]
	s_abs_i32 s3, s4
	v_cmp_gt_i32_e64 s[14:15], s21, v6
	s_and_saveexec_b64 s[8:9], s[14:15]
	s_cbranch_execz .LBB100_30
; %bb.23:
	s_and_saveexec_b64 s[10:11], s[6:7]
	s_cbranch_execz .LBB100_29
; %bb.24:
	v_mul_lo_u32 v6, v80, s27
	v_ashrrev_i32_e32 v7, 31, v6
	v_lshl_add_u64 v[4:5], v[6:7], 2, v[4:5]
	v_mov_b32_e32 v6, 0x100
	v_lshl_add_u32 v9, v3, 2, v6
	v_mul_lo_u32 v6, v2, s26
	s_lshl_b32 s5, s26, 6
	s_mov_b64 s[18:19], 0
	v_mov_b32_e32 v11, v2
	s_branch .LBB100_26
.LBB100_25:                             ;   in Loop: Header=BB100_26 Depth=1
	s_or_b64 exec, exec, s[26:27]
	v_add_u32_e32 v11, 64, v11
	v_cmp_le_i32_e64 s[6:7], s22, v11
	s_xor_b64 s[26:27], vcc, -1
	s_or_b64 s[6:7], s[26:27], s[6:7]
	s_and_b64 s[6:7], exec, s[6:7]
	s_or_b64 s[18:19], s[6:7], s[18:19]
	v_add_u32_e32 v6, s5, v6
	s_andn2_b64 exec, exec, s[18:19]
	s_cbranch_execz .LBB100_28
.LBB100_26:                             ; =>This Inner Loop Header: Depth=1
	v_ashrrev_i32_e32 v7, 31, v6
	v_lshl_add_u64 v[12:13], v[6:7], 2, v[4:5]
	global_load_dword v7, v[12:13], off
	s_waitcnt vmcnt(0)
	v_cmp_ne_u32_e32 vcc, v7, v10
	v_cmp_eq_u32_e64 s[6:7], v7, v10
	s_and_saveexec_b64 s[26:27], s[6:7]
	s_cbranch_execz .LBB100_25
; %bb.27:                               ;   in Loop: Header=BB100_26 Depth=1
	v_mov_b32_e32 v1, 1
	ds_write_b32 v9, v11 offset:8
	s_branch .LBB100_25
.LBB100_28:
	s_or_b64 exec, exec, s[18:19]
.LBB100_29:
	s_or_b64 exec, exec, s[10:11]
.LBB100_30:
	s_or_b64 exec, exec, s[8:9]
	s_load_dwordx2 s[6:7], s[34:35], 0xc
	s_load_dwordx2 s[8:9], s[0:1], 0x8
	;; [unrolled: 1-line block ×3, first 2 shown]
	v_or_b32_dpp v1, v1, v1 row_shl:1 row_mask:0xf bank_mask:0xf bound_ctrl:1
	v_mul_hi_u32 v4, s3, v8
	s_waitcnt lgkmcnt(0)
	s_and_b32 s5, s7, 0xffff
	s_lshr_b32 s7, s6, 16
	s_and_b32 s6, s6, 0xffff
	v_or_b32_dpp v1, v1, v1 row_shl:2 row_mask:0xf bank_mask:0xf bound_ctrl:1
	s_mul_i32 s10, s7, s6
	s_bfe_i32 s10, s10, 0x180000
	v_or_b32_dpp v1, v1, v1 row_shl:4 row_mask:0xf bank_mask:0xf bound_ctrl:1
	s_mul_i32 s5, s10, s5
	s_add_i32 s10, s5, 63
	v_or_b32_dpp v1, v1, v1 row_shl:8 row_mask:0xf bank_mask:0xf bound_ctrl:1
	s_bitcmp1_b32 exec_hi, 0
	s_nop 0
	v_mov_b32_dpp v5, v1 wave_shl:1 row_mask:0xf bank_mask:0xf bound_ctrl:1
	s_nop 1
	v_or_b32_dpp v1, v5, v1 row_mirror row_mask:0xf bank_mask:0xf bound_ctrl:1
	s_nop 0
	v_readlane_b32 s5, v1, 32
	s_cselect_b32 s5, s5, 0
	v_readlane_b32 s11, v1, 0
	s_or_b32 s5, s5, s11
	s_andn2_b32 s10, s10, 63
	s_cmp_lg_u32 s10, 64
	v_mov_b32_e32 v1, s5
	s_cbranch_scc0 .LBB100_37
; %bb.31:
	v_bfe_u32 v0, v0, 20, 10
	v_mbcnt_lo_u32_b32 v1, -1, 0
	v_mad_u32_u24 v0, v0, s7, v3
	v_mbcnt_hi_u32_b32 v5, -1, v1
	v_mad_u64_u32 v[0:1], s[6:7], v0, s6, v[2:3]
	v_lshrrev_b32_e32 v1, 6, v0
	v_or_b32_e32 v1, v5, v1
	v_cmp_eq_u32_e32 vcc, 0, v1
	s_and_saveexec_b64 s[6:7], vcc
; %bb.32:
	v_mov_b32_e32 v1, 0
	v_mov_b32_e32 v6, s5
	ds_write_b32 v1, v6
; %bb.33:
	s_or_b64 exec, exec, s[6:7]
	v_cmp_eq_u32_e32 vcc, 0, v5
	v_cmp_lt_u32_e64 s[6:7], 63, v0
	s_and_b64 s[10:11], s[6:7], vcc
	s_waitcnt lgkmcnt(0)
	; wave barrier
	s_and_saveexec_b64 s[6:7], s[10:11]
	s_cbranch_execz .LBB100_36
; %bb.34:
	v_mbcnt_lo_u32_b32 v0, exec_lo, 0
	v_mbcnt_hi_u32_b32 v0, exec_hi, v0
	v_cmp_eq_u32_e32 vcc, 0, v0
	s_and_b64 exec, exec, vcc
; %bb.35:
	v_mov_b32_e32 v0, 0
	v_mov_b32_e32 v1, s5
	ds_or_b32 v0, v1
.LBB100_36:
	s_or_b64 exec, exec, s[6:7]
	v_mov_b32_e32 v0, 0
	s_waitcnt lgkmcnt(0)
	; wave barrier
	ds_read_b32 v1, v0
	s_waitcnt lgkmcnt(0)
	; wave barrier
.LBB100_37:
	s_load_dwordx2 s[6:7], s[0:1], 0x0
	v_cmp_ne_u32_e32 vcc, 0, v1
	s_ashr_i32 s10, s4, 31
	s_ashr_i32 s11, s31, 31
	s_cbranch_vccz .LBB100_68
; %bb.38:
	v_lshlrev_b32_e32 v81, 6, v3
	v_add_u32_e32 v82, v81, v2
	v_cmp_le_i32_e32 vcc, s20, v82
	v_and_b32_e32 v0, 15, v2
                                        ; implicit-def: $vgpr83
	s_and_saveexec_b64 s[0:1], vcc
	s_xor_b64 s[0:1], exec, s[0:1]
; %bb.39:
	v_mul_u32_u24_e32 v83, 0x108, v0
                                        ; implicit-def: $vgpr82
                                        ; implicit-def: $vgpr4
                                        ; implicit-def: $vgpr10
                                        ; implicit-def: $vgpr0
; %bb.40:
	s_or_saveexec_b64 s[0:1], s[0:1]
	s_lshl_b32 s5, s2, 6
	v_mov_b32_e32 v1, 0
	v_accvgpr_write_b32 a0, 0
	v_accvgpr_write_b32 a1, 0
	v_accvgpr_write_b32 a2, 0
	v_accvgpr_write_b32 a3, 0
	v_accvgpr_write_b32 a4, 0
	v_accvgpr_write_b32 a5, 0
	v_accvgpr_write_b32 a6, 0
	v_accvgpr_write_b32 a7, 0
	v_accvgpr_write_b32 a8, 0
	v_accvgpr_write_b32 a9, 0
	v_accvgpr_write_b32 a10, 0
	v_accvgpr_write_b32 a11, 0
	v_accvgpr_write_b32 a12, 0
	v_accvgpr_write_b32 a13, 0
	v_accvgpr_write_b32 a14, 0
	v_accvgpr_write_b32 a15, 0
	s_xor_b64 exec, exec, s[0:1]
	s_cbranch_execz .LBB100_56
; %bb.41:
	v_mul_lo_u32 v5, v4, s33
	v_sub_u32_e32 v5, s3, v5
	v_add_u32_e32 v6, 1, v4
	v_subrev_u32_e32 v7, s33, v5
	v_cmp_le_u32_e32 vcc, s33, v5
	s_xor_b32 s2, s10, s11
	v_mov_b32_e32 v84, 0x100
	v_cndmask_b32_e32 v4, v4, v6, vcc
	v_cndmask_b32_e32 v5, v5, v7, vcc
	v_add_u32_e32 v6, 1, v4
	v_cmp_le_u32_e32 vcc, s33, v5
	v_mul_u32_u24_e32 v83, 0x108, v0
	v_lshrrev_b32_e32 v0, 1, v2
	v_cndmask_b32_e32 v4, v4, v6, vcc
	v_xor_b32_e32 v4, s2, v4
	v_subrev_u32_e32 v4, s2, v4
	s_mul_i32 s2, s23, s5
	s_ashr_i32 s3, s2, 31
	s_lshl_b64 s[10:11], s[2:3], 2
	s_movk_i32 s2, 0x1080
	v_mul_hi_i32 v5, v4, s36
	v_mul_lo_u32 v4, v4, s36
	v_mul_lo_u32 v6, v10, s28
	v_mad_u32_u24 v12, v3, s2, v84
	s_mul_hi_i32 s3, s37, s4
	s_mul_i32 s2, s37, s4
	v_ashrrev_i32_e32 v7, 31, v6
	v_lshlrev_b64 v[8:9], 2, v[4:5]
	s_lshl_b64 s[2:3], s[2:3], 2
	s_waitcnt lgkmcnt(0)
	v_lshl_add_u64 v[4:5], s[6:7], 0, v[8:9]
	v_lshlrev_b64 v[10:11], 2, v[6:7]
	v_mul_hi_i32 v7, s24, v78
	v_mul_lo_u32 v6, s24, v78
	s_add_u32 s2, s8, s2
	v_and_b32_e32 v0, 0x1f8, v0
	v_lshl_add_u64 v[8:9], v[8:9], 0, s[10:11]
	v_lshlrev_b64 v[6:7], 3, v[6:7]
	s_addc_u32 s3, s9, s3
	v_add3_u32 v86, v12, v83, v0
	v_lshl_add_u64 v[8:9], v[8:9], 0, v[10:11]
	v_lshlrev_b32_e32 v0, 1, v2
	v_lshl_add_u64 v[4:5], v[4:5], 0, v[10:11]
	v_lshl_add_u64 v[6:7], s[2:3], 0, v[6:7]
	v_lshl_add_u32 v85, v2, 2, v12
	v_add_u32_e32 v12, 1, v78
	v_add_u32_e32 v13, 2, v78
	s_ashr_i32 s3, s23, 31
	s_mov_b32 s2, s23
	v_lshl_add_u64 v[8:9], s[6:7], 0, v[8:9]
	v_lshl_add_u32 v87, v3, 7, v0
	v_lshlrev_b32_e32 v0, 2, v82
	v_lshl_add_u64 v[4:5], v[4:5], 0, s[10:11]
	s_lshl_b32 s28, s24, 2
	s_add_i32 s31, s23, s23
	s_mul_i32 s33, s23, 3
	s_lshl_b32 s34, s23, 2
	s_mul_i32 s35, s23, 5
	s_mul_i32 s36, s23, 6
	;; [unrolled: 1-line block ×3, first 2 shown]
	s_lshl_b32 s39, s23, 3
	s_mul_i32 s40, s23, 9
	s_mul_i32 s41, s23, 10
	;; [unrolled: 1-line block ×7, first 2 shown]
	s_lshl_b32 s47, s23, 4
	s_mul_i32 s48, s23, 17
	s_mul_i32 s49, s23, 18
	;; [unrolled: 1-line block ×15, first 2 shown]
	s_lshl_b32 s63, s23, 5
	s_mul_i32 s64, s23, 33
	s_mul_i32 s65, s23, 34
	;; [unrolled: 1-line block ×22, first 2 shown]
	v_cmp_gt_i32_e64 s[6:7], s21, v78
	s_mul_i32 s86, s23, 55
	s_mul_i32 s87, s23, 56
	s_lshl_b64 s[2:3], s[2:3], 2
	v_accvgpr_write_b32 a15, 0
	v_accvgpr_write_b32 a14, 0
	;; [unrolled: 1-line block ×16, first 2 shown]
	v_lshl_add_u64 v[8:9], v[8:9], 0, v[0:1]
	s_mul_i32 s88, s23, 57
	s_mul_i32 s89, s23, 58
	;; [unrolled: 1-line block ×7, first 2 shown]
	s_lshl_b32 s24, s24, 1
	v_cmp_gt_i32_e64 s[8:9], s21, v12
	v_cmp_gt_i32_e64 s[10:11], s21, v13
	s_mov_b64 s[22:23], 0
	s_mov_b64 s[26:27], 0x100
	s_branch .LBB100_44
.LBB100_42:                             ;   in Loop: Header=BB100_44 Depth=1
	v_mul_lo_u32 v0, v0, s29
	v_add_u32_e32 v0, s28, v0
	v_add_u32_e32 v74, v0, v87
	v_ashrrev_i32_e32 v75, 31, v74
	v_lshl_add_u64 v[74:75], v[74:75], 2, v[6:7]
	global_load_dwordx2 v[74:75], v[74:75], off
.LBB100_43:                             ;   in Loop: Header=BB100_44 Depth=1
	s_waitcnt vmcnt(0)
	v_cvt_pk_f16_f32 v0, v74, v75
	ds_write2_b32 v85, v0, v1 offset0:148 offset1:214
	v_add_u32_e32 v0, 0x400, v85
	ds_write2_b32 v0, v1, v1 offset0:24 offset1:90
	ds_write2_b32 v0, v1, v1 offset0:156 offset1:222
	v_add_u32_e32 v0, 0x800, v85
	ds_write2_b32 v0, v1, v1 offset0:32 offset1:98
	;; [unrolled: 3-line block ×3, first 2 shown]
	ds_write2_b32 v0, v1, v1 offset0:172 offset1:238
	ds_read2_b64 v[74:77], v86 offset0:8 offset1:12
	v_add_u32_e32 v82, 64, v82
	s_waitcnt lgkmcnt(0)
	v_mfma_f32_16x16x16_f16 a[8:11], v[42:43], v[74:75], a[8:11]
	v_cmp_le_i32_e32 vcc, s20, v82
	v_add_u32_e32 v87, 0x80, v87
	v_lshl_add_u64 v[8:9], v[8:9], 0, s[26:27]
	v_mfma_f32_16x16x16_f16 a[12:15], v[28:29], v[74:75], a[12:15]
	s_or_b64 s[22:23], vcc, s[22:23]
	v_mfma_f32_16x16x16_f16 a[4:7], v[56:57], v[74:75], a[4:7]
	v_mfma_f32_16x16x16_f16 a[0:3], v[72:73], v[74:75], a[0:3]
	v_mfma_f32_16x16x16_f16 a[8:11], v[40:41], v[76:77], a[8:11]
	ds_read2_b64 v[40:43], v86 offset0:16 offset1:20
	v_mfma_f32_16x16x16_f16 a[12:15], v[22:23], v[76:77], a[12:15]
	v_mfma_f32_16x16x16_f16 a[4:7], v[54:55], v[76:77], a[4:7]
	v_mfma_f32_16x16x16_f16 a[0:3], v[70:71], v[76:77], a[0:3]
	s_waitcnt lgkmcnt(0)
	v_mfma_f32_16x16x16_f16 a[12:15], v[20:21], v[40:41], a[12:15]
	v_mfma_f32_16x16x16_f16 a[8:11], v[36:37], v[40:41], a[8:11]
	v_mfma_f32_16x16x16_f16 a[4:7], v[52:53], v[40:41], a[4:7]
	v_mfma_f32_16x16x16_f16 a[0:3], v[68:69], v[40:41], a[0:3]
	v_mfma_f32_16x16x16_f16 a[12:15], v[18:19], v[42:43], a[12:15]
	ds_read2_b64 v[18:21], v86 offset0:24 offset1:28
	v_mfma_f32_16x16x16_f16 a[8:11], v[34:35], v[42:43], a[8:11]
	v_mfma_f32_16x16x16_f16 a[4:7], v[50:51], v[42:43], a[4:7]
	v_mfma_f32_16x16x16_f16 a[0:3], v[66:67], v[42:43], a[0:3]
	s_waitcnt lgkmcnt(0)
	v_mfma_f32_16x16x16_f16 a[12:15], v[16:17], v[18:19], a[12:15]
	v_mfma_f32_16x16x16_f16 a[8:11], v[32:33], v[18:19], a[8:11]
	;; [unrolled: 10-line block ×3, first 2 shown]
	v_mfma_f32_16x16x16_f16 a[4:7], v[44:45], v[14:15], a[4:7]
	v_mfma_f32_16x16x16_f16 a[0:3], v[60:61], v[14:15], a[0:3]
	;; [unrolled: 1-line block ×6, first 2 shown]
	s_andn2_b64 exec, exec, s[22:23]
	s_cbranch_execz .LBB100_55
.LBB100_44:                             ; =>This Inner Loop Header: Depth=1
	v_lshl_add_u64 v[10:11], v[8:9], 0, s[2:3]
	global_load_dword v0, v[8:9], off
	global_load_dword v26, v[10:11], off
	v_add_u32_e32 v10, s31, v82
	v_add_u32_e32 v14, s34, v82
	;; [unrolled: 1-line block ×5, first 2 shown]
	v_ashrrev_i32_e32 v11, 31, v10
	v_add_u32_e32 v12, s33, v82
	v_ashrrev_i32_e32 v15, 31, v14
	v_ashrrev_i32_e32 v17, 31, v16
	;; [unrolled: 1-line block ×3, first 2 shown]
	v_add_u32_e32 v20, s37, v82
	v_ashrrev_i32_e32 v23, 31, v22
	v_add_u32_e32 v24, s40, v82
	v_lshl_add_u64 v[10:11], v[10:11], 2, v[4:5]
	v_ashrrev_i32_e32 v13, 31, v12
	v_lshl_add_u64 v[14:15], v[14:15], 2, v[4:5]
	v_lshl_add_u64 v[16:17], v[16:17], 2, v[4:5]
	;; [unrolled: 1-line block ×3, first 2 shown]
	v_ashrrev_i32_e32 v21, 31, v20
	v_lshl_add_u64 v[22:23], v[22:23], 2, v[4:5]
	v_ashrrev_i32_e32 v25, 31, v24
	v_lshl_add_u64 v[12:13], v[12:13], 2, v[4:5]
	v_lshl_add_u64 v[20:21], v[20:21], 2, v[4:5]
	;; [unrolled: 1-line block ×3, first 2 shown]
	global_load_dword v27, v[10:11], off
	global_load_dword v28, v[12:13], off
	;; [unrolled: 1-line block ×6, first 2 shown]
	s_nop 0
	global_load_dword v22, v[22:23], off
	s_nop 0
	global_load_dword v23, v[24:25], off
	v_add_u32_e32 v10, s41, v82
	v_add_u32_e32 v14, s43, v82
	;; [unrolled: 1-line block ×4, first 2 shown]
	v_ashrrev_i32_e32 v11, 31, v10
	v_add_u32_e32 v12, s42, v82
	v_ashrrev_i32_e32 v15, 31, v14
	v_ashrrev_i32_e32 v17, 31, v16
	v_ashrrev_i32_e32 v19, 31, v18
	v_add_u32_e32 v20, s46, v82
	v_lshl_add_u64 v[10:11], v[10:11], 2, v[4:5]
	v_ashrrev_i32_e32 v13, 31, v12
	v_lshl_add_u64 v[14:15], v[14:15], 2, v[4:5]
	v_lshl_add_u64 v[16:17], v[16:17], 2, v[4:5]
	;; [unrolled: 1-line block ×3, first 2 shown]
	v_ashrrev_i32_e32 v21, 31, v20
	v_lshl_add_u64 v[12:13], v[12:13], 2, v[4:5]
	v_lshl_add_u64 v[20:21], v[20:21], 2, v[4:5]
	global_load_dword v24, v[10:11], off
	global_load_dword v25, v[12:13], off
	s_nop 0
	global_load_dword v15, v[14:15], off
	s_nop 0
	;; [unrolled: 2-line block ×4, first 2 shown]
	global_load_dword v18, v[20:21], off
	v_add_u32_e32 v10, s47, v82
	v_add_u32_e32 v12, s48, v82
	v_ashrrev_i32_e32 v11, 31, v10
	v_add_u32_e32 v14, s49, v82
	v_ashrrev_i32_e32 v13, 31, v12
	v_lshl_add_u64 v[10:11], v[10:11], 2, v[4:5]
	v_lshl_add_u64 v[12:13], v[12:13], 2, v[4:5]
	global_load_dword v33, v[10:11], off
	global_load_dword v34, v[12:13], off
	v_add_u32_e32 v12, s50, v82
	v_add_u32_e32 v20, s54, v82
	v_ashrrev_i32_e32 v13, 31, v12
	v_ashrrev_i32_e32 v21, 31, v20
	v_lshl_add_u64 v[12:13], v[12:13], 2, v[4:5]
	v_lshl_add_u64 v[20:21], v[20:21], 2, v[4:5]
	s_andn2_b64 vcc, exec, s[6:7]
	v_mov_b32_e32 v76, 0
	v_mov_b32_e32 v77, 0
	s_waitcnt vmcnt(17)
	ds_write_b32 v85, v0 offset:64
	s_waitcnt vmcnt(16)
	ds_write_b32 v85, v26 offset:328
	s_waitcnt vmcnt(15)
	ds_write_b32 v85, v27 offset:592
	s_waitcnt vmcnt(14)
	ds_write_b32 v85, v28 offset:856
	s_waitcnt vmcnt(13)
	ds_write_b32 v85, v29 offset:1120
	s_waitcnt vmcnt(12)
	ds_write_b32 v85, v30 offset:1384
	s_waitcnt vmcnt(11)
	ds_write_b32 v85, v31 offset:1648
	s_waitcnt vmcnt(10)
	ds_write_b32 v85, v32 offset:1912
	s_waitcnt vmcnt(9)
	ds_write_b32 v85, v22 offset:2176
	s_waitcnt vmcnt(8)
	ds_write_b32 v85, v23 offset:2440
	s_waitcnt vmcnt(7)
	ds_write_b32 v85, v24 offset:2704
	s_waitcnt vmcnt(6)
	ds_write_b32 v85, v25 offset:2968
	s_waitcnt vmcnt(5)
	ds_write_b32 v85, v15 offset:3232
	s_waitcnt vmcnt(4)
	ds_write_b32 v85, v16 offset:3496
	s_waitcnt vmcnt(3)
	ds_write_b32 v85, v17 offset:3760
	s_waitcnt vmcnt(2)
	ds_write_b32 v85, v18 offset:4024
	v_ashrrev_i32_e32 v15, 31, v14
	v_lshl_add_u64 v[10:11], v[14:15], 2, v[4:5]
	v_add_u32_e32 v14, s51, v82
	v_add_u32_e32 v16, s52, v82
	;; [unrolled: 1-line block ×5, first 2 shown]
	v_ashrrev_i32_e32 v15, 31, v14
	v_ashrrev_i32_e32 v17, 31, v16
	;; [unrolled: 1-line block ×5, first 2 shown]
	v_lshl_add_u64 v[14:15], v[14:15], 2, v[4:5]
	v_lshl_add_u64 v[16:17], v[16:17], 2, v[4:5]
	v_lshl_add_u64 v[18:19], v[18:19], 2, v[4:5]
	v_lshl_add_u64 v[22:23], v[22:23], 2, v[4:5]
	v_lshl_add_u64 v[24:25], v[24:25], 2, v[4:5]
	global_load_dword v0, v[10:11], off
	global_load_dword v26, v[12:13], off
	global_load_dword v27, v[14:15], off
	global_load_dword v30, v[16:17], off
	global_load_dword v31, v[18:19], off
	global_load_dword v32, v[20:21], off
	global_load_dword v35, v[22:23], off
	global_load_dword v36, v[24:25], off
	v_add_u32_e32 v10, s57, v82
	v_ashrrev_i32_e32 v11, 31, v10
	v_add_u32_e32 v12, s58, v82
	v_add_u32_e32 v14, s59, v82
	v_add_u32_e32 v16, s60, v82
	v_add_u32_e32 v18, s61, v82
	v_add_u32_e32 v20, s62, v82
	v_add_u32_e32 v22, s63, v82
	v_add_u32_e32 v24, s64, v82
	v_lshl_add_u64 v[10:11], v[10:11], 2, v[4:5]
	v_ashrrev_i32_e32 v13, 31, v12
	v_ashrrev_i32_e32 v15, 31, v14
	v_ashrrev_i32_e32 v17, 31, v16
	v_ashrrev_i32_e32 v19, 31, v18
	v_ashrrev_i32_e32 v21, 31, v20
	v_ashrrev_i32_e32 v23, 31, v22
	v_ashrrev_i32_e32 v25, 31, v24
	v_lshl_add_u64 v[12:13], v[12:13], 2, v[4:5]
	v_lshl_add_u64 v[14:15], v[14:15], 2, v[4:5]
	v_lshl_add_u64 v[16:17], v[16:17], 2, v[4:5]
	v_lshl_add_u64 v[18:19], v[18:19], 2, v[4:5]
	v_lshl_add_u64 v[20:21], v[20:21], 2, v[4:5]
	v_lshl_add_u64 v[22:23], v[22:23], 2, v[4:5]
	v_lshl_add_u64 v[24:25], v[24:25], 2, v[4:5]
	global_load_dword v37, v[10:11], off
	global_load_dword v38, v[12:13], off
	global_load_dword v39, v[14:15], off
	global_load_dword v40, v[16:17], off
	global_load_dword v41, v[18:19], off
	global_load_dword v42, v[20:21], off
	global_load_dword v44, v[22:23], off
	global_load_dword v45, v[24:25], off
	v_add_u32_e32 v10, s65, v82
	v_ashrrev_i32_e32 v11, 31, v10
	v_add_u32_e32 v12, s66, v82
	v_add_u32_e32 v14, s67, v82
	v_add_u32_e32 v16, s68, v82
	v_add_u32_e32 v18, s69, v82
	v_add_u32_e32 v20, s70, v82
	v_add_u32_e32 v22, s71, v82
	v_add_u32_e32 v24, s72, v82
	v_lshl_add_u64 v[10:11], v[10:11], 2, v[4:5]
	v_ashrrev_i32_e32 v13, 31, v12
	v_ashrrev_i32_e32 v15, 31, v14
	v_ashrrev_i32_e32 v17, 31, v16
	v_ashrrev_i32_e32 v19, 31, v18
	v_ashrrev_i32_e32 v21, 31, v20
	v_ashrrev_i32_e32 v23, 31, v22
	v_ashrrev_i32_e32 v25, 31, v24
	v_lshl_add_u64 v[12:13], v[12:13], 2, v[4:5]
	v_lshl_add_u64 v[14:15], v[14:15], 2, v[4:5]
	;; [unrolled: 32-line block ×4, first 2 shown]
	v_lshl_add_u64 v[16:17], v[16:17], 2, v[4:5]
	v_lshl_add_u64 v[18:19], v[18:19], 2, v[4:5]
	;; [unrolled: 1-line block ×5, first 2 shown]
	global_load_dword v62, v[10:11], off
	global_load_dword v63, v[12:13], off
	;; [unrolled: 1-line block ×8, first 2 shown]
	v_add_u32_e32 v10, s89, v82
	v_ashrrev_i32_e32 v11, 31, v10
	v_add_u32_e32 v12, s90, v82
	v_lshl_add_u64 v[10:11], v[10:11], 2, v[4:5]
	v_ashrrev_i32_e32 v13, 31, v12
	v_lshl_add_u64 v[12:13], v[12:13], 2, v[4:5]
	global_load_dword v70, v[10:11], off
	global_load_dword v71, v[12:13], off
	v_add_u32_e32 v10, s91, v82
	v_ashrrev_i32_e32 v11, 31, v10
	v_add_u32_e32 v12, s92, v82
	v_add_u32_e32 v14, s93, v82
	;; [unrolled: 1-line block ×3, first 2 shown]
	v_lshl_add_u64 v[10:11], v[10:11], 2, v[4:5]
	v_ashrrev_i32_e32 v13, 31, v12
	v_ashrrev_i32_e32 v15, 31, v14
	;; [unrolled: 1-line block ×3, first 2 shown]
	v_lshl_add_u64 v[12:13], v[12:13], 2, v[4:5]
	v_lshl_add_u64 v[14:15], v[14:15], 2, v[4:5]
	;; [unrolled: 1-line block ×3, first 2 shown]
	global_load_dword v72, v[10:11], off
	global_load_dword v73, v[12:13], off
	;; [unrolled: 1-line block ×4, first 2 shown]
	ds_read_b64 v[28:29], v86 offset:64
	ds_read_b64 v[22:23], v86 offset:96
	ds_read_b64 v[20:21], v86 offset:128
	ds_read_b64 v[18:19], v86 offset:160
	ds_read_b64 v[16:17], v86 offset:192
	ds_read_b64 v[14:15], v86 offset:224
	ds_read_b64 v[12:13], v86 offset:256
	ds_read_b64 v[10:11], v86 offset:288
	s_waitcnt vmcnt(47)
	ds_write_b32 v85, v33 offset:64
	s_waitcnt vmcnt(46)
	ds_write_b32 v85, v34 offset:328
	s_waitcnt vmcnt(45)
	ds_write_b32 v85, v0 offset:592
	s_waitcnt vmcnt(44)
	ds_write_b32 v85, v26 offset:856
	s_waitcnt vmcnt(43)
	ds_write_b32 v85, v27 offset:1120
	s_waitcnt vmcnt(42)
	ds_write_b32 v85, v30 offset:1384
	s_waitcnt vmcnt(41)
	ds_write_b32 v85, v31 offset:1648
	s_waitcnt vmcnt(40)
	ds_write_b32 v85, v32 offset:1912
	s_waitcnt vmcnt(39)
	ds_write_b32 v85, v35 offset:2176
	s_waitcnt vmcnt(38)
	ds_write_b32 v85, v36 offset:2440
	s_waitcnt vmcnt(37)
	ds_write_b32 v85, v37 offset:2704
	s_waitcnt vmcnt(36)
	ds_write_b32 v85, v38 offset:2968
	s_waitcnt vmcnt(35)
	ds_write_b32 v85, v39 offset:3232
	s_waitcnt vmcnt(34)
	ds_write_b32 v85, v40 offset:3496
	s_waitcnt vmcnt(33)
	ds_write_b32 v85, v41 offset:3760
	s_waitcnt vmcnt(32)
	ds_write_b32 v85, v42 offset:4024
	ds_read_b64 v[42:43], v86 offset:64
	ds_read_b64 v[40:41], v86 offset:96
	ds_read_b64 v[36:37], v86 offset:128
	ds_read_b64 v[34:35], v86 offset:160
	ds_read_b64 v[32:33], v86 offset:192
	ds_read_b64 v[30:31], v86 offset:224
	ds_read_b64 v[26:27], v86 offset:256
	ds_read_b64 v[24:25], v86 offset:288
	s_waitcnt vmcnt(31)
	ds_write_b32 v85, v44 offset:64
	s_waitcnt vmcnt(30)
	ds_write_b32 v85, v45 offset:328
	s_waitcnt vmcnt(29)
	ds_write_b32 v85, v46 offset:592
	s_waitcnt vmcnt(28)
	ds_write_b32 v85, v47 offset:856
	s_waitcnt vmcnt(27)
	ds_write_b32 v85, v48 offset:1120
	s_waitcnt vmcnt(26)
	ds_write_b32 v85, v49 offset:1384
	s_waitcnt vmcnt(25)
	ds_write_b32 v85, v50 offset:1648
	s_waitcnt vmcnt(24)
	ds_write_b32 v85, v51 offset:1912
	s_waitcnt vmcnt(23)
	ds_write_b32 v85, v52 offset:2176
	s_waitcnt vmcnt(22)
	ds_write_b32 v85, v53 offset:2440
	s_waitcnt vmcnt(21)
	ds_write_b32 v85, v54 offset:2704
	s_waitcnt vmcnt(20)
	ds_write_b32 v85, v55 offset:2968
	s_waitcnt vmcnt(19)
	ds_write_b32 v85, v56 offset:3232
	s_waitcnt vmcnt(18)
	ds_write_b32 v85, v57 offset:3496
	s_waitcnt vmcnt(17)
	ds_write_b32 v85, v58 offset:3760
	s_waitcnt vmcnt(16)
	ds_write_b32 v85, v59 offset:4024
	ds_read_b64 v[56:57], v86 offset:64
	ds_read_b64 v[54:55], v86 offset:96
	ds_read_b64 v[52:53], v86 offset:128
	ds_read_b64 v[50:51], v86 offset:160
	ds_read_b64 v[48:49], v86 offset:192
	ds_read_b64 v[46:47], v86 offset:224
	ds_read_b64 v[44:45], v86 offset:256
	ds_read_b64 v[38:39], v86 offset:288
	s_waitcnt vmcnt(15)
	ds_write_b32 v85, v60 offset:64
	s_waitcnt vmcnt(14)
	ds_write_b32 v85, v61 offset:328
	s_waitcnt vmcnt(13)
	ds_write_b32 v85, v62 offset:592
	s_waitcnt vmcnt(12)
	ds_write_b32 v85, v63 offset:856
	s_waitcnt vmcnt(11)
	ds_write_b32 v85, v64 offset:1120
	s_waitcnt vmcnt(10)
	ds_write_b32 v85, v65 offset:1384
	s_waitcnt vmcnt(9)
	ds_write_b32 v85, v66 offset:1648
	s_waitcnt vmcnt(8)
	ds_write_b32 v85, v67 offset:1912
	s_waitcnt vmcnt(7)
	ds_write_b32 v85, v68 offset:2176
	s_waitcnt vmcnt(6)
	ds_write_b32 v85, v69 offset:2440
	s_waitcnt vmcnt(5)
	ds_write_b32 v85, v70 offset:2704
	s_waitcnt vmcnt(4)
	ds_write_b32 v85, v71 offset:2968
	s_waitcnt vmcnt(3)
	ds_write_b32 v85, v72 offset:3232
	s_waitcnt vmcnt(2)
	ds_write_b32 v85, v73 offset:3496
	s_waitcnt vmcnt(1)
	ds_write_b32 v85, v74 offset:3760
	s_waitcnt vmcnt(0)
	ds_write_b32 v85, v75 offset:4024
	ds_read_b64 v[72:73], v86 offset:64
	ds_read_b64 v[70:71], v86 offset:96
	;; [unrolled: 1-line block ×8, first 2 shown]
	v_mov_b32_e32 v74, 0
	s_cbranch_vccnz .LBB100_48
; %bb.45:                               ;   in Loop: Header=BB100_44 Depth=1
	ds_read_b32 v0, v84
	s_waitcnt lgkmcnt(0)
	v_cmp_gt_i32_e32 vcc, 0, v0
	s_cbranch_vccnz .LBB100_47
; %bb.46:                               ;   in Loop: Header=BB100_44 Depth=1
	v_mul_lo_u32 v0, v0, s29
	v_add_u32_e32 v76, v87, v0
	v_ashrrev_i32_e32 v77, 31, v76
	v_lshl_add_u64 v[76:77], v[76:77], 2, v[6:7]
	global_load_dwordx2 v[76:77], v[76:77], off
	s_branch .LBB100_48
.LBB100_47:                             ;   in Loop: Header=BB100_44 Depth=1
	v_mov_b32_e32 v76, 0
	v_mov_b32_e32 v77, 0
.LBB100_48:                             ;   in Loop: Header=BB100_44 Depth=1
	s_waitcnt vmcnt(0)
	v_cvt_pk_f16_f32 v0, v76, v77
	s_andn2_b64 vcc, exec, s[8:9]
	v_mov_b32_e32 v76, 0
	v_mov_b32_e32 v77, 0
	ds_write_b32 v85, v0 offset:64
	s_cbranch_vccnz .LBB100_52
; %bb.49:                               ;   in Loop: Header=BB100_44 Depth=1
	ds_read_b32 v0, v84 offset:4
	s_waitcnt lgkmcnt(0)
	v_cmp_gt_i32_e32 vcc, 0, v0
	s_cbranch_vccnz .LBB100_51
; %bb.50:                               ;   in Loop: Header=BB100_44 Depth=1
	v_mul_lo_u32 v0, v0, s29
	v_add_u32_e32 v0, s24, v0
	v_add_u32_e32 v76, v0, v87
	v_ashrrev_i32_e32 v77, 31, v76
	v_lshl_add_u64 v[76:77], v[76:77], 2, v[6:7]
	global_load_dwordx2 v[76:77], v[76:77], off
	s_branch .LBB100_52
.LBB100_51:                             ;   in Loop: Header=BB100_44 Depth=1
	v_mov_b32_e32 v76, 0
	v_mov_b32_e32 v77, 0
.LBB100_52:                             ;   in Loop: Header=BB100_44 Depth=1
	s_waitcnt vmcnt(0)
	v_cvt_pk_f16_f32 v0, v76, v77
	s_andn2_b64 vcc, exec, s[10:11]
	v_mov_b32_e32 v75, 0
	ds_write_b32 v85, v0 offset:328
	s_cbranch_vccnz .LBB100_43
; %bb.53:                               ;   in Loop: Header=BB100_44 Depth=1
	ds_read_b32 v0, v84 offset:8
	s_waitcnt lgkmcnt(0)
	v_cmp_gt_i32_e32 vcc, 0, v0
	s_cbranch_vccz .LBB100_42
; %bb.54:                               ;   in Loop: Header=BB100_44 Depth=1
	v_mov_b32_e32 v74, 0
	v_mov_b32_e32 v75, 0
	s_branch .LBB100_43
.LBB100_55:
	s_or_b64 exec, exec, s[22:23]
.LBB100_56:
	s_or_b64 exec, exec, s[0:1]
	v_mov_b32_e32 v0, 0x100
	v_lshl_add_u32 v4, v81, 2, v0
	v_and_b32_e32 v1, 0x3f0, v2
	v_add3_u32 v1, v4, v83, v1
	v_accvgpr_read_b32 v5, a13
	v_accvgpr_read_b32 v6, a12
	ds_write2_b32 v1, v6, v5 offset0:16 offset1:17
	v_accvgpr_read_b32 v5, a15
	v_accvgpr_read_b32 v6, a14
	ds_write2_b32 v1, v6, v5 offset0:18 offset1:19
	;; [unrolled: 3-line block ×8, first 2 shown]
	v_lshl_add_u32 v5, v2, 2, v0
	s_movk_i32 s0, 0x108
	v_mad_u32_u24 v0, v3, s0, v5
	ds_read_b32 v6, v0 offset:64
	v_cmp_gt_u32_e32 vcc, 3, v3
	v_mov_b32_e32 v7, -1
	s_and_saveexec_b64 s[0:1], vcc
; %bb.57:
	s_movk_i32 s2, 0xff04
	v_mad_i32_i24 v0, v3, s2, v4
	ds_read_b32 v7, v0
; %bb.58:
	s_or_b64 exec, exec, s[0:1]
	s_mul_hi_i32 s1, s38, s4
	s_mul_i32 s0, s38, s4
	s_lshl_b64 s[0:1], s[0:1], 2
	v_mul_hi_i32 v1, v78, s25
	v_mul_lo_u32 v0, v78, s25
	s_add_u32 s0, s18, s0
	s_addc_u32 s1, s19, s1
	v_lshlrev_b64 v[0:1], 2, v[0:1]
	s_waitcnt lgkmcnt(0)
	v_cmp_lt_i32_e32 vcc, -1, v7
	v_mul_u32_u24_e32 v8, 0x108, v3
	v_add_u32_e32 v2, s5, v2
	v_lshl_add_u64 v[0:1], s[0:1], 0, v[0:1]
	s_and_b64 s[2:3], vcc, s[12:13]
	s_and_saveexec_b64 s[0:1], s[2:3]
	s_cbranch_execz .LBB100_60
; %bb.59:
	v_add_f32_e32 v9, 0, v6
	v_mul_lo_u32 v6, v7, s30
	v_mul_lo_u32 v7, v3, s25
	v_add3_u32 v6, v2, v7, v6
	v_mov_b32_e32 v7, 0
	v_lshl_add_u64 v[6:7], v[6:7], 2, v[0:1]
	global_store_dword v[6:7], v9, off
.LBB100_60:
	s_or_b64 exec, exec, s[0:1]
	v_add_u32_e32 v5, v8, v5
	ds_read_b32 v6, v5 offset:328
	v_cmp_gt_u32_e32 vcc, 2, v3
	v_mov_b32_e32 v7, -1
	s_and_saveexec_b64 s[0:1], vcc
; %bb.61:
	s_movk_i32 s2, 0xff04
	v_mad_i32_i24 v4, v3, s2, v4
	ds_read_b32 v7, v4 offset:4
; %bb.62:
	s_or_b64 exec, exec, s[0:1]
	s_waitcnt lgkmcnt(0)
	v_cmp_lt_i32_e32 vcc, -1, v7
	s_and_b64 s[2:3], vcc, s[16:17]
	s_and_saveexec_b64 s[0:1], s[2:3]
	s_cbranch_execz .LBB100_64
; %bb.63:
	v_add_f32_e32 v4, 0, v6
	v_mul_lo_u32 v6, v7, s30
	v_mul_lo_u32 v7, v79, s25
	v_add3_u32 v6, v2, v7, v6
	v_mov_b32_e32 v7, 0
	v_lshl_add_u64 v[6:7], v[6:7], 2, v[0:1]
	global_store_dword v[6:7], v4, off
.LBB100_64:
	s_or_b64 exec, exec, s[0:1]
	ds_read_b32 v4, v5 offset:592
	v_cmp_eq_u32_e32 vcc, 0, v3
	v_mov_b32_e32 v3, -1
	s_and_saveexec_b64 s[0:1], vcc
; %bb.65:
	v_mov_b32_e32 v3, 0x100
	ds_read_b32 v3, v3 offset:8
; %bb.66:
	s_or_b64 exec, exec, s[0:1]
	s_waitcnt lgkmcnt(0)
	v_cmp_lt_i32_e32 vcc, -1, v3
	s_and_b64 s[0:1], vcc, s[14:15]
	s_and_saveexec_b64 s[2:3], s[0:1]
	s_cbranch_execz .LBB100_68
; %bb.67:
	v_mul_lo_u32 v3, v3, s30
	v_mul_lo_u32 v5, v80, s25
	v_add3_u32 v2, v2, v5, v3
	v_mov_b32_e32 v3, 0
	v_add_f32_e32 v4, 0, v4
	v_lshl_add_u64 v[0:1], v[2:3], 2, v[0:1]
	global_store_dword v[0:1], v4, off
.LBB100_68:
	s_endpgm
	.section	.rodata,"a",@progbits
	.p2align	6, 0x0
	.amdhsa_kernel _ZL9mul_mat_fI7__half2Li64ELi3ELi1ELb1EEvPKT_PKfPKiPfiiiiiiiiiiiiiiii
		.amdhsa_group_segment_fixed_size 256
		.amdhsa_private_segment_fixed_size 0
		.amdhsa_kernarg_size 352
		.amdhsa_user_sgpr_count 2
		.amdhsa_user_sgpr_dispatch_ptr 0
		.amdhsa_user_sgpr_queue_ptr 0
		.amdhsa_user_sgpr_kernarg_segment_ptr 1
		.amdhsa_user_sgpr_dispatch_id 0
		.amdhsa_user_sgpr_kernarg_preload_length 0
		.amdhsa_user_sgpr_kernarg_preload_offset 0
		.amdhsa_user_sgpr_private_segment_size 0
		.amdhsa_uses_dynamic_stack 0
		.amdhsa_enable_private_segment 0
		.amdhsa_system_sgpr_workgroup_id_x 1
		.amdhsa_system_sgpr_workgroup_id_y 1
		.amdhsa_system_sgpr_workgroup_id_z 1
		.amdhsa_system_sgpr_workgroup_info 0
		.amdhsa_system_vgpr_workitem_id 2
		.amdhsa_next_free_vgpr 104
		.amdhsa_next_free_sgpr 95
		.amdhsa_accum_offset 88
		.amdhsa_reserve_vcc 1
		.amdhsa_float_round_mode_32 0
		.amdhsa_float_round_mode_16_64 0
		.amdhsa_float_denorm_mode_32 3
		.amdhsa_float_denorm_mode_16_64 3
		.amdhsa_dx10_clamp 1
		.amdhsa_ieee_mode 1
		.amdhsa_fp16_overflow 0
		.amdhsa_tg_split 0
		.amdhsa_exception_fp_ieee_invalid_op 0
		.amdhsa_exception_fp_denorm_src 0
		.amdhsa_exception_fp_ieee_div_zero 0
		.amdhsa_exception_fp_ieee_overflow 0
		.amdhsa_exception_fp_ieee_underflow 0
		.amdhsa_exception_fp_ieee_inexact 0
		.amdhsa_exception_int_div_zero 0
	.end_amdhsa_kernel
	.section	.text._ZL9mul_mat_fI7__half2Li64ELi3ELi1ELb1EEvPKT_PKfPKiPfiiiiiiiiiiiiiiii,"axG",@progbits,_ZL9mul_mat_fI7__half2Li64ELi3ELi1ELb1EEvPKT_PKfPKiPfiiiiiiiiiiiiiiii,comdat
.Lfunc_end100:
	.size	_ZL9mul_mat_fI7__half2Li64ELi3ELi1ELb1EEvPKT_PKfPKiPfiiiiiiiiiiiiiiii, .Lfunc_end100-_ZL9mul_mat_fI7__half2Li64ELi3ELi1ELb1EEvPKT_PKfPKiPfiiiiiiiiiiiiiiii
                                        ; -- End function
	.set _ZL9mul_mat_fI7__half2Li64ELi3ELi1ELb1EEvPKT_PKfPKiPfiiiiiiiiiiiiiiii.num_vgpr, 88
	.set _ZL9mul_mat_fI7__half2Li64ELi3ELi1ELb1EEvPKT_PKfPKiPfiiiiiiiiiiiiiiii.num_agpr, 16
	.set _ZL9mul_mat_fI7__half2Li64ELi3ELi1ELb1EEvPKT_PKfPKiPfiiiiiiiiiiiiiiii.numbered_sgpr, 95
	.set _ZL9mul_mat_fI7__half2Li64ELi3ELi1ELb1EEvPKT_PKfPKiPfiiiiiiiiiiiiiiii.num_named_barrier, 0
	.set _ZL9mul_mat_fI7__half2Li64ELi3ELi1ELb1EEvPKT_PKfPKiPfiiiiiiiiiiiiiiii.private_seg_size, 0
	.set _ZL9mul_mat_fI7__half2Li64ELi3ELi1ELb1EEvPKT_PKfPKiPfiiiiiiiiiiiiiiii.uses_vcc, 1
	.set _ZL9mul_mat_fI7__half2Li64ELi3ELi1ELb1EEvPKT_PKfPKiPfiiiiiiiiiiiiiiii.uses_flat_scratch, 0
	.set _ZL9mul_mat_fI7__half2Li64ELi3ELi1ELb1EEvPKT_PKfPKiPfiiiiiiiiiiiiiiii.has_dyn_sized_stack, 0
	.set _ZL9mul_mat_fI7__half2Li64ELi3ELi1ELb1EEvPKT_PKfPKiPfiiiiiiiiiiiiiiii.has_recursion, 0
	.set _ZL9mul_mat_fI7__half2Li64ELi3ELi1ELb1EEvPKT_PKfPKiPfiiiiiiiiiiiiiiii.has_indirect_call, 0
	.section	.AMDGPU.csdata,"",@progbits
; Kernel info:
; codeLenInByte = 6424
; TotalNumSgprs: 101
; NumVgprs: 88
; NumAgprs: 16
; TotalNumVgprs: 104
; ScratchSize: 0
; MemoryBound: 0
; FloatMode: 240
; IeeeMode: 1
; LDSByteSize: 256 bytes/workgroup (compile time only)
; SGPRBlocks: 12
; VGPRBlocks: 12
; NumSGPRsForWavesPerEU: 101
; NumVGPRsForWavesPerEU: 104
; AccumOffset: 88
; Occupancy: 4
; WaveLimiterHint : 0
; COMPUTE_PGM_RSRC2:SCRATCH_EN: 0
; COMPUTE_PGM_RSRC2:USER_SGPR: 2
; COMPUTE_PGM_RSRC2:TRAP_HANDLER: 0
; COMPUTE_PGM_RSRC2:TGID_X_EN: 1
; COMPUTE_PGM_RSRC2:TGID_Y_EN: 1
; COMPUTE_PGM_RSRC2:TGID_Z_EN: 1
; COMPUTE_PGM_RSRC2:TIDIG_COMP_CNT: 2
; COMPUTE_PGM_RSRC3_GFX90A:ACCUM_OFFSET: 21
; COMPUTE_PGM_RSRC3_GFX90A:TG_SPLIT: 0
	.section	.text._ZL9mul_mat_fI7__half2Li64ELi3ELi1ELb0EEvPKT_PKfPKiPfiiiiiiiiiiiiiiii,"axG",@progbits,_ZL9mul_mat_fI7__half2Li64ELi3ELi1ELb0EEvPKT_PKfPKiPfiiiiiiiiiiiiiiii,comdat
	.globl	_ZL9mul_mat_fI7__half2Li64ELi3ELi1ELb0EEvPKT_PKfPKiPfiiiiiiiiiiiiiiii ; -- Begin function _ZL9mul_mat_fI7__half2Li64ELi3ELi1ELb0EEvPKT_PKfPKiPfiiiiiiiiiiiiiiii
	.p2align	8
	.type	_ZL9mul_mat_fI7__half2Li64ELi3ELi1ELb0EEvPKT_PKfPKiPfiiiiiiiiiiiiiiii,@function
_ZL9mul_mat_fI7__half2Li64ELi3ELi1ELb0EEvPKT_PKfPKiPfiiiiiiiiiiiiiiii: ; @_ZL9mul_mat_fI7__half2Li64ELi3ELi1ELb0EEvPKT_PKfPKiPfiiiiiiiiiiiiiiii
; %bb.0:
	s_load_dword s5, s[0:1], 0x20
	s_load_dwordx4 s[16:19], s[0:1], 0x2c
	v_bfe_u32 v84, v0, 10, 10
	v_lshlrev_b32_e32 v86, 6, v84
	v_and_b32_e32 v85, 0x3ff, v0
	v_or_b32_e32 v87, v86, v85
	s_waitcnt lgkmcnt(0)
	s_ashr_i32 s19, s4, 31
	v_cmp_le_i32_e32 vcc, s5, v87
	v_and_b32_e32 v1, 15, v85
                                        ; implicit-def: $vgpr88
	s_and_saveexec_b64 s[6:7], vcc
	s_xor_b64 s[6:7], exec, s[6:7]
; %bb.1:
	v_mul_u32_u24_e32 v88, 0x108, v1
                                        ; implicit-def: $vgpr87
                                        ; implicit-def: $vgpr1
; %bb.2:
	s_or_saveexec_b64 s[24:25], s[6:7]
	s_load_dwordx8 s[8:15], s[0:1], 0x40
	s_load_dwordx2 s[6:7], s[0:1], 0x18
	s_lshl_b32 s2, s2, 6
	v_mov_b32_e32 v3, 0
	v_accvgpr_write_b32 a0, 0
	v_accvgpr_write_b32 a1, 0
	;; [unrolled: 1-line block ×16, first 2 shown]
	v_lshlrev_b32_e32 v0, 2, v85
	s_xor_b64 exec, exec, s[24:25]
	s_cbranch_execz .LBB101_6
; %bb.3:
	s_waitcnt lgkmcnt(0)
	s_abs_i32 s26, s8
	v_cvt_f32_u32_e32 v2, s26
	s_abs_i32 s27, s12
	v_cvt_f32_u32_e32 v4, s27
	s_sub_i32 s20, 0, s26
	v_rcp_iflag_f32_e32 v2, v2
	s_abs_i32 s28, s3
	v_rcp_iflag_f32_e32 v4, v4
	s_sub_i32 s21, 0, s27
	v_mul_f32_e32 v2, 0x4f7ffffe, v2
	v_cvt_u32_f32_e32 v2, v2
	v_mul_f32_e32 v4, 0x4f7ffffe, v4
	v_cvt_u32_f32_e32 v4, v4
	s_abs_i32 s29, s4
	v_mul_lo_u32 v5, s20, v2
	v_mul_hi_u32 v5, v2, v5
	v_add_u32_e32 v2, v2, v5
	v_mul_hi_u32 v2, s28, v2
	v_mul_lo_u32 v6, s21, v4
	v_mul_lo_u32 v5, v2, s26
	v_mul_hi_u32 v6, v4, v6
	v_sub_u32_e32 v5, s28, v5
	v_add_u32_e32 v4, v4, v6
	v_subrev_u32_e32 v7, s26, v5
	v_cmp_le_u32_e32 vcc, s26, v5
	v_mul_hi_u32 v4, s29, v4
	v_add_u32_e32 v6, 1, v2
	v_cndmask_b32_e32 v5, v5, v7, vcc
	v_cndmask_b32_e32 v2, v2, v6, vcc
	v_cmp_le_u32_e32 vcc, s26, v5
	v_mul_lo_u32 v5, v4, s27
	s_load_dwordx4 s[20:23], s[0:1], 0x0
	s_ashr_i32 s0, s3, 31
	s_ashr_i32 s1, s8, 31
	v_add_u32_e32 v6, 1, v2
	v_sub_u32_e32 v5, s29, v5
	s_xor_b32 s0, s0, s1
	v_cndmask_b32_e32 v2, v2, v6, vcc
	v_add_u32_e32 v6, 1, v4
	v_subrev_u32_e32 v7, s27, v5
	v_cmp_le_u32_e32 vcc, s27, v5
	v_xor_b32_e32 v2, s0, v2
	s_ashr_i32 s8, s12, 31
	v_cndmask_b32_e32 v4, v4, v6, vcc
	v_cndmask_b32_e32 v5, v5, v7, vcc
	v_subrev_u32_e32 v2, s0, v2
	v_add_u32_e32 v6, 1, v4
	v_cmp_le_u32_e32 vcc, s27, v5
	s_xor_b32 s0, s19, s8
	s_mul_i32 s8, s14, s4
	v_cndmask_b32_e32 v4, v4, v6, vcc
	v_mul_lo_u32 v6, v2, s9
	s_mul_hi_i32 s9, s14, s4
	v_xor_b32_e32 v4, s0, v4
	s_lshl_b64 s[26:27], s[8:9], 2
	v_subrev_u32_e32 v4, s0, v4
	s_mul_i32 s0, s16, s2
	s_mul_i32 s28, s10, s3
	s_waitcnt lgkmcnt(0)
	s_add_u32 s8, s22, s26
	v_mul_hi_i32 v5, v4, s13
	v_mul_lo_u32 v4, v4, s13
	s_addc_u32 s9, s23, s27
	s_ashr_i32 s1, s0, 31
	s_ashr_i32 s29, s28, 31
	v_ashrrev_i32_e32 v7, 31, v6
	v_lshlrev_b64 v[8:9], 2, v[4:5]
	s_lshl_b64 s[12:13], s[0:1], 2
	s_lshl_b64 s[28:29], s[28:29], 2
	v_lshl_add_u64 v[4:5], s[20:21], 0, v[8:9]
	v_lshlrev_b64 v[6:7], 2, v[6:7]
	s_add_u32 s0, s8, s28
	s_movk_i32 s8, 0x1080
	v_mul_u32_u24_e32 v88, 0x108, v1
	v_lshrrev_b32_e32 v1, 1, v85
	v_lshl_add_u64 v[4:5], v[4:5], 0, v[6:7]
	v_mad_u32_u24 v2, v84, s8, 0
	v_and_b32_e32 v1, 0x1f8, v1
	v_lshl_add_u64 v[6:7], v[6:7], 0, s[12:13]
	s_addc_u32 s1, s9, s29
	v_add_u32_e32 v89, v2, v0
	v_add3_u32 v90, v2, v88, v1
	s_ashr_i32 s9, s16, 31
	s_mov_b32 s8, s16
	s_ashr_i32 s75, s17, 31
	s_mov_b32 s74, s17
	v_lshlrev_b32_e32 v2, 8, v84
	v_lshl_add_u64 v[6:7], v[6:7], 0, v[8:9]
	v_lshl_add_u64 v[4:5], v[4:5], 0, s[12:13]
	s_add_i32 s10, s16, s16
	s_add_i32 s14, s17, s17
	s_lshl_b32 s30, s16, 2
	s_lshl_b32 s35, s16, 3
	;; [unrolled: 1-line block ×4, first 2 shown]
	s_lshl_b64 s[8:9], s[8:9], 2
	s_lshl_b64 s[12:13], s[74:75], 3
	v_lshl_add_u64 v[6:7], v[6:7], 0, v[2:3]
	v_lshlrev_b32_e32 v2, 9, v84
	s_add_u32 s22, s22, s28
	v_mov_b32_e32 v1, v3
	v_lshl_add_u64 v[8:9], s[26:27], 0, v[2:3]
	v_lshlrev_b32_e32 v2, 3, v85
	s_addc_u32 s23, s23, s29
	v_lshl_add_u64 v[6:7], v[6:7], 0, v[0:1]
	v_lshl_add_u64 v[8:9], v[8:9], 0, v[2:3]
	s_mul_i32 s19, s16, 3
	s_mul_i32 s31, s16, 5
	;; [unrolled: 1-line block ×41, first 2 shown]
	v_lshl_add_u64 v[6:7], s[20:21], 0, v[6:7]
	s_mul_i32 s73, s16, 48
	s_mul_i32 s74, s16, 49
	;; [unrolled: 1-line block ×6, first 2 shown]
	v_lshl_add_u64 v[8:9], s[22:23], 0, v[8:9]
	s_mul_i32 s77, s16, 54
	s_mul_i32 s78, s16, 55
	v_accvgpr_write_b32 a15, 0
	v_accvgpr_write_b32 a14, 0
	;; [unrolled: 1-line block ×16, first 2 shown]
	s_mul_i32 s79, s16, 56
	s_mul_i32 s80, s16, 57
	;; [unrolled: 1-line block ×8, first 2 shown]
	s_mov_b64 s[16:17], 0
	s_mov_b64 s[20:21], 0x100
	;; [unrolled: 1-line block ×3, first 2 shown]
.LBB101_4:                              ; =>This Inner Loop Header: Depth=1
	v_add_u32_e32 v82, s10, v87
	v_add_u32_e32 v66, s19, v87
	;; [unrolled: 1-line block ×3, first 2 shown]
	v_lshl_add_u64 v[62:63], v[6:7], 0, s[8:9]
	v_add_u32_e32 v76, s31, v87
	v_add_u32_e32 v78, s33, v87
	v_ashrrev_i32_e32 v83, 31, v82
	v_ashrrev_i32_e32 v67, 31, v66
	;; [unrolled: 1-line block ×3, first 2 shown]
	v_add_u32_e32 v72, s34, v87
	v_add_u32_e32 v74, s35, v87
	global_load_dword v1, v[62:63], off
	v_lshl_add_u64 v[62:63], v[82:83], 2, v[4:5]
	v_lshl_add_u64 v[66:67], v[66:67], 2, v[4:5]
	;; [unrolled: 1-line block ×3, first 2 shown]
	v_ashrrev_i32_e32 v77, 31, v76
	v_ashrrev_i32_e32 v79, 31, v78
	v_add_u32_e32 v68, s36, v87
	v_add_u32_e32 v70, s37, v87
	global_load_dword v2, v[62:63], off
	global_load_dword v80, v[66:67], off
	;; [unrolled: 1-line block ×3, first 2 shown]
	v_lshl_add_u64 v[76:77], v[76:77], 2, v[4:5]
	v_lshl_add_u64 v[82:83], v[78:79], 2, v[4:5]
	v_ashrrev_i32_e32 v73, 31, v72
	v_ashrrev_i32_e32 v75, 31, v74
	v_add_u32_e32 v60, s38, v87
	v_add_u32_e32 v64, s39, v87
	global_load_dword v78, v[76:77], off
	global_load_dword v79, v[82:83], off
	v_lshl_add_u64 v[72:73], v[72:73], 2, v[4:5]
	v_lshl_add_u64 v[82:83], v[74:75], 2, v[4:5]
	v_ashrrev_i32_e32 v69, 31, v68
	v_ashrrev_i32_e32 v71, 31, v70
	v_add_u32_e32 v54, s40, v87
	v_add_u32_e32 v58, s41, v87
	global_load_dword v74, v[72:73], off
	global_load_dword v75, v[82:83], off
	;; [unrolled: 8-line block ×3, first 2 shown]
	v_lshl_add_u64 v[60:61], v[60:61], 2, v[4:5]
	v_lshl_add_u64 v[82:83], v[64:65], 2, v[4:5]
	v_ashrrev_i32_e32 v55, 31, v54
	v_ashrrev_i32_e32 v59, 31, v58
	v_add_u32_e32 v40, s44, v87
	v_add_u32_e32 v46, s45, v87
	;; [unrolled: 1-line block ×6, first 2 shown]
	global_load_dword v64, v[60:61], off
	global_load_dword v65, v[82:83], off
	v_lshl_add_u64 v[54:55], v[54:55], 2, v[4:5]
	v_lshl_add_u64 v[82:83], v[58:59], 2, v[4:5]
	v_ashrrev_i32_e32 v45, 31, v44
	v_ashrrev_i32_e32 v57, 31, v56
	v_add_u32_e32 v36, s47, v87
	v_add_u32_e32 v16, s51, v87
	;; [unrolled: 1-line block ×4, first 2 shown]
	global_load_dword v58, v[54:55], off
	global_load_dword v59, v[82:83], off
	v_lshl_add_u64 v[44:45], v[44:45], 2, v[4:5]
	v_lshl_add_u64 v[82:83], v[56:57], 2, v[4:5]
	v_ashrrev_i32_e32 v41, 31, v40
	v_ashrrev_i32_e32 v47, 31, v46
	;; [unrolled: 1-line block ×6, first 2 shown]
	v_add_u32_e32 v14, s54, v87
	v_add_u32_e32 v22, s55, v87
	global_load_dword v57, v[44:45], off
	global_load_dword v56, v[82:83], off
	v_lshl_add_u64 v[40:41], v[40:41], 2, v[4:5]
	v_lshl_add_u64 v[82:83], v[46:47], 2, v[4:5]
	v_ashrrev_i32_e32 v37, 31, v36
	v_lshl_add_u64 v[32:33], v[32:33], 2, v[4:5]
	v_lshl_add_u64 v[24:25], v[24:25], 2, v[4:5]
	;; [unrolled: 1-line block ×3, first 2 shown]
	v_ashrrev_i32_e32 v17, 31, v16
	v_lshl_add_u64 v[12:13], v[12:13], 2, v[4:5]
	v_ashrrev_i32_e32 v11, 31, v10
	v_ashrrev_i32_e32 v19, 31, v18
	v_add_u32_e32 v20, s56, v87
	v_add_u32_e32 v30, s57, v87
	global_load_dword v46, v[40:41], off
	global_load_dword v47, v[82:83], off
	v_lshl_add_u64 v[82:83], v[36:37], 2, v[4:5]
	global_load_dword v36, v[32:33], off
	global_load_dword v37, v[82:83], off
	s_nop 0
	global_load_dword v24, v[24:25], off
	s_nop 0
	global_load_dword v25, v[28:29], off
	v_lshl_add_u64 v[16:17], v[16:17], 2, v[4:5]
	global_load_dword v28, v[12:13], off
	global_load_dword v29, v[16:17], off
	v_lshl_add_u64 v[10:11], v[10:11], 2, v[4:5]
	v_lshl_add_u64 v[12:13], v[18:19], 2, v[4:5]
	v_ashrrev_i32_e32 v15, 31, v14
	v_ashrrev_i32_e32 v23, 31, v22
	v_add_u32_e32 v26, s58, v87
	v_add_u32_e32 v38, s59, v87
	global_load_dword v82, v[10:11], off
	global_load_dword v83, v[12:13], off
	v_lshl_add_u64 v[10:11], v[14:15], 2, v[4:5]
	v_lshl_add_u64 v[12:13], v[22:23], 2, v[4:5]
	v_ashrrev_i32_e32 v21, 31, v20
	v_ashrrev_i32_e32 v31, 31, v30
	v_add_u32_e32 v34, s60, v87
	v_add_u32_e32 v48, s61, v87
	global_load_dword v22, v[10:11], off
	global_load_dword v23, v[12:13], off
	v_lshl_add_u64 v[10:11], v[20:21], 2, v[4:5]
	v_lshl_add_u64 v[12:13], v[30:31], 2, v[4:5]
	v_ashrrev_i32_e32 v27, 31, v26
	v_ashrrev_i32_e32 v39, 31, v38
	v_add_u32_e32 v42, s62, v87
	v_add_u32_e32 v52, s63, v87
	global_load_dword v20, v[10:11], off
	global_load_dword v21, v[12:13], off
	v_lshl_add_u64 v[10:11], v[26:27], 2, v[4:5]
	v_lshl_add_u64 v[12:13], v[38:39], 2, v[4:5]
	v_ashrrev_i32_e32 v35, 31, v34
	v_ashrrev_i32_e32 v49, 31, v48
	v_add_u32_e32 v50, s64, v87
	v_add_u32_e32 v62, s65, v87
	global_load_dword v27, v[10:11], off
	global_load_dword v26, v[12:13], off
	v_lshl_add_u64 v[10:11], v[34:35], 2, v[4:5]
	v_lshl_add_u64 v[12:13], v[48:49], 2, v[4:5]
	v_ashrrev_i32_e32 v43, 31, v42
	v_ashrrev_i32_e32 v53, 31, v52
	v_add_u32_e32 v66, s66, v87
	v_add_u32_e32 v76, s67, v87
	global_load_dword v30, v[10:11], off
	global_load_dword v31, v[12:13], off
	v_lshl_add_u64 v[10:11], v[42:43], 2, v[4:5]
	v_lshl_add_u64 v[12:13], v[52:53], 2, v[4:5]
	v_ashrrev_i32_e32 v51, 31, v50
	v_ashrrev_i32_e32 v63, 31, v62
	v_add_u32_e32 v72, s68, v87
	v_add_u32_e32 v68, s69, v87
	global_load_dword v34, v[10:11], off
	global_load_dword v35, v[12:13], off
	v_lshl_add_u64 v[10:11], v[50:51], 2, v[4:5]
	v_lshl_add_u64 v[12:13], v[62:63], 2, v[4:5]
	v_ashrrev_i32_e32 v67, 31, v66
	v_ashrrev_i32_e32 v77, 31, v76
	v_add_u32_e32 v60, s70, v87
	v_add_u32_e32 v54, s71, v87
	global_load_dword v38, v[10:11], off
	global_load_dword v39, v[12:13], off
	v_lshl_add_u64 v[10:11], v[66:67], 2, v[4:5]
	v_lshl_add_u64 v[12:13], v[76:77], 2, v[4:5]
	v_ashrrev_i32_e32 v73, 31, v72
	v_ashrrev_i32_e32 v69, 31, v68
	v_add_u32_e32 v44, s72, v87
	v_add_u32_e32 v40, s28, v87
	global_load_dword v42, v[10:11], off
	global_load_dword v43, v[12:13], off
	v_lshl_add_u64 v[10:11], v[72:73], 2, v[4:5]
	v_lshl_add_u64 v[12:13], v[68:69], 2, v[4:5]
	v_ashrrev_i32_e32 v61, 31, v60
	v_ashrrev_i32_e32 v55, 31, v54
	v_add_u32_e32 v32, s29, v87
	v_add_u32_e32 v92, s73, v87
	global_load_dword v48, v[10:11], off
	global_load_dword v49, v[12:13], off
	v_lshl_add_u64 v[10:11], v[60:61], 2, v[4:5]
	v_lshl_add_u64 v[12:13], v[54:55], 2, v[4:5]
	v_ashrrev_i32_e32 v45, 31, v44
	v_ashrrev_i32_e32 v41, 31, v40
	v_add_u32_e32 v16, s74, v87
	v_add_u32_e32 v18, s75, v87
	global_load_dword v50, v[10:11], off
	global_load_dword v51, v[12:13], off
	v_lshl_add_u64 v[10:11], v[44:45], 2, v[4:5]
	v_lshl_add_u64 v[12:13], v[40:41], 2, v[4:5]
	v_ashrrev_i32_e32 v33, 31, v32
	v_ashrrev_i32_e32 v93, 31, v92
	v_add_u32_e32 v94, s76, v87
	global_load_dword v40, v[10:11], off
	global_load_dword v41, v[12:13], off
	v_lshl_add_u64 v[12:13], v[32:33], 2, v[4:5]
	v_lshl_add_u64 v[14:15], v[92:93], 2, v[4:5]
	v_ashrrev_i32_e32 v17, 31, v16
	v_ashrrev_i32_e32 v19, 31, v18
	v_add_u32_e32 v96, s26, v87
	v_add_u32_e32 v98, s27, v87
	global_load_dword v33, v[12:13], off
	global_load_dword v32, v[14:15], off
	v_lshl_add_u64 v[14:15], v[16:17], 2, v[4:5]
	v_lshl_add_u64 v[16:17], v[18:19], 2, v[4:5]
	v_ashrrev_i32_e32 v95, 31, v94
	v_add_u32_e32 v100, s77, v87
	v_add_u32_e32 v52, s78, v87
	global_load_dword v60, v[14:15], off
	global_load_dword v61, v[16:17], off
	v_ashrrev_i32_e32 v97, 31, v96
	v_lshl_add_u64 v[16:17], v[94:95], 2, v[4:5]
	v_ashrrev_i32_e32 v99, 31, v98
	v_add_u32_e32 v62, s79, v87
	v_add_u32_e32 v66, s80, v87
	v_lshl_add_u64 v[18:19], v[96:97], 2, v[4:5]
	global_load_dword v72, v[16:17], off
	global_load_dword v73, v[18:19], off
	v_lshl_add_u64 v[16:17], v[98:99], 2, v[4:5]
	v_ashrrev_i32_e32 v101, 31, v100
	v_ashrrev_i32_e32 v53, 31, v52
	v_add_u32_e32 v68, s81, v87
	global_load_dword v76, v[16:17], off
	global_load_dword v77, v[6:7], off
	v_lshl_add_u64 v[16:17], v[100:101], 2, v[4:5]
	v_lshl_add_u64 v[44:45], v[52:53], 2, v[4:5]
	v_ashrrev_i32_e32 v63, 31, v62
	v_ashrrev_i32_e32 v67, 31, v66
	v_add_u32_e32 v54, s82, v87
	global_load_dword v91, v[16:17], off
	global_load_dword v92, v[44:45], off
	s_nop 0
	global_load_dwordx2 v[16:17], v[8:9], off
	v_lshl_add_u64 v[44:45], v[62:63], 2, v[4:5]
	v_lshl_add_u64 v[52:53], v[66:67], 2, v[4:5]
	v_ashrrev_i32_e32 v69, 31, v68
	global_load_dword v62, v[44:45], off
	global_load_dword v63, v[52:53], off
	v_ashrrev_i32_e32 v55, 31, v54
	v_lshl_add_u64 v[52:53], v[68:69], 2, v[4:5]
	v_lshl_add_u64 v[44:45], v[8:9], 0, s[12:13]
	;; [unrolled: 1-line block ×3, first 2 shown]
	global_load_dword v66, v[52:53], off
	global_load_dword v67, v[54:55], off
	v_add_u32_e32 v52, s14, v87
	v_add_u32_e32 v10, s83, v87
	;; [unrolled: 1-line block ×5, first 2 shown]
	global_load_dwordx2 v[44:45], v[44:45], off
	v_ashrrev_i32_e32 v53, 31, v52
	v_ashrrev_i32_e32 v11, 31, v10
	;; [unrolled: 1-line block ×5, first 2 shown]
	v_lshl_add_u64 v[52:53], v[52:53], 3, s[0:1]
	v_lshl_add_u64 v[10:11], v[10:11], 2, v[4:5]
	;; [unrolled: 1-line block ×5, first 2 shown]
	global_load_dwordx2 v[52:53], v[52:53], off
	s_nop 0
	global_load_dword v68, v[10:11], off
	global_load_dword v69, v[12:13], off
	;; [unrolled: 1-line block ×4, first 2 shown]
	s_waitcnt vmcnt(62)
	ds_write_b32 v89, v1 offset:264
	v_accvgpr_read_b32 v97, a9
	v_accvgpr_read_b32 v96, a8
	;; [unrolled: 1-line block ×4, first 2 shown]
	v_accvgpr_mov_b32 a6, a12
	v_accvgpr_read_b32 v100, a4
	v_accvgpr_read_b32 v99, a11
	;; [unrolled: 1-line block ×3, first 2 shown]
	v_accvgpr_mov_b32 a7, a13
	v_accvgpr_mov_b32 a8, a14
	;; [unrolled: 1-line block ×3, first 2 shown]
	v_accvgpr_read_b32 v101, a5
	v_accvgpr_write_b32 a10, v96
	v_accvgpr_mov_b32 a17, a3
	v_accvgpr_mov_b32 a16, a2
	v_accvgpr_write_b32 a2, v100
	v_accvgpr_write_b32 a11, v97
	;; [unrolled: 1-line block ×7, first 2 shown]
	v_accvgpr_mov_b32 a15, a1
	v_accvgpr_mov_b32 a14, a0
	v_add_u32_e32 v87, 64, v87
	v_cmp_le_i32_e32 vcc, s5, v87
	v_lshl_add_u64 v[6:7], v[6:7], 0, s[20:21]
	s_or_b64 s[16:17], vcc, s[16:17]
	v_lshl_add_u64 v[8:9], v[8:9], 0, s[22:23]
	s_waitcnt vmcnt(13)
	ds_write_b32 v89, v77
	ds_write_b32 v89, v2 offset:528
	ds_write_b32 v89, v80 offset:792
	;; [unrolled: 1-line block ×14, first 2 shown]
	s_waitcnt vmcnt(10)
	v_cvt_pk_f16_f32 v77, v16, v17
	s_waitcnt vmcnt(5)
	v_cvt_pk_f16_f32 v1, v44, v45
	;; [unrolled: 2-line block ×3, first 2 shown]
	ds_read_b64 v[10:11], v90
	ds_read_b64 v[12:13], v90 offset:32
	ds_read_b64 v[14:15], v90 offset:64
	;; [unrolled: 1-line block ×7, first 2 shown]
	ds_write_b32 v89, v56
	ds_write_b32 v89, v46 offset:264
	ds_write_b32 v89, v47 offset:528
	;; [unrolled: 1-line block ×15, first 2 shown]
	ds_read_b64 v[20:21], v90
	ds_read_b64 v[22:23], v90 offset:32
	ds_read_b64 v[24:25], v90 offset:64
	;; [unrolled: 1-line block ×7, first 2 shown]
	ds_write_b32 v89, v26
	ds_write_b32 v89, v30 offset:264
	ds_write_b32 v89, v31 offset:528
	;; [unrolled: 1-line block ×15, first 2 shown]
	ds_read_b64 v[26:27], v90
	ds_read_b64 v[30:31], v90 offset:32
	ds_read_b64 v[34:35], v90 offset:64
	;; [unrolled: 1-line block ×7, first 2 shown]
	ds_write_b32 v89, v32
	ds_write_b32 v89, v60 offset:264
	ds_write_b32 v89, v61 offset:528
	;; [unrolled: 1-line block ×11, first 2 shown]
	s_waitcnt vmcnt(3)
	ds_write_b32 v89, v68 offset:3168
	s_waitcnt vmcnt(2)
	ds_write_b32 v89, v69 offset:3432
	;; [unrolled: 2-line block ×4, first 2 shown]
	ds_read_b64 v[32:33], v90
	ds_read_b64 v[60:61], v90 offset:32
	ds_read_b64 v[62:63], v90 offset:64
	;; [unrolled: 1-line block ×7, first 2 shown]
	ds_write_b32 v89, v77
	ds_write_b32 v89, v1 offset:264
	ds_write_b32 v89, v2 offset:528
	;; [unrolled: 1-line block ×15, first 2 shown]
	ds_read_b64 v[74:75], v90
	s_waitcnt lgkmcnt(0)
	v_mfma_f32_16x16x16_f16 a[6:9], v[10:11], v[74:75], a[6:9]
	ds_read_b64 v[10:11], v90 offset:32
	v_mfma_f32_16x16x16_f16 a[10:13], v[20:21], v[74:75], a[10:13]
	v_mfma_f32_16x16x16_f16 a[2:5], v[26:27], v[74:75], a[2:5]
	v_mfma_f32_16x16x16_f16 a[14:17], v[32:33], v[74:75], a[14:17]
	s_waitcnt lgkmcnt(0)
	v_mfma_f32_16x16x16_f16 a[6:9], v[12:13], v[10:11], a[6:9]
	v_mfma_f32_16x16x16_f16 a[10:13], v[22:23], v[10:11], a[10:13]
	v_mfma_f32_16x16x16_f16 a[0:3], v[30:31], v[10:11], a[2:5]
	v_mfma_f32_16x16x16_f16 a[14:17], v[60:61], v[10:11], a[14:17]
	ds_read_b64 v[10:11], v90 offset:64
	s_waitcnt lgkmcnt(0)
	v_mfma_f32_16x16x16_f16 a[4:7], v[14:15], v[10:11], a[6:9]
	v_mfma_f32_16x16x16_f16 a[8:11], v[24:25], v[10:11], a[10:13]
	v_mfma_f32_16x16x16_f16 a[0:3], v[34:35], v[10:11], a[0:3]
	v_mfma_f32_16x16x16_f16 a[12:15], v[62:63], v[10:11], a[14:17]
	ds_read_b64 v[10:11], v90 offset:96
	;; [unrolled: 6-line block ×6, first 2 shown]
	s_waitcnt lgkmcnt(0)
	v_mfma_f32_16x16x16_f16 a[12:15], v[54:55], v[10:11], a[4:7]
	v_mfma_f32_16x16x16_f16 a[8:11], v[58:59], v[10:11], a[8:11]
	;; [unrolled: 1-line block ×4, first 2 shown]
	s_andn2_b64 exec, exec, s[16:17]
	s_cbranch_execnz .LBB101_4
; %bb.5:
	s_or_b64 exec, exec, s[16:17]
.LBB101_6:
	s_or_b64 exec, exec, s[24:25]
	v_lshl_add_u32 v1, v86, 2, 0
	v_and_b32_e32 v2, 0x3f0, v85
	v_add3_u32 v1, v1, v88, v2
	v_accvgpr_read_b32 v2, a13
	v_accvgpr_read_b32 v3, a12
	ds_write2_b32 v1, v3, v2 offset1:1
	v_accvgpr_read_b32 v2, a15
	v_accvgpr_read_b32 v3, a14
	ds_write2_b32 v1, v3, v2 offset0:2 offset1:3
	v_accvgpr_read_b32 v2, a9
	v_accvgpr_read_b32 v3, a8
	ds_write2_b32 v1, v3, v2 offset0:16 offset1:17
	;; [unrolled: 3-line block ×6, first 2 shown]
	v_accvgpr_read_b32 v2, a3
	v_accvgpr_read_b32 v3, a2
	s_waitcnt lgkmcnt(0)
	s_mul_hi_i32 s1, s15, s4
	s_mul_i32 s0, s15, s4
	ds_write2_b32 v1, v3, v2 offset0:50 offset1:51
	v_mul_u32_u24_e32 v1, 0x108, v84
	s_lshl_b64 s[0:1], s[0:1], 2
	v_add3_u32 v6, 0, v0, v1
	s_add_u32 s4, s6, s0
	s_mul_i32 s0, s11, s3
	ds_read2_b32 v[0:1], v6 offset1:66
	s_addc_u32 s5, s7, s1
	s_ashr_i32 s1, s0, 31
	s_lshl_b64 s[0:1], s[0:1], 2
	s_add_u32 s0, s4, s0
	v_mul_lo_u32 v2, v84, s18
	s_addc_u32 s1, s5, s1
	v_add3_u32 v2, s2, v85, v2
	v_mov_b32_e32 v3, 0
	s_waitcnt lgkmcnt(0)
	v_add_f32_e32 v0, 0, v0
	v_lshl_add_u64 v[4:5], v[2:3], 2, s[0:1]
	global_store_dword v[4:5], v0, off
	ds_read_b32 v4, v6 offset:528
	v_add_u32_e32 v2, s18, v2
	v_add_f32_e32 v5, 0, v1
	v_lshl_add_u64 v[0:1], v[2:3], 2, s[0:1]
	v_add_u32_e32 v2, s18, v2
	global_store_dword v[0:1], v5, off
	s_waitcnt lgkmcnt(0)
	v_add_f32_e32 v4, 0, v4
	v_lshl_add_u64 v[0:1], v[2:3], 2, s[0:1]
	global_store_dword v[0:1], v4, off
	s_endpgm
	.section	.rodata,"a",@progbits
	.p2align	6, 0x0
	.amdhsa_kernel _ZL9mul_mat_fI7__half2Li64ELi3ELi1ELb0EEvPKT_PKfPKiPfiiiiiiiiiiiiiiii
		.amdhsa_group_segment_fixed_size 0
		.amdhsa_private_segment_fixed_size 0
		.amdhsa_kernarg_size 96
		.amdhsa_user_sgpr_count 2
		.amdhsa_user_sgpr_dispatch_ptr 0
		.amdhsa_user_sgpr_queue_ptr 0
		.amdhsa_user_sgpr_kernarg_segment_ptr 1
		.amdhsa_user_sgpr_dispatch_id 0
		.amdhsa_user_sgpr_kernarg_preload_length 0
		.amdhsa_user_sgpr_kernarg_preload_offset 0
		.amdhsa_user_sgpr_private_segment_size 0
		.amdhsa_uses_dynamic_stack 0
		.amdhsa_enable_private_segment 0
		.amdhsa_system_sgpr_workgroup_id_x 1
		.amdhsa_system_sgpr_workgroup_id_y 1
		.amdhsa_system_sgpr_workgroup_id_z 1
		.amdhsa_system_sgpr_workgroup_info 0
		.amdhsa_system_vgpr_workitem_id 1
		.amdhsa_next_free_vgpr 124
		.amdhsa_next_free_sgpr 87
		.amdhsa_accum_offset 104
		.amdhsa_reserve_vcc 1
		.amdhsa_float_round_mode_32 0
		.amdhsa_float_round_mode_16_64 0
		.amdhsa_float_denorm_mode_32 3
		.amdhsa_float_denorm_mode_16_64 3
		.amdhsa_dx10_clamp 1
		.amdhsa_ieee_mode 1
		.amdhsa_fp16_overflow 0
		.amdhsa_tg_split 0
		.amdhsa_exception_fp_ieee_invalid_op 0
		.amdhsa_exception_fp_denorm_src 0
		.amdhsa_exception_fp_ieee_div_zero 0
		.amdhsa_exception_fp_ieee_overflow 0
		.amdhsa_exception_fp_ieee_underflow 0
		.amdhsa_exception_fp_ieee_inexact 0
		.amdhsa_exception_int_div_zero 0
	.end_amdhsa_kernel
	.section	.text._ZL9mul_mat_fI7__half2Li64ELi3ELi1ELb0EEvPKT_PKfPKiPfiiiiiiiiiiiiiiii,"axG",@progbits,_ZL9mul_mat_fI7__half2Li64ELi3ELi1ELb0EEvPKT_PKfPKiPfiiiiiiiiiiiiiiii,comdat
.Lfunc_end101:
	.size	_ZL9mul_mat_fI7__half2Li64ELi3ELi1ELb0EEvPKT_PKfPKiPfiiiiiiiiiiiiiiii, .Lfunc_end101-_ZL9mul_mat_fI7__half2Li64ELi3ELi1ELb0EEvPKT_PKfPKiPfiiiiiiiiiiiiiiii
                                        ; -- End function
	.set _ZL9mul_mat_fI7__half2Li64ELi3ELi1ELb0EEvPKT_PKfPKiPfiiiiiiiiiiiiiiii.num_vgpr, 104
	.set _ZL9mul_mat_fI7__half2Li64ELi3ELi1ELb0EEvPKT_PKfPKiPfiiiiiiiiiiiiiiii.num_agpr, 20
	.set _ZL9mul_mat_fI7__half2Li64ELi3ELi1ELb0EEvPKT_PKfPKiPfiiiiiiiiiiiiiiii.numbered_sgpr, 87
	.set _ZL9mul_mat_fI7__half2Li64ELi3ELi1ELb0EEvPKT_PKfPKiPfiiiiiiiiiiiiiiii.num_named_barrier, 0
	.set _ZL9mul_mat_fI7__half2Li64ELi3ELi1ELb0EEvPKT_PKfPKiPfiiiiiiiiiiiiiiii.private_seg_size, 0
	.set _ZL9mul_mat_fI7__half2Li64ELi3ELi1ELb0EEvPKT_PKfPKiPfiiiiiiiiiiiiiiii.uses_vcc, 1
	.set _ZL9mul_mat_fI7__half2Li64ELi3ELi1ELb0EEvPKT_PKfPKiPfiiiiiiiiiiiiiiii.uses_flat_scratch, 0
	.set _ZL9mul_mat_fI7__half2Li64ELi3ELi1ELb0EEvPKT_PKfPKiPfiiiiiiiiiiiiiiii.has_dyn_sized_stack, 0
	.set _ZL9mul_mat_fI7__half2Li64ELi3ELi1ELb0EEvPKT_PKfPKiPfiiiiiiiiiiiiiiii.has_recursion, 0
	.set _ZL9mul_mat_fI7__half2Li64ELi3ELi1ELb0EEvPKT_PKfPKiPfiiiiiiiiiiiiiiii.has_indirect_call, 0
	.section	.AMDGPU.csdata,"",@progbits
; Kernel info:
; codeLenInByte = 4656
; TotalNumSgprs: 93
; NumVgprs: 104
; NumAgprs: 20
; TotalNumVgprs: 124
; ScratchSize: 0
; MemoryBound: 0
; FloatMode: 240
; IeeeMode: 1
; LDSByteSize: 0 bytes/workgroup (compile time only)
; SGPRBlocks: 11
; VGPRBlocks: 15
; NumSGPRsForWavesPerEU: 93
; NumVGPRsForWavesPerEU: 124
; AccumOffset: 104
; Occupancy: 4
; WaveLimiterHint : 0
; COMPUTE_PGM_RSRC2:SCRATCH_EN: 0
; COMPUTE_PGM_RSRC2:USER_SGPR: 2
; COMPUTE_PGM_RSRC2:TRAP_HANDLER: 0
; COMPUTE_PGM_RSRC2:TGID_X_EN: 1
; COMPUTE_PGM_RSRC2:TGID_Y_EN: 1
; COMPUTE_PGM_RSRC2:TGID_Z_EN: 1
; COMPUTE_PGM_RSRC2:TIDIG_COMP_CNT: 1
; COMPUTE_PGM_RSRC3_GFX90A:ACCUM_OFFSET: 25
; COMPUTE_PGM_RSRC3_GFX90A:TG_SPLIT: 0
	.section	.text._ZL13mul_mat_f_idsI7__half2Li64ELi3ELi2EEvPKT_PKfPKiS7_S7_Pfiiiiiiiiiiiiii15HIP_vector_typeIjLj3EESA_,"axG",@progbits,_ZL13mul_mat_f_idsI7__half2Li64ELi3ELi2EEvPKT_PKfPKiS7_S7_Pfiiiiiiiiiiiiii15HIP_vector_typeIjLj3EESA_,comdat
	.globl	_ZL13mul_mat_f_idsI7__half2Li64ELi3ELi2EEvPKT_PKfPKiS7_S7_Pfiiiiiiiiiiiiii15HIP_vector_typeIjLj3EESA_ ; -- Begin function _ZL13mul_mat_f_idsI7__half2Li64ELi3ELi2EEvPKT_PKfPKiS7_S7_Pfiiiiiiiiiiiiii15HIP_vector_typeIjLj3EESA_
	.p2align	8
	.type	_ZL13mul_mat_f_idsI7__half2Li64ELi3ELi2EEvPKT_PKfPKiS7_S7_Pfiiiiiiiiiiiiii15HIP_vector_typeIjLj3EESA_,@function
_ZL13mul_mat_f_idsI7__half2Li64ELi3ELi2EEvPKT_PKfPKiS7_S7_Pfiiiiiiiiiiiiii15HIP_vector_typeIjLj3EESA_: ; @_ZL13mul_mat_f_idsI7__half2Li64ELi3ELi2EEvPKT_PKfPKiS7_S7_Pfiiiiiiiiiiiiii15HIP_vector_typeIjLj3EESA_
; %bb.0:
	s_load_dwordx2 s[6:7], s[0:1], 0x20
	s_mov_b32 s34, s3
	s_ashr_i32 s35, s3, 31
	s_lshl_b64 s[8:9], s[34:35], 2
	s_waitcnt lgkmcnt(0)
	s_add_u32 s6, s6, s8
	s_addc_u32 s7, s7, s9
	s_load_dwordx2 s[26:27], s[6:7], 0x0
	s_waitcnt lgkmcnt(0)
	s_sub_i32 s33, s27, s26
	s_add_i32 s3, s33, 2
	s_mul_hi_i32 s3, s3, 0x55555556
	s_lshr_b32 s5, s3, 31
	s_add_i32 s3, s3, s5
	s_cmp_ge_i32 s4, s3
	s_cbranch_scc1 .LBB102_23
; %bb.1:
	v_bfe_u32 v68, v0, 10, 10
	v_lshlrev_b32_e32 v70, 6, v68
	v_and_b32_e32 v69, 0x3ff, v0
	s_load_dwordx4 s[12:15], s[0:1], 0x30
	s_load_dwordx2 s[20:21], s[0:1], 0x40
	s_load_dwordx4 s[8:11], s[0:1], 0x4c
	s_load_dwordx4 s[16:19], s[0:1], 0x68
	s_load_dwordx2 s[24:25], s[0:1], 0x78
	v_add_u32_e32 v72, v70, v69
	s_ashr_i32 s27, s26, 31
	s_waitcnt lgkmcnt(0)
	v_cmp_le_i32_e32 vcc, s12, v72
	v_and_b32_e32 v71, 15, v69
	s_and_saveexec_b64 s[6:7], vcc
	s_xor_b64 s[6:7], exec, s[6:7]
; %bb.2:
	v_and_b32_e32 v71, 15, v69
                                        ; implicit-def: $vgpr72
; %bb.3:
	s_or_saveexec_b64 s[30:31], s[6:7]
	s_load_dwordx2 s[28:29], s[0:1], 0x18
	s_load_dwordx2 s[6:7], s[0:1], 0x28
                                        ; implicit-def: $vgpr82 : SGPR spill to VGPR lane
	s_lshl_b32 s3, s2, 6
	s_mul_i32 s2, s4, 3
	v_mov_b32_e32 v1, 0
	v_accvgpr_write_b32 a4, 0
	s_waitcnt lgkmcnt(0)
	v_writelane_b32 v82, s6, 0
	v_accvgpr_write_b32 a5, 0
	v_accvgpr_write_b32 a6, 0
	;; [unrolled: 1-line block ×15, first 2 shown]
	v_writelane_b32 v82, s7, 1
	s_xor_b64 exec, exec, s[30:31]
	s_cbranch_execz .LBB102_16
; %bb.4:
	s_load_dwordx4 s[4:7], s[0:1], 0x0
	s_load_dwordx2 s[22:23], s[0:1], 0x10
	s_mul_i32 s0, s8, s34
	s_ashr_i32 s1, s0, 31
	v_writelane_b32 v82, s24, 2
	s_lshl_b64 s[44:45], s[0:1], 2
	s_waitcnt lgkmcnt(0)
	s_add_u32 s0, s4, s44
	v_writelane_b32 v82, s25, 3
	s_mul_i32 s24, s15, s3
	s_addc_u32 s1, s5, s45
	s_ashr_i32 s25, s24, 31
	s_lshl_b64 s[46:47], s[24:25], 2
	s_add_u32 s0, s0, s46
	s_addc_u32 s1, s1, s47
	s_lshl_b64 s[24:25], s[26:27], 2
	s_add_u32 s8, s22, s24
	s_addc_u32 s24, s23, s25
	v_writelane_b32 v82, s3, 4
	s_movk_i32 s3, 0x1080
	s_cmp_lt_i32 s2, s33
	v_mad_u32_u24 v0, v68, s3, 0
	s_cselect_b64 s[34:35], -1, 0
	s_ashr_i32 s3, s2, 31
	s_lshl_b64 s[22:23], s[2:3], 2
	s_add_u32 s36, s8, s22
	s_addc_u32 s37, s24, s23
	s_add_i32 s3, s2, 1
	s_cmp_lt_i32 s3, s33
	s_cselect_b64 s[38:39], -1, 0
	s_add_i32 s3, s2, 2
	s_cmp_lt_i32 s3, s33
	s_cselect_b64 s[40:41], -1, 0
	s_ashr_i32 s23, s15, 31
	s_mov_b32 s22, s15
	v_lshrrev_b32_e32 v4, 1, v69
	s_add_i32 s3, s15, s15
	s_lshl_b32 s48, s15, 2
	s_lshl_b32 s52, s15, 3
	;; [unrolled: 1-line block ×4, first 2 shown]
	s_lshl_b64 s[42:43], s[22:23], 2
	v_lshlrev_b32_e32 v2, 2, v69
	v_mul_u32_u24_e32 v3, 0x108, v71
	v_and_b32_e32 v4, 0x1f8, v4
	s_add_u32 s22, s44, s46
	v_add_u32_e32 v73, v0, v2
	v_add3_u32 v74, v0, v3, v4
	s_addc_u32 s23, s45, s47
	v_lshlrev_b32_e32 v0, 8, v68
	v_lshl_add_u64 v[4:5], s[22:23], 0, v[0:1]
	v_mov_b32_e32 v3, v1
	v_lshl_add_u64 v[2:3], v[4:5], 0, v[2:3]
	s_mul_i32 s8, s15, 3
	s_mul_i32 s49, s15, 5
	;; [unrolled: 1-line block ×43, first 2 shown]
	v_accvgpr_write_b32 a15, 0
	v_accvgpr_write_b32 a14, 0
	;; [unrolled: 1-line block ×16, first 2 shown]
	v_lshl_add_u64 v[2:3], s[4:5], 0, v[2:3]
	s_mul_i32 s90, s15, 50
	s_mul_i32 s91, s15, 51
	;; [unrolled: 1-line block ×14, first 2 shown]
	s_mov_b32 s23, 0x5040100
	s_mov_b64 s[4:5], 0
	s_branch .LBB102_6
.LBB102_5:                              ;   in Loop: Header=BB102_6 Depth=1
	v_perm_b32 v0, v0, v75, s23
	v_perm_b32 v75, v77, v78, s23
	ds_write2_b32 v73, v0, v75 offset1:66
	v_perm_b32 v0, v79, v76, s23
	ds_write2_b32 v73, v0, v1 offset0:132 offset1:198
	v_add_u32_e32 v0, 0x400, v73
	ds_write2_b32 v0, v1, v1 offset0:8 offset1:74
	ds_write2_b32 v0, v1, v1 offset0:140 offset1:206
	v_add_u32_e32 v0, 0x800, v73
	ds_write2_b32 v0, v1, v1 offset0:16 offset1:82
	ds_write2_b32 v0, v1, v1 offset0:148 offset1:214
	v_add_u32_e32 v0, 0xc00, v73
	ds_write2_b32 v0, v1, v1 offset0:24 offset1:90
	ds_write2_b32 v0, v1, v1 offset0:156 offset1:222
	ds_read2_b64 v[76:79], v74 offset1:4
	s_waitcnt lgkmcnt(0)
	v_mfma_f32_16x16x16_f16 a[4:7], v[10:11], v[76:77], a[4:7]
	v_add_u32_e32 v72, 0x80, v72
	s_mov_b64 vcc, 0x200
	v_lshl_add_u64 v[2:3], v[2:3], 0, vcc
	v_mfma_f32_16x16x16_f16 a[0:3], v[36:37], v[76:77], a[0:3]
	v_cmp_le_i32_e32 vcc, s12, v72
	s_or_b64 s[4:5], vcc, s[4:5]
	v_mfma_f32_16x16x16_f16 a[8:11], v[50:51], v[76:77], a[8:11]
	v_mfma_f32_16x16x16_f16 a[12:15], v[66:67], v[76:77], a[12:15]
	;; [unrolled: 1-line block ×3, first 2 shown]
	ds_read2_b64 v[8:11], v74 offset0:8 offset1:12
	v_mfma_f32_16x16x16_f16 a[0:3], v[34:35], v[78:79], a[0:3]
	v_mfma_f32_16x16x16_f16 a[8:11], v[48:49], v[78:79], a[8:11]
	;; [unrolled: 1-line block ×3, first 2 shown]
	s_waitcnt lgkmcnt(0)
	v_mfma_f32_16x16x16_f16 a[4:7], v[6:7], v[8:9], a[4:7]
	v_mfma_f32_16x16x16_f16 a[0:3], v[30:31], v[8:9], a[0:3]
	;; [unrolled: 1-line block ×5, first 2 shown]
	ds_read2_b64 v[4:7], v74 offset0:16 offset1:20
	v_mfma_f32_16x16x16_f16 a[0:3], v[28:29], v[10:11], a[0:3]
	v_mfma_f32_16x16x16_f16 a[8:11], v[44:45], v[10:11], a[8:11]
	;; [unrolled: 1-line block ×3, first 2 shown]
	s_waitcnt lgkmcnt(0)
	v_mfma_f32_16x16x16_f16 a[4:7], v[18:19], v[4:5], a[4:7]
	v_mfma_f32_16x16x16_f16 a[0:3], v[26:27], v[4:5], a[0:3]
	;; [unrolled: 1-line block ×8, first 2 shown]
	ds_read2_b64 v[4:7], v74 offset0:24 offset1:28
	s_waitcnt lgkmcnt(0)
	v_mfma_f32_16x16x16_f16 a[4:7], v[14:15], v[4:5], a[4:7]
	v_mfma_f32_16x16x16_f16 a[0:3], v[22:23], v[4:5], a[0:3]
	;; [unrolled: 1-line block ×8, first 2 shown]
	s_andn2_b64 exec, exec, s[4:5]
	s_cbranch_execz .LBB102_15
.LBB102_6:                              ; =>This Inner Loop Header: Depth=1
	v_lshl_add_u64 v[4:5], v[2:3], 0, s[42:43]
	global_load_dword v0, v[2:3], off
	global_load_dword v20, v[4:5], off
	v_add_u32_e32 v4, s3, v72
	v_add_u32_e32 v8, s48, v72
	;; [unrolled: 1-line block ×4, first 2 shown]
	v_ashrrev_i32_e32 v5, 31, v4
	v_add_u32_e32 v6, s8, v72
	v_ashrrev_i32_e32 v9, 31, v8
	v_ashrrev_i32_e32 v11, 31, v10
	v_add_u32_e32 v12, s50, v72
	v_add_u32_e32 v14, s51, v72
	v_ashrrev_i32_e32 v17, 31, v16
	v_add_u32_e32 v18, s53, v72
	v_lshl_add_u64 v[4:5], v[4:5], 2, s[0:1]
	v_ashrrev_i32_e32 v7, 31, v6
	v_lshl_add_u64 v[8:9], v[8:9], 2, s[0:1]
	v_lshl_add_u64 v[10:11], v[10:11], 2, s[0:1]
	v_ashrrev_i32_e32 v13, 31, v12
	v_ashrrev_i32_e32 v15, 31, v14
	v_lshl_add_u64 v[16:17], v[16:17], 2, s[0:1]
	v_ashrrev_i32_e32 v19, 31, v18
	v_lshl_add_u64 v[6:7], v[6:7], 2, s[0:1]
	v_lshl_add_u64 v[12:13], v[12:13], 2, s[0:1]
	;; [unrolled: 1-line block ×4, first 2 shown]
	global_load_dword v21, v[4:5], off
	global_load_dword v22, v[6:7], off
	;; [unrolled: 1-line block ×6, first 2 shown]
	s_nop 0
	global_load_dword v16, v[16:17], off
	s_nop 0
	global_load_dword v17, v[18:19], off
	v_add_u32_e32 v4, s54, v72
	v_add_u32_e32 v8, s56, v72
	;; [unrolled: 1-line block ×3, first 2 shown]
	v_ashrrev_i32_e32 v5, 31, v4
	v_add_u32_e32 v6, s55, v72
	v_ashrrev_i32_e32 v9, 31, v8
	v_ashrrev_i32_e32 v11, 31, v10
	v_add_u32_e32 v12, s58, v72
	v_add_u32_e32 v14, s59, v72
	v_lshl_add_u64 v[4:5], v[4:5], 2, s[0:1]
	v_ashrrev_i32_e32 v7, 31, v6
	v_lshl_add_u64 v[8:9], v[8:9], 2, s[0:1]
	v_lshl_add_u64 v[10:11], v[10:11], 2, s[0:1]
	v_ashrrev_i32_e32 v13, 31, v12
	v_ashrrev_i32_e32 v15, 31, v14
	v_lshl_add_u64 v[6:7], v[6:7], 2, s[0:1]
	v_lshl_add_u64 v[12:13], v[12:13], 2, s[0:1]
	;; [unrolled: 1-line block ×3, first 2 shown]
	global_load_dword v18, v[4:5], off
	global_load_dword v19, v[6:7], off
	s_nop 0
	global_load_dword v8, v[8:9], off
	s_nop 0
	;; [unrolled: 2-line block ×3, first 2 shown]
	global_load_dword v10, v[12:13], off
	global_load_dword v11, v[14:15], off
	v_add_u32_e32 v4, s60, v72
	v_add_u32_e32 v6, s61, v72
	v_ashrrev_i32_e32 v5, 31, v4
	v_ashrrev_i32_e32 v7, 31, v6
	v_lshl_add_u64 v[4:5], v[4:5], 2, s[0:1]
	v_add_u32_e32 v12, s62, v72
	v_lshl_add_u64 v[6:7], v[6:7], 2, s[0:1]
	global_load_dword v28, v[4:5], off
	global_load_dword v29, v[6:7], off
	v_ashrrev_i32_e32 v13, 31, v12
	v_add_u32_e32 v14, s63, v72
	v_lshl_add_u64 v[12:13], v[12:13], 2, s[0:1]
	v_ashrrev_i32_e32 v15, 31, v14
	v_lshl_add_u64 v[14:15], v[14:15], 2, s[0:1]
	s_andn2_b64 vcc, exec, s[34:35]
	s_waitcnt vmcnt(17)
	ds_write_b32 v73, v0
	s_waitcnt vmcnt(16)
	ds_write_b32 v73, v20 offset:264
	s_waitcnt vmcnt(15)
	ds_write_b32 v73, v21 offset:528
	;; [unrolled: 2-line block ×15, first 2 shown]
	v_add_u32_e32 v16, s64, v72
	v_add_u32_e32 v18, s65, v72
	;; [unrolled: 1-line block ×6, first 2 shown]
	v_ashrrev_i32_e32 v17, 31, v16
	v_ashrrev_i32_e32 v19, 31, v18
	;; [unrolled: 1-line block ×6, first 2 shown]
	ds_read_b64 v[10:11], v74
	ds_read_b64 v[8:9], v74 offset:32
	ds_read_b64 v[6:7], v74 offset:64
	;; [unrolled: 1-line block ×3, first 2 shown]
	v_lshl_add_u64 v[16:17], v[16:17], 2, s[0:1]
	v_lshl_add_u64 v[18:19], v[18:19], 2, s[0:1]
	v_lshl_add_u64 v[20:21], v[20:21], 2, s[0:1]
	v_lshl_add_u64 v[22:23], v[22:23], 2, s[0:1]
	v_lshl_add_u64 v[24:25], v[24:25], 2, s[0:1]
	v_lshl_add_u64 v[26:27], v[26:27], 2, s[0:1]
	global_load_dword v0, v[12:13], off
	global_load_dword v30, v[14:15], off
	global_load_dword v31, v[16:17], off
	global_load_dword v32, v[18:19], off
	global_load_dword v33, v[20:21], off
	global_load_dword v34, v[22:23], off
	global_load_dword v35, v[24:25], off
	global_load_dword v36, v[26:27], off
	v_add_u32_e32 v12, s70, v72
	v_ashrrev_i32_e32 v13, 31, v12
	v_add_u32_e32 v14, s71, v72
	v_add_u32_e32 v16, s72, v72
	v_add_u32_e32 v18, s73, v72
	v_add_u32_e32 v20, s74, v72
	v_add_u32_e32 v22, s75, v72
	v_add_u32_e32 v24, s76, v72
	v_add_u32_e32 v26, s77, v72
	v_lshl_add_u64 v[12:13], v[12:13], 2, s[0:1]
	v_ashrrev_i32_e32 v15, 31, v14
	v_ashrrev_i32_e32 v17, 31, v16
	v_ashrrev_i32_e32 v19, 31, v18
	v_ashrrev_i32_e32 v21, 31, v20
	v_ashrrev_i32_e32 v23, 31, v22
	v_ashrrev_i32_e32 v25, 31, v24
	v_ashrrev_i32_e32 v27, 31, v26
	v_lshl_add_u64 v[14:15], v[14:15], 2, s[0:1]
	v_lshl_add_u64 v[16:17], v[16:17], 2, s[0:1]
	v_lshl_add_u64 v[18:19], v[18:19], 2, s[0:1]
	v_lshl_add_u64 v[20:21], v[20:21], 2, s[0:1]
	v_lshl_add_u64 v[22:23], v[22:23], 2, s[0:1]
	v_lshl_add_u64 v[24:25], v[24:25], 2, s[0:1]
	v_lshl_add_u64 v[26:27], v[26:27], 2, s[0:1]
	global_load_dword v37, v[12:13], off
	global_load_dword v38, v[14:15], off
	global_load_dword v39, v[16:17], off
	global_load_dword v40, v[18:19], off
	global_load_dword v41, v[20:21], off
	global_load_dword v42, v[22:23], off
	global_load_dword v43, v[24:25], off
	global_load_dword v44, v[26:27], off
	v_add_u32_e32 v12, s78, v72
	v_ashrrev_i32_e32 v13, 31, v12
	v_add_u32_e32 v14, s79, v72
	v_add_u32_e32 v16, s80, v72
	v_add_u32_e32 v18, s81, v72
	v_add_u32_e32 v20, s82, v72
	v_add_u32_e32 v22, s83, v72
	v_add_u32_e32 v24, s84, v72
	v_add_u32_e32 v26, s85, v72
	v_lshl_add_u64 v[12:13], v[12:13], 2, s[0:1]
	v_ashrrev_i32_e32 v15, 31, v14
	v_ashrrev_i32_e32 v17, 31, v16
	v_ashrrev_i32_e32 v19, 31, v18
	v_ashrrev_i32_e32 v21, 31, v20
	v_ashrrev_i32_e32 v23, 31, v22
	v_ashrrev_i32_e32 v25, 31, v24
	v_ashrrev_i32_e32 v27, 31, v26
	v_lshl_add_u64 v[14:15], v[14:15], 2, s[0:1]
	;; [unrolled: 32-line block ×4, first 2 shown]
	v_lshl_add_u64 v[16:17], v[16:17], 2, s[0:1]
	v_lshl_add_u64 v[18:19], v[18:19], 2, s[0:1]
	;; [unrolled: 1-line block ×6, first 2 shown]
	global_load_dword v61, v[12:13], off
	global_load_dword v62, v[14:15], off
	;; [unrolled: 1-line block ×8, first 2 shown]
	v_add_u32_e32 v12, s98, v72
	v_ashrrev_i32_e32 v13, 31, v12
	v_add_u32_e32 v14, s99, v72
	v_add_u32_e32 v16, s24, v72
	;; [unrolled: 1-line block ×5, first 2 shown]
	v_lshl_add_u64 v[12:13], v[12:13], 2, s[0:1]
	v_ashrrev_i32_e32 v15, 31, v14
	v_ashrrev_i32_e32 v17, 31, v16
	;; [unrolled: 1-line block ×5, first 2 shown]
	v_lshl_add_u64 v[14:15], v[14:15], 2, s[0:1]
	v_lshl_add_u64 v[16:17], v[16:17], 2, s[0:1]
	;; [unrolled: 1-line block ×5, first 2 shown]
	global_load_dword v76, v[12:13], off
	global_load_dword v77, v[14:15], off
	;; [unrolled: 1-line block ×6, first 2 shown]
	ds_read_b64 v[18:19], v74 offset:128
	ds_read_b64 v[16:17], v74 offset:160
	ds_read_b64 v[14:15], v74 offset:192
	ds_read_b64 v[12:13], v74 offset:224
	s_waitcnt vmcnt(47)
	ds_write_b32 v73, v28
	s_waitcnt vmcnt(46)
	ds_write_b32 v73, v29 offset:264
	s_waitcnt vmcnt(45)
	ds_write_b32 v73, v0 offset:528
	s_waitcnt vmcnt(44)
	ds_write_b32 v73, v30 offset:792
	s_waitcnt vmcnt(43)
	ds_write_b32 v73, v31 offset:1056
	s_waitcnt vmcnt(42)
	ds_write_b32 v73, v32 offset:1320
	s_waitcnt vmcnt(41)
	ds_write_b32 v73, v33 offset:1584
	s_waitcnt vmcnt(40)
	ds_write_b32 v73, v34 offset:1848
	s_waitcnt vmcnt(39)
	ds_write_b32 v73, v35 offset:2112
	s_waitcnt vmcnt(38)
	ds_write_b32 v73, v36 offset:2376
	s_waitcnt vmcnt(37)
	ds_write_b32 v73, v37 offset:2640
	s_waitcnt vmcnt(36)
	ds_write_b32 v73, v38 offset:2904
	s_waitcnt vmcnt(35)
	ds_write_b32 v73, v39 offset:3168
	s_waitcnt vmcnt(34)
	ds_write_b32 v73, v40 offset:3432
	s_waitcnt vmcnt(33)
	ds_write_b32 v73, v41 offset:3696
	s_waitcnt vmcnt(32)
	ds_write_b32 v73, v42 offset:3960
	ds_read_b64 v[36:37], v74
	ds_read_b64 v[34:35], v74 offset:32
	ds_read_b64 v[30:31], v74 offset:64
	ds_read_b64 v[28:29], v74 offset:96
	ds_read_b64 v[26:27], v74 offset:128
	ds_read_b64 v[24:25], v74 offset:160
	ds_read_b64 v[22:23], v74 offset:192
	ds_read_b64 v[20:21], v74 offset:224
	s_waitcnt vmcnt(31)
	ds_write_b32 v73, v43
	s_waitcnt vmcnt(30)
	ds_write_b32 v73, v44 offset:264
	s_waitcnt vmcnt(29)
	ds_write_b32 v73, v45 offset:528
	s_waitcnt vmcnt(28)
	ds_write_b32 v73, v46 offset:792
	s_waitcnt vmcnt(27)
	ds_write_b32 v73, v47 offset:1056
	s_waitcnt vmcnt(26)
	ds_write_b32 v73, v48 offset:1320
	s_waitcnt vmcnt(25)
	ds_write_b32 v73, v49 offset:1584
	s_waitcnt vmcnt(24)
	ds_write_b32 v73, v50 offset:1848
	s_waitcnt vmcnt(23)
	ds_write_b32 v73, v51 offset:2112
	s_waitcnt vmcnt(22)
	ds_write_b32 v73, v52 offset:2376
	s_waitcnt vmcnt(21)
	ds_write_b32 v73, v53 offset:2640
	s_waitcnt vmcnt(20)
	ds_write_b32 v73, v54 offset:2904
	s_waitcnt vmcnt(19)
	ds_write_b32 v73, v55 offset:3168
	s_waitcnt vmcnt(18)
	ds_write_b32 v73, v56 offset:3432
	s_waitcnt vmcnt(17)
	ds_write_b32 v73, v57 offset:3696
	s_waitcnt vmcnt(16)
	ds_write_b32 v73, v58 offset:3960
	ds_read_b64 v[50:51], v74
	ds_read_b64 v[48:49], v74 offset:32
	ds_read_b64 v[46:47], v74 offset:64
	ds_read_b64 v[44:45], v74 offset:96
	;; [unrolled: 40-line block ×3, first 2 shown]
	ds_read_b64 v[62:63], v74 offset:128
	ds_read_b64 v[58:59], v74 offset:160
	;; [unrolled: 1-line block ×4, first 2 shown]
	v_mov_b32_e32 v75, 0
	v_mov_b32_e32 v0, 0
	s_cbranch_vccnz .LBB102_9
; %bb.7:                                ;   in Loop: Header=BB102_6 Depth=1
	s_load_dword vcc_lo, s[36:37], 0x0
	v_mov_b32_e32 v0, 0
	v_mov_b32_e32 v75, 0
	s_waitcnt lgkmcnt(0)
	s_mul_hi_u32 vcc_hi, vcc_lo, s16
	s_add_i32 vcc_hi, vcc_lo, vcc_hi
	s_lshr_b32 s11, vcc_hi, s17
	s_cmp_ge_i32 s11, s13
	s_cbranch_scc1 .LBB102_9
; %bb.8:                                ;   in Loop: Header=BB102_6 Depth=1
	s_mul_i32 vcc_hi, s11, s18
	s_sub_i32 vcc_lo, vcc_lo, vcc_hi
	s_mul_i32 s11, s11, s20
	s_mul_i32 vcc_lo, vcc_lo, s9
	v_add_u32_e32 v0, s11, v72
	v_lshl_add_u32 v76, v0, 1, vcc_lo
	v_ashrrev_i32_e32 v77, 31, v76
	v_lshl_add_u64 v[76:77], v[76:77], 2, s[6:7]
	global_load_dwordx2 v[76:77], v[76:77], off
	s_waitcnt vmcnt(0)
	v_cvt_f16_f32_e32 v75, v76
	v_cvt_f16_f32_e32 v0, v77
.LBB102_9:                              ;   in Loop: Header=BB102_6 Depth=1
	v_mov_b32_e32 v76, 0
	s_andn2_b64 vcc, exec, s[38:39]
	v_mov_b32_e32 v78, 0
	v_mov_b32_e32 v77, 0
	s_cbranch_vccnz .LBB102_12
; %bb.10:                               ;   in Loop: Header=BB102_6 Depth=1
	s_load_dword vcc_lo, s[36:37], 0x4
	v_mov_b32_e32 v77, 0
	v_mov_b32_e32 v78, 0
	s_waitcnt lgkmcnt(0)
	s_mul_hi_u32 s11, vcc_lo, s16
	s_add_i32 s11, vcc_lo, s11
	s_lshr_b32 vcc_hi, s11, s17
	s_cmp_ge_i32 vcc_hi, s13
	s_cbranch_scc1 .LBB102_12
; %bb.11:                               ;   in Loop: Header=BB102_6 Depth=1
	s_mul_i32 s11, vcc_hi, s18
	s_sub_i32 s11, vcc_lo, s11
	s_mul_i32 vcc_hi, vcc_hi, s20
	s_mul_i32 s11, s11, s9
	v_add_u32_e32 v77, vcc_hi, v72
	v_lshl_add_u32 v78, v77, 1, s11
	v_ashrrev_i32_e32 v79, 31, v78
	v_lshl_add_u64 v[78:79], v[78:79], 2, s[6:7]
	global_load_dwordx2 v[78:79], v[78:79], off
	s_waitcnt vmcnt(0)
	v_cvt_f16_f32_e32 v78, v78
	v_cvt_f16_f32_e32 v77, v79
.LBB102_12:                             ;   in Loop: Header=BB102_6 Depth=1
	s_andn2_b64 vcc, exec, s[40:41]
	v_mov_b32_e32 v79, 0
	s_cbranch_vccnz .LBB102_5
; %bb.13:                               ;   in Loop: Header=BB102_6 Depth=1
	s_load_dword vcc_lo, s[36:37], 0x8
	v_mov_b32_e32 v79, 0
	v_mov_b32_e32 v76, 0
	s_waitcnt lgkmcnt(0)
	s_mul_hi_u32 s11, vcc_lo, s16
	s_add_i32 s11, vcc_lo, s11
	s_lshr_b32 vcc_hi, s11, s17
	s_cmp_ge_i32 vcc_hi, s13
	s_cbranch_scc1 .LBB102_5
; %bb.14:                               ;   in Loop: Header=BB102_6 Depth=1
	s_mul_i32 s11, vcc_hi, s18
	s_sub_i32 s11, vcc_lo, s11
	s_mul_i32 vcc_hi, vcc_hi, s20
	s_mul_i32 s11, s11, s9
	v_add_u32_e32 v76, vcc_hi, v72
	v_lshl_add_u32 v80, v76, 1, s11
	v_ashrrev_i32_e32 v81, 31, v80
	v_lshl_add_u64 v[80:81], v[80:81], 2, s[6:7]
	global_load_dwordx2 v[80:81], v[80:81], off
	s_waitcnt vmcnt(0)
	v_cvt_f16_f32_e32 v76, v80
	v_cvt_f16_f32_e32 v79, v81
	s_branch .LBB102_5
.LBB102_15:
	s_or_b64 exec, exec, s[4:5]
	v_readlane_b32 s24, v82, 2
	v_readlane_b32 s25, v82, 3
	;; [unrolled: 1-line block ×3, first 2 shown]
.LBB102_16:
	s_or_b64 exec, exec, s[30:31]
	v_lshl_add_u32 v0, v70, 2, 0
	v_mul_u32_u24_e32 v1, 0x208, v71
	v_and_b32_e32 v2, 0x3f0, v69
	v_add3_u32 v0, v0, v1, v2
	v_accvgpr_read_b32 v1, a5
	v_accvgpr_read_b32 v2, a4
	s_barrier
	ds_write2_b32 v0, v2, v1 offset1:1
	v_accvgpr_read_b32 v1, a7
	v_accvgpr_read_b32 v2, a6
	ds_write2_b32 v0, v2, v1 offset0:2 offset1:3
	v_accvgpr_read_b32 v1, a1
	v_accvgpr_read_b32 v2, a0
	ds_write2_b32 v0, v2, v1 offset0:16 offset1:17
	;; [unrolled: 3-line block ×3, first 2 shown]
	v_accvgpr_read_b32 v1, a9
	v_accvgpr_read_b32 v2, a8
	s_lshl_b64 s[0:1], s[26:27], 2
	ds_write2_b32 v0, v2, v1 offset0:32 offset1:33
	v_accvgpr_read_b32 v1, a11
	v_accvgpr_read_b32 v2, a10
	s_add_u32 s4, s28, s0
	ds_write2_b32 v0, v2, v1 offset0:34 offset1:35
	v_accvgpr_read_b32 v1, a13
	v_accvgpr_read_b32 v2, a12
	s_addc_u32 s5, s29, s1
	ds_write2_b32 v0, v2, v1 offset0:48 offset1:49
	v_accvgpr_read_b32 v1, a15
	v_accvgpr_read_b32 v2, a14
	ds_write2_b32 v0, v2, v1 offset0:50 offset1:51
	s_cmp_gt_i32 s14, 0
	v_add_u32_e32 v0, s2, v68
	s_cselect_b64 s[6:7], -1, 0
	v_cmp_gt_i32_e64 s[0:1], s33, v0
	v_cmp_gt_u32_e32 vcc, 3, v68
	s_and_b64 s[0:1], s[6:7], s[0:1]
	v_lshl_add_u32 v3, v69, 2, 0
	v_add_u32_e32 v2, s3, v69
	s_and_b64 s[8:9], vcc, s[0:1]
	s_waitcnt lgkmcnt(0)
	s_barrier
	s_and_saveexec_b64 s[0:1], s[8:9]
	s_cbranch_execz .LBB102_19
; %bb.17:
	v_ashrrev_i32_e32 v1, 31, v0
	v_lshl_add_u64 v[0:1], v[0:1], 2, s[4:5]
	global_load_dword v0, v[0:1], off
	s_waitcnt vmcnt(0)
	v_mul_hi_u32 v1, v0, s19
	v_add_u32_e32 v1, v0, v1
	v_lshrrev_b32_e32 v1, s24, v1
	v_cmp_gt_i32_e32 vcc, s13, v1
	s_and_b64 exec, exec, vcc
	s_cbranch_execz .LBB102_19
; %bb.18:
	s_movk_i32 s3, 0x208
	v_mad_u32_u24 v4, v68, s3, v3
	ds_read2st64_b32 v[4:5], v4 offset1:1
	v_mul_lo_u32 v6, v1, s25
	v_sub_u32_e32 v0, v0, v6
	v_mul_lo_u32 v1, v1, s21
	v_mul_lo_u32 v0, v0, s10
	v_readlane_b32 s8, v82, 0
	s_waitcnt lgkmcnt(0)
	v_add_f32_e32 v4, 0, v4
	v_add3_u32 v0, v2, v1, v0
	v_mov_b32_e32 v1, 0
	v_readlane_b32 s9, v82, 1
	v_add_f32_e32 v4, v4, v5
	s_nop 0
	v_lshl_add_u64 v[0:1], v[0:1], 2, s[8:9]
	global_store_dword v[0:1], v4, off
.LBB102_19:
	s_or_b64 exec, exec, s[0:1]
	v_cmp_eq_u32_e32 vcc, 0, v68
	s_and_saveexec_b64 s[0:1], vcc
	s_cbranch_execz .LBB102_23
; %bb.20:
	s_add_i32 s0, s2, 2
	s_cmp_ge_i32 s0, s33
	s_cselect_b64 s[0:1], -1, 0
	s_xor_b64 s[6:7], s[6:7], -1
	s_or_b64 s[0:1], s[6:7], s[0:1]
	s_and_b64 vcc, exec, s[0:1]
	s_cbranch_vccnz .LBB102_23
; %bb.21:
	s_ashr_i32 s3, s2, 31
	s_lshl_b64 s[0:1], s[2:3], 2
	s_add_u32 s0, s4, s0
	s_addc_u32 s1, s5, s1
	s_load_dword s0, s[0:1], 0x8
	s_waitcnt lgkmcnt(0)
	s_mul_hi_u32 s1, s0, s19
	s_add_i32 s1, s0, s1
	s_lshr_b32 s1, s1, s24
	s_cmp_ge_i32 s1, s13
	s_cbranch_scc1 .LBB102_23
; %bb.22:
	v_add_u32_e32 v0, 16, v3
	ds_read2st64_b32 v[0:1], v0 offset0:4 offset1:5
	s_mul_i32 s2, s1, s25
	s_sub_i32 s0, s0, s2
	s_mul_i32 s1, s1, s21
	s_mul_i32 s0, s0, s10
	s_waitcnt lgkmcnt(0)
	v_add_f32_e32 v0, 0, v0
	s_add_i32 s0, s0, s1
	v_add_f32_e32 v3, v0, v1
	v_add_u32_e32 v0, s0, v2
	v_readlane_b32 s0, v82, 0
	v_mov_b32_e32 v1, 0
	v_readlane_b32 s1, v82, 1
	s_nop 1
	v_lshl_add_u64 v[0:1], v[0:1], 2, s[0:1]
	global_store_dword v[0:1], v3, off
.LBB102_23:
	s_endpgm
	.section	.rodata,"a",@progbits
	.p2align	6, 0x0
	.amdhsa_kernel _ZL13mul_mat_f_idsI7__half2Li64ELi3ELi2EEvPKT_PKfPKiS7_S7_Pfiiiiiiiiiiiiii15HIP_vector_typeIjLj3EESA_
		.amdhsa_group_segment_fixed_size 0
		.amdhsa_private_segment_fixed_size 0
		.amdhsa_kernarg_size 128
		.amdhsa_user_sgpr_count 2
		.amdhsa_user_sgpr_dispatch_ptr 0
		.amdhsa_user_sgpr_queue_ptr 0
		.amdhsa_user_sgpr_kernarg_segment_ptr 1
		.amdhsa_user_sgpr_dispatch_id 0
		.amdhsa_user_sgpr_kernarg_preload_length 0
		.amdhsa_user_sgpr_kernarg_preload_offset 0
		.amdhsa_user_sgpr_private_segment_size 0
		.amdhsa_uses_dynamic_stack 0
		.amdhsa_enable_private_segment 0
		.amdhsa_system_sgpr_workgroup_id_x 1
		.amdhsa_system_sgpr_workgroup_id_y 1
		.amdhsa_system_sgpr_workgroup_id_z 1
		.amdhsa_system_sgpr_workgroup_info 0
		.amdhsa_system_vgpr_workitem_id 1
		.amdhsa_next_free_vgpr 100
		.amdhsa_next_free_sgpr 100
		.amdhsa_accum_offset 84
		.amdhsa_reserve_vcc 1
		.amdhsa_float_round_mode_32 0
		.amdhsa_float_round_mode_16_64 0
		.amdhsa_float_denorm_mode_32 3
		.amdhsa_float_denorm_mode_16_64 3
		.amdhsa_dx10_clamp 1
		.amdhsa_ieee_mode 1
		.amdhsa_fp16_overflow 0
		.amdhsa_tg_split 0
		.amdhsa_exception_fp_ieee_invalid_op 0
		.amdhsa_exception_fp_denorm_src 0
		.amdhsa_exception_fp_ieee_div_zero 0
		.amdhsa_exception_fp_ieee_overflow 0
		.amdhsa_exception_fp_ieee_underflow 0
		.amdhsa_exception_fp_ieee_inexact 0
		.amdhsa_exception_int_div_zero 0
	.end_amdhsa_kernel
	.section	.text._ZL13mul_mat_f_idsI7__half2Li64ELi3ELi2EEvPKT_PKfPKiS7_S7_Pfiiiiiiiiiiiiii15HIP_vector_typeIjLj3EESA_,"axG",@progbits,_ZL13mul_mat_f_idsI7__half2Li64ELi3ELi2EEvPKT_PKfPKiS7_S7_Pfiiiiiiiiiiiiii15HIP_vector_typeIjLj3EESA_,comdat
.Lfunc_end102:
	.size	_ZL13mul_mat_f_idsI7__half2Li64ELi3ELi2EEvPKT_PKfPKiS7_S7_Pfiiiiiiiiiiiiii15HIP_vector_typeIjLj3EESA_, .Lfunc_end102-_ZL13mul_mat_f_idsI7__half2Li64ELi3ELi2EEvPKT_PKfPKiS7_S7_Pfiiiiiiiiiiiiii15HIP_vector_typeIjLj3EESA_
                                        ; -- End function
	.set _ZL13mul_mat_f_idsI7__half2Li64ELi3ELi2EEvPKT_PKfPKiS7_S7_Pfiiiiiiiiiiiiii15HIP_vector_typeIjLj3EESA_.num_vgpr, 83
	.set _ZL13mul_mat_f_idsI7__half2Li64ELi3ELi2EEvPKT_PKfPKiS7_S7_Pfiiiiiiiiiiiiii15HIP_vector_typeIjLj3EESA_.num_agpr, 16
	.set _ZL13mul_mat_f_idsI7__half2Li64ELi3ELi2EEvPKT_PKfPKiS7_S7_Pfiiiiiiiiiiiiii15HIP_vector_typeIjLj3EESA_.numbered_sgpr, 100
	.set _ZL13mul_mat_f_idsI7__half2Li64ELi3ELi2EEvPKT_PKfPKiS7_S7_Pfiiiiiiiiiiiiii15HIP_vector_typeIjLj3EESA_.num_named_barrier, 0
	.set _ZL13mul_mat_f_idsI7__half2Li64ELi3ELi2EEvPKT_PKfPKiS7_S7_Pfiiiiiiiiiiiiii15HIP_vector_typeIjLj3EESA_.private_seg_size, 0
	.set _ZL13mul_mat_f_idsI7__half2Li64ELi3ELi2EEvPKT_PKfPKiS7_S7_Pfiiiiiiiiiiiiii15HIP_vector_typeIjLj3EESA_.uses_vcc, 1
	.set _ZL13mul_mat_f_idsI7__half2Li64ELi3ELi2EEvPKT_PKfPKiS7_S7_Pfiiiiiiiiiiiiii15HIP_vector_typeIjLj3EESA_.uses_flat_scratch, 0
	.set _ZL13mul_mat_f_idsI7__half2Li64ELi3ELi2EEvPKT_PKfPKiS7_S7_Pfiiiiiiiiiiiiii15HIP_vector_typeIjLj3EESA_.has_dyn_sized_stack, 0
	.set _ZL13mul_mat_f_idsI7__half2Li64ELi3ELi2EEvPKT_PKfPKiS7_S7_Pfiiiiiiiiiiiiii15HIP_vector_typeIjLj3EESA_.has_recursion, 0
	.set _ZL13mul_mat_f_idsI7__half2Li64ELi3ELi2EEvPKT_PKfPKiS7_S7_Pfiiiiiiiiiiiiii15HIP_vector_typeIjLj3EESA_.has_indirect_call, 0
	.section	.AMDGPU.csdata,"",@progbits
; Kernel info:
; codeLenInByte = 5032
; TotalNumSgprs: 106
; NumVgprs: 83
; NumAgprs: 16
; TotalNumVgprs: 100
; ScratchSize: 0
; MemoryBound: 0
; FloatMode: 240
; IeeeMode: 1
; LDSByteSize: 0 bytes/workgroup (compile time only)
; SGPRBlocks: 13
; VGPRBlocks: 12
; NumSGPRsForWavesPerEU: 106
; NumVGPRsForWavesPerEU: 100
; AccumOffset: 84
; Occupancy: 4
; WaveLimiterHint : 1
; COMPUTE_PGM_RSRC2:SCRATCH_EN: 0
; COMPUTE_PGM_RSRC2:USER_SGPR: 2
; COMPUTE_PGM_RSRC2:TRAP_HANDLER: 0
; COMPUTE_PGM_RSRC2:TGID_X_EN: 1
; COMPUTE_PGM_RSRC2:TGID_Y_EN: 1
; COMPUTE_PGM_RSRC2:TGID_Z_EN: 1
; COMPUTE_PGM_RSRC2:TIDIG_COMP_CNT: 1
; COMPUTE_PGM_RSRC3_GFX90A:ACCUM_OFFSET: 20
; COMPUTE_PGM_RSRC3_GFX90A:TG_SPLIT: 0
	.section	.text._ZL9mul_mat_fI7__half2Li64ELi3ELi2ELb1EEvPKT_PKfPKiPfiiiiiiiiiiiiiiii,"axG",@progbits,_ZL9mul_mat_fI7__half2Li64ELi3ELi2ELb1EEvPKT_PKfPKiPfiiiiiiiiiiiiiiii,comdat
	.globl	_ZL9mul_mat_fI7__half2Li64ELi3ELi2ELb1EEvPKT_PKfPKiPfiiiiiiiiiiiiiiii ; -- Begin function _ZL9mul_mat_fI7__half2Li64ELi3ELi2ELb1EEvPKT_PKfPKiPfiiiiiiiiiiiiiiii
	.p2align	8
	.type	_ZL9mul_mat_fI7__half2Li64ELi3ELi2ELb1EEvPKT_PKfPKiPfiiiiiiiiiiiiiiii,@function
_ZL9mul_mat_fI7__half2Li64ELi3ELi2ELb1EEvPKT_PKfPKiPfiiiiiiiiiiiiiiii: ; @_ZL9mul_mat_fI7__half2Li64ELi3ELi2ELb1EEvPKT_PKfPKiPfiiiiiiiiiiiiiiii
; %bb.0:
	s_load_dwordx8 s[16:23], s[0:1], 0x20
	s_load_dwordx2 s[8:9], s[0:1], 0x10
	s_waitcnt lgkmcnt(0)
	s_add_i32 s5, s17, 2
	s_mul_hi_i32 s5, s5, 0x55555556
	s_lshr_b32 s6, s5, 31
	s_add_i32 s5, s5, s6
	v_cvt_f32_u32_e32 v1, s5
	s_load_dwordx4 s[24:27], s[0:1], 0x44
	s_load_dword s6, s[0:1], 0x64
	s_add_u32 s34, s0, 0x60
	s_addc_u32 s35, s1, 0
	v_rcp_iflag_f32_e32 v1, v1
	s_sub_i32 s7, 0, s5
	s_waitcnt lgkmcnt(0)
	s_abs_i32 s33, s27
	v_mul_f32_e32 v1, 0x4f7ffffe, v1
	v_cvt_u32_f32_e32 v1, v1
	v_mul_lo_u32 v2, s7, v1
	v_mul_hi_u32 v2, v1, v2
	v_add_u32_e32 v1, v1, v2
	v_mul_hi_u32 v1, s6, v1
	v_mul_lo_u32 v2, v1, s5
	v_sub_u32_e32 v2, s6, v2
	v_add_u32_e32 v3, 1, v1
	v_subrev_u32_e32 v4, s5, v2
	v_cmp_le_u32_e32 vcc, s5, v2
	s_nop 1
	v_cndmask_b32_e32 v1, v1, v3, vcc
	v_cndmask_b32_e32 v2, v2, v4, vcc
	v_add_u32_e32 v3, 1, v1
	v_cmp_le_u32_e32 vcc, s5, v2
	s_sub_i32 s5, 0, s33
	s_nop 0
	v_cndmask_b32_e32 v1, v1, v3, vcc
	v_cvt_f32_u32_e32 v2, v1
	v_cvt_f32_u32_e32 v3, s33
	v_rcp_iflag_f32_e32 v2, v2
	v_rcp_iflag_f32_e32 v3, v3
	v_mul_f32_e32 v2, 0x4f7ffffe, v2
	v_cvt_u32_f32_e32 v2, v2
	v_mul_f32_e32 v3, 0x4f7ffffe, v3
	v_cvt_u32_f32_e32 v11, v3
	v_sub_u32_e32 v3, 0, v1
	v_mul_lo_u32 v3, v3, v2
	v_mul_hi_u32 v3, v2, v3
	v_add_u32_e32 v2, v2, v3
	v_mul_hi_u32 v4, s3, v2
	v_and_b32_e32 v2, 0x3ff, v0
	v_bfe_u32 v3, v0, 10, 10
	v_cmp_eq_u32_e32 vcc, 0, v2
	s_and_saveexec_b64 s[6:7], vcc
; %bb.1:
	v_mov_b32_e32 v5, 0x100
	v_lshl_add_u32 v5, v3, 2, v5
	v_mov_b32_e32 v6, -1
	ds_write_b32 v5, v6
; %bb.2:
	s_or_b64 exec, exec, s[6:7]
	v_mul_lo_u32 v5, v4, v1
	v_sub_u32_e32 v5, s3, v5
	v_add_u32_e32 v6, 1, v4
	v_sub_u32_e32 v7, v5, v1
	v_cmp_ge_u32_e64 s[6:7], v5, v1
	v_mul_lo_u32 v12, s5, v11
	s_nop 0
	v_cndmask_b32_e64 v4, v4, v6, s[6:7]
	v_cndmask_b32_e64 v5, v5, v7, s[6:7]
	v_add_u32_e32 v6, 1, v4
	v_cmp_ge_u32_e64 s[6:7], v5, v1
	s_nop 1
	v_cndmask_b32_e64 v4, v4, v6, s[6:7]
	v_mul_lo_u32 v78, v4, 3
	v_mul_lo_u32 v1, v4, v1
	v_mul_hi_i32 v5, v78, s23
	v_mul_lo_u32 v4, v78, s23
	v_sub_u32_e32 v10, s3, v1
	v_lshlrev_b64 v[4:5], 2, v[4:5]
	v_add_u32_e32 v1, v3, v78
	v_lshl_add_u64 v[4:5], s[8:9], 0, v[4:5]
	v_cmp_gt_i32_e64 s[6:7], s18, v2
	v_cmp_gt_i32_e64 s[10:11], s17, v1
	v_mov_b32_e32 v1, 0
	s_and_saveexec_b64 s[14:15], s[10:11]
	s_cbranch_execz .LBB103_10
; %bb.3:
	v_mov_b32_e32 v1, 0
	s_and_saveexec_b64 s[28:29], s[6:7]
	s_cbranch_execz .LBB103_9
; %bb.4:
	v_mul_lo_u32 v6, v3, s23
	v_ashrrev_i32_e32 v7, 31, v6
	v_mov_b32_e32 v1, 0x100
	v_lshl_add_u64 v[6:7], v[6:7], 2, v[4:5]
	v_lshl_add_u32 v13, v3, 2, v1
	v_mul_lo_u32 v8, v2, s22
	s_lshl_b32 s3, s22, 6
	v_mov_b32_e32 v1, 0
	s_mov_b64 s[30:31], 0
	v_mov_b32_e32 v14, v2
	s_branch .LBB103_6
.LBB103_5:                              ;   in Loop: Header=BB103_6 Depth=1
	s_or_b64 exec, exec, s[36:37]
	v_add_u32_e32 v14, 64, v14
	v_cmp_le_i32_e64 s[12:13], s18, v14
	s_xor_b64 s[8:9], s[8:9], -1
	s_or_b64 s[8:9], s[8:9], s[12:13]
	s_and_b64 s[8:9], exec, s[8:9]
	s_or_b64 s[30:31], s[8:9], s[30:31]
	v_add_u32_e32 v8, s3, v8
	s_andn2_b64 exec, exec, s[30:31]
	s_cbranch_execz .LBB103_8
.LBB103_6:                              ; =>This Inner Loop Header: Depth=1
	v_ashrrev_i32_e32 v9, 31, v8
	v_lshl_add_u64 v[16:17], v[8:9], 2, v[6:7]
	global_load_dword v9, v[16:17], off
	s_waitcnt vmcnt(0)
	v_cmp_ne_u32_e64 s[8:9], v9, v10
	v_cmp_eq_u32_e64 s[12:13], v9, v10
	s_and_saveexec_b64 s[36:37], s[12:13]
	s_cbranch_execz .LBB103_5
; %bb.7:                                ;   in Loop: Header=BB103_6 Depth=1
	v_mov_b32_e32 v1, 1
	ds_write_b32 v13, v14
	s_branch .LBB103_5
.LBB103_8:
	s_or_b64 exec, exec, s[30:31]
.LBB103_9:
	s_or_b64 exec, exec, s[28:29]
.LBB103_10:
	s_or_b64 exec, exec, s[14:15]
	v_mul_hi_u32 v6, v11, v12
	s_and_saveexec_b64 s[8:9], vcc
; %bb.11:
	v_mov_b32_e32 v7, 0x100
	v_lshl_add_u32 v7, v3, 2, v7
	v_mov_b32_e32 v8, -1
	ds_write_b32 v7, v8 offset:8
; %bb.12:
	s_or_b64 exec, exec, s[8:9]
	s_load_dwordx4 s[28:31], s[0:1], 0x54
	v_add_u32_e32 v8, v11, v6
	v_add_u32_e32 v6, 2, v3
	;; [unrolled: 1-line block ×3, first 2 shown]
	s_abs_i32 s3, s4
	v_cmp_gt_i32_e64 s[12:13], s17, v7
	s_and_saveexec_b64 s[8:9], s[12:13]
	s_cbranch_execz .LBB103_20
; %bb.13:
	s_and_saveexec_b64 s[14:15], s[6:7]
	s_cbranch_execz .LBB103_19
; %bb.14:
	v_mul_lo_u32 v6, v6, s23
	v_ashrrev_i32_e32 v7, 31, v6
	v_lshl_add_u64 v[4:5], v[6:7], 2, v[4:5]
	v_mov_b32_e32 v6, 0x100
	v_lshl_add_u32 v9, v3, 2, v6
	v_mul_lo_u32 v6, v2, s22
	s_lshl_b32 s5, s22, 6
	s_mov_b64 s[22:23], 0
	v_mov_b32_e32 v11, v2
	s_branch .LBB103_16
.LBB103_15:                             ;   in Loop: Header=BB103_16 Depth=1
	s_or_b64 exec, exec, s[36:37]
	v_add_u32_e32 v11, 64, v11
	v_cmp_le_i32_e64 s[6:7], s18, v11
	s_xor_b64 s[36:37], vcc, -1
	s_or_b64 s[6:7], s[36:37], s[6:7]
	s_and_b64 s[6:7], exec, s[6:7]
	s_or_b64 s[22:23], s[6:7], s[22:23]
	v_add_u32_e32 v6, s5, v6
	s_andn2_b64 exec, exec, s[22:23]
	s_cbranch_execz .LBB103_18
.LBB103_16:                             ; =>This Inner Loop Header: Depth=1
	v_ashrrev_i32_e32 v7, 31, v6
	v_lshl_add_u64 v[12:13], v[6:7], 2, v[4:5]
	global_load_dword v7, v[12:13], off
	s_waitcnt vmcnt(0)
	v_cmp_ne_u32_e32 vcc, v7, v10
	v_cmp_eq_u32_e64 s[6:7], v7, v10
	s_and_saveexec_b64 s[36:37], s[6:7]
	s_cbranch_execz .LBB103_15
; %bb.17:                               ;   in Loop: Header=BB103_16 Depth=1
	v_mov_b32_e32 v1, 1
	ds_write_b32 v9, v11 offset:8
	s_branch .LBB103_15
.LBB103_18:
	s_or_b64 exec, exec, s[22:23]
.LBB103_19:
	s_or_b64 exec, exec, s[14:15]
.LBB103_20:
	s_or_b64 exec, exec, s[8:9]
	s_load_dwordx2 s[6:7], s[34:35], 0xc
	s_load_dwordx2 s[8:9], s[0:1], 0x8
	;; [unrolled: 1-line block ×3, first 2 shown]
	v_or_b32_dpp v1, v1, v1 row_shl:1 row_mask:0xf bank_mask:0xf bound_ctrl:1
	v_mul_hi_u32 v4, s3, v8
	s_waitcnt lgkmcnt(0)
	s_and_b32 s5, s7, 0xffff
	s_lshr_b32 s7, s6, 16
	s_and_b32 s6, s6, 0xffff
	v_or_b32_dpp v1, v1, v1 row_shl:2 row_mask:0xf bank_mask:0xf bound_ctrl:1
	s_mul_i32 s18, s7, s6
	s_bfe_i32 s18, s18, 0x180000
	v_or_b32_dpp v1, v1, v1 row_shl:4 row_mask:0xf bank_mask:0xf bound_ctrl:1
	s_mul_i32 s5, s18, s5
	s_add_i32 s18, s5, 63
	v_or_b32_dpp v1, v1, v1 row_shl:8 row_mask:0xf bank_mask:0xf bound_ctrl:1
	s_bitcmp1_b32 exec_hi, 0
	s_nop 0
	v_mov_b32_dpp v5, v1 wave_shl:1 row_mask:0xf bank_mask:0xf bound_ctrl:1
	s_nop 1
	v_or_b32_dpp v1, v5, v1 row_mirror row_mask:0xf bank_mask:0xf bound_ctrl:1
	s_nop 0
	v_readlane_b32 s5, v1, 32
	s_cselect_b32 s5, s5, 0
	v_readlane_b32 s22, v1, 0
	s_or_b32 s5, s5, s22
	s_andn2_b32 s18, s18, 63
	s_cmp_lg_u32 s18, 64
	v_mov_b32_e32 v1, s5
	s_cbranch_scc0 .LBB103_27
; %bb.21:
	v_bfe_u32 v0, v0, 20, 10
	v_mbcnt_lo_u32_b32 v1, -1, 0
	v_mad_u32_u24 v0, v0, s7, v3
	v_mbcnt_hi_u32_b32 v5, -1, v1
	v_mad_u64_u32 v[0:1], s[6:7], v0, s6, v[2:3]
	v_lshrrev_b32_e32 v1, 6, v0
	v_or_b32_e32 v1, v5, v1
	v_cmp_eq_u32_e32 vcc, 0, v1
	s_and_saveexec_b64 s[6:7], vcc
; %bb.22:
	v_mov_b32_e32 v1, 0
	v_mov_b32_e32 v6, s5
	ds_write_b32 v1, v6
; %bb.23:
	s_or_b64 exec, exec, s[6:7]
	v_cmp_eq_u32_e32 vcc, 0, v5
	v_cmp_lt_u32_e64 s[6:7], 63, v0
	s_and_b64 s[22:23], s[6:7], vcc
	s_waitcnt lgkmcnt(0)
	s_barrier
	s_and_saveexec_b64 s[6:7], s[22:23]
	s_cbranch_execz .LBB103_26
; %bb.24:
	v_mbcnt_lo_u32_b32 v0, exec_lo, 0
	v_mbcnt_hi_u32_b32 v0, exec_hi, v0
	v_cmp_eq_u32_e32 vcc, 0, v0
	s_and_b64 exec, exec, vcc
; %bb.25:
	v_mov_b32_e32 v0, 0
	v_mov_b32_e32 v1, s5
	ds_or_b32 v0, v1
.LBB103_26:
	s_or_b64 exec, exec, s[6:7]
	v_mov_b32_e32 v0, 0
	s_waitcnt lgkmcnt(0)
	s_barrier
	ds_read_b32 v1, v0
	s_waitcnt lgkmcnt(0)
	s_barrier
.LBB103_27:
	s_load_dwordx2 s[0:1], s[0:1], 0x0
	v_cmp_ne_u32_e32 vcc, 0, v1
	s_ashr_i32 s18, s4, 31
	s_ashr_i32 s27, s27, 31
	s_cbranch_vccz .LBB103_53
; %bb.28:
	v_lshlrev_b32_e32 v79, 6, v3
	v_add_u32_e32 v81, v79, v2
	v_cmp_le_i32_e32 vcc, s16, v81
	v_and_b32_e32 v80, 15, v2
	s_and_saveexec_b64 s[6:7], vcc
	s_xor_b64 s[6:7], exec, s[6:7]
; %bb.29:
	v_and_b32_e32 v80, 15, v2
                                        ; implicit-def: $vgpr81
                                        ; implicit-def: $vgpr4
                                        ; implicit-def: $vgpr10
; %bb.30:
	s_or_saveexec_b64 s[22:23], s[6:7]
	s_lshl_b32 s5, s2, 6
	v_mov_b32_e32 v1, 0
	v_accvgpr_write_b32 a0, 0
	v_accvgpr_write_b32 a1, 0
	;; [unrolled: 1-line block ×16, first 2 shown]
	s_xor_b64 exec, exec, s[22:23]
	s_cbranch_execz .LBB103_46
; %bb.31:
	v_mul_lo_u32 v0, v4, s33
	v_sub_u32_e32 v0, s3, v0
	v_add_u32_e32 v5, 1, v4
	v_subrev_u32_e32 v6, s33, v0
	v_cmp_le_u32_e32 vcc, s33, v0
	s_xor_b32 s2, s18, s27
	v_mov_b32_e32 v82, 0x100
	v_cndmask_b32_e32 v4, v4, v5, vcc
	v_cndmask_b32_e32 v0, v0, v6, vcc
	v_add_u32_e32 v5, 1, v4
	v_cmp_le_u32_e32 vcc, s33, v0
	v_mul_lo_u32 v6, v10, s24
	v_ashrrev_i32_e32 v7, 31, v6
	v_cndmask_b32_e32 v0, v4, v5, vcc
	v_xor_b32_e32 v0, s2, v0
	v_subrev_u32_e32 v0, s2, v0
	s_mul_i32 s2, s19, s5
	s_ashr_i32 s3, s2, 31
	s_lshl_b64 s[6:7], s[2:3], 2
	s_movk_i32 s2, 0x1080
	v_mul_hi_i32 v5, v0, s28
	v_mul_lo_u32 v4, v0, s28
	v_mad_u32_u24 v0, v3, s2, v82
	s_mul_hi_i32 s3, s29, s4
	s_mul_i32 s2, s29, s4
	v_lshlrev_b64 v[8:9], 2, v[4:5]
	s_lshl_b64 s[2:3], s[2:3], 2
	v_lshrrev_b32_e32 v13, 1, v2
	s_waitcnt lgkmcnt(0)
	v_lshl_add_u64 v[4:5], s[0:1], 0, v[8:9]
	v_lshlrev_b64 v[10:11], 2, v[6:7]
	v_mul_hi_i32 v7, s20, v78
	v_mul_lo_u32 v6, s20, v78
	s_add_u32 s2, s8, s2
	v_mul_u32_u24_e32 v12, 0x108, v80
	v_and_b32_e32 v13, 0x1f8, v13
	v_lshl_add_u64 v[8:9], v[8:9], 0, s[6:7]
	v_lshlrev_b64 v[6:7], 3, v[6:7]
	s_addc_u32 s3, s9, s3
	v_lshl_add_u32 v83, v2, 2, v0
	v_add3_u32 v84, v0, v12, v13
	v_lshl_add_u64 v[8:9], v[8:9], 0, v[10:11]
	v_lshlrev_b32_e32 v0, 1, v2
	v_lshl_add_u64 v[4:5], v[4:5], 0, v[10:11]
	v_lshl_add_u64 v[6:7], s[2:3], 0, v[6:7]
	v_add_u32_e32 v12, 1, v78
	v_add_u32_e32 v13, 2, v78
	s_ashr_i32 s3, s19, 31
	s_mov_b32 s2, s19
	v_lshl_add_u64 v[8:9], s[0:1], 0, v[8:9]
	v_lshl_add_u32 v85, v3, 7, v0
	v_lshlrev_b32_e32 v0, 2, v81
	v_lshl_add_u64 v[4:5], v[4:5], 0, s[6:7]
	s_lshl_b32 s24, s20, 2
	s_add_i32 s27, s19, s19
	s_mul_i32 s31, s19, 3
	s_lshl_b32 s33, s19, 2
	s_mul_i32 s34, s19, 5
	s_mul_i32 s35, s19, 6
	;; [unrolled: 1-line block ×3, first 2 shown]
	s_lshl_b32 s37, s19, 3
	s_mul_i32 s38, s19, 9
	s_mul_i32 s39, s19, 10
	;; [unrolled: 1-line block ×7, first 2 shown]
	s_lshl_b32 s45, s19, 4
	s_mul_i32 s46, s19, 17
	s_mul_i32 s47, s19, 18
	;; [unrolled: 1-line block ×15, first 2 shown]
	s_lshl_b32 s61, s19, 5
	s_mul_i32 s62, s19, 33
	s_mul_i32 s63, s19, 34
	;; [unrolled: 1-line block ×22, first 2 shown]
	v_cmp_gt_i32_e64 s[0:1], s17, v78
	s_mul_i32 s84, s19, 55
	s_mul_i32 s85, s19, 56
	s_lshl_b64 s[2:3], s[2:3], 2
	v_accvgpr_write_b32 a15, 0
	v_accvgpr_write_b32 a14, 0
	;; [unrolled: 1-line block ×16, first 2 shown]
	v_lshl_add_u64 v[8:9], v[8:9], 0, v[0:1]
	s_mul_i32 s86, s19, 57
	s_mul_i32 s87, s19, 58
	;; [unrolled: 1-line block ×7, first 2 shown]
	s_lshl_b32 s20, s20, 1
	v_cmp_gt_i32_e64 s[6:7], s17, v12
	v_cmp_gt_i32_e64 s[8:9], s17, v13
	s_mov_b64 s[18:19], 0
	s_mov_b64 s[28:29], 0x200
	s_branch .LBB103_34
.LBB103_32:                             ;   in Loop: Header=BB103_34 Depth=1
	v_mul_lo_u32 v0, v0, s25
	v_add_u32_e32 v0, s24, v0
	v_add_u32_e32 v74, v0, v85
	v_ashrrev_i32_e32 v75, 31, v74
	v_lshl_add_u64 v[74:75], v[74:75], 2, v[6:7]
	global_load_dwordx2 v[74:75], v[74:75], off
.LBB103_33:                             ;   in Loop: Header=BB103_34 Depth=1
	s_waitcnt vmcnt(0)
	v_cvt_pk_f16_f32 v0, v74, v75
	ds_write2_b32 v83, v0, v1 offset0:148 offset1:214
	v_add_u32_e32 v0, 0x400, v83
	ds_write2_b32 v0, v1, v1 offset0:24 offset1:90
	ds_write2_b32 v0, v1, v1 offset0:156 offset1:222
	v_add_u32_e32 v0, 0x800, v83
	ds_write2_b32 v0, v1, v1 offset0:32 offset1:98
	;; [unrolled: 3-line block ×3, first 2 shown]
	ds_write2_b32 v0, v1, v1 offset0:172 offset1:238
	ds_read2_b64 v[74:77], v84 offset0:8 offset1:12
	v_add_u32_e32 v81, 0x80, v81
	s_waitcnt lgkmcnt(0)
	v_mfma_f32_16x16x16_f16 a[8:11], v[42:43], v[74:75], a[8:11]
	v_cmp_le_i32_e32 vcc, s16, v81
	v_add_u32_e32 v85, 0x100, v85
	v_lshl_add_u64 v[8:9], v[8:9], 0, s[28:29]
	v_mfma_f32_16x16x16_f16 a[12:15], v[28:29], v[74:75], a[12:15]
	s_or_b64 s[18:19], vcc, s[18:19]
	v_mfma_f32_16x16x16_f16 a[4:7], v[56:57], v[74:75], a[4:7]
	v_mfma_f32_16x16x16_f16 a[0:3], v[72:73], v[74:75], a[0:3]
	v_mfma_f32_16x16x16_f16 a[8:11], v[40:41], v[76:77], a[8:11]
	ds_read2_b64 v[40:43], v84 offset0:16 offset1:20
	v_mfma_f32_16x16x16_f16 a[12:15], v[22:23], v[76:77], a[12:15]
	v_mfma_f32_16x16x16_f16 a[4:7], v[54:55], v[76:77], a[4:7]
	v_mfma_f32_16x16x16_f16 a[0:3], v[70:71], v[76:77], a[0:3]
	s_waitcnt lgkmcnt(0)
	v_mfma_f32_16x16x16_f16 a[12:15], v[20:21], v[40:41], a[12:15]
	v_mfma_f32_16x16x16_f16 a[8:11], v[36:37], v[40:41], a[8:11]
	v_mfma_f32_16x16x16_f16 a[4:7], v[52:53], v[40:41], a[4:7]
	v_mfma_f32_16x16x16_f16 a[0:3], v[68:69], v[40:41], a[0:3]
	v_mfma_f32_16x16x16_f16 a[12:15], v[18:19], v[42:43], a[12:15]
	ds_read2_b64 v[18:21], v84 offset0:24 offset1:28
	v_mfma_f32_16x16x16_f16 a[8:11], v[34:35], v[42:43], a[8:11]
	v_mfma_f32_16x16x16_f16 a[4:7], v[50:51], v[42:43], a[4:7]
	v_mfma_f32_16x16x16_f16 a[0:3], v[66:67], v[42:43], a[0:3]
	s_waitcnt lgkmcnt(0)
	v_mfma_f32_16x16x16_f16 a[12:15], v[16:17], v[18:19], a[12:15]
	v_mfma_f32_16x16x16_f16 a[8:11], v[32:33], v[18:19], a[8:11]
	;; [unrolled: 10-line block ×3, first 2 shown]
	v_mfma_f32_16x16x16_f16 a[4:7], v[44:45], v[14:15], a[4:7]
	v_mfma_f32_16x16x16_f16 a[0:3], v[60:61], v[14:15], a[0:3]
	;; [unrolled: 1-line block ×6, first 2 shown]
	s_andn2_b64 exec, exec, s[18:19]
	s_cbranch_execz .LBB103_45
.LBB103_34:                             ; =>This Inner Loop Header: Depth=1
	v_lshl_add_u64 v[10:11], v[8:9], 0, s[2:3]
	global_load_dword v0, v[8:9], off
	global_load_dword v26, v[10:11], off
	v_add_u32_e32 v10, s27, v81
	v_add_u32_e32 v14, s33, v81
	;; [unrolled: 1-line block ×5, first 2 shown]
	v_ashrrev_i32_e32 v11, 31, v10
	v_add_u32_e32 v12, s31, v81
	v_ashrrev_i32_e32 v15, 31, v14
	v_ashrrev_i32_e32 v17, 31, v16
	;; [unrolled: 1-line block ×3, first 2 shown]
	v_add_u32_e32 v20, s36, v81
	v_ashrrev_i32_e32 v23, 31, v22
	v_add_u32_e32 v24, s38, v81
	v_lshl_add_u64 v[10:11], v[10:11], 2, v[4:5]
	v_ashrrev_i32_e32 v13, 31, v12
	v_lshl_add_u64 v[14:15], v[14:15], 2, v[4:5]
	v_lshl_add_u64 v[16:17], v[16:17], 2, v[4:5]
	;; [unrolled: 1-line block ×3, first 2 shown]
	v_ashrrev_i32_e32 v21, 31, v20
	v_lshl_add_u64 v[22:23], v[22:23], 2, v[4:5]
	v_ashrrev_i32_e32 v25, 31, v24
	v_lshl_add_u64 v[12:13], v[12:13], 2, v[4:5]
	v_lshl_add_u64 v[20:21], v[20:21], 2, v[4:5]
	;; [unrolled: 1-line block ×3, first 2 shown]
	global_load_dword v27, v[10:11], off
	global_load_dword v28, v[12:13], off
	;; [unrolled: 1-line block ×6, first 2 shown]
	s_nop 0
	global_load_dword v22, v[22:23], off
	s_nop 0
	global_load_dword v23, v[24:25], off
	v_add_u32_e32 v10, s39, v81
	v_add_u32_e32 v14, s41, v81
	;; [unrolled: 1-line block ×4, first 2 shown]
	v_ashrrev_i32_e32 v11, 31, v10
	v_add_u32_e32 v12, s40, v81
	v_ashrrev_i32_e32 v15, 31, v14
	v_ashrrev_i32_e32 v17, 31, v16
	;; [unrolled: 1-line block ×3, first 2 shown]
	v_add_u32_e32 v20, s44, v81
	v_lshl_add_u64 v[10:11], v[10:11], 2, v[4:5]
	v_ashrrev_i32_e32 v13, 31, v12
	v_lshl_add_u64 v[14:15], v[14:15], 2, v[4:5]
	v_lshl_add_u64 v[16:17], v[16:17], 2, v[4:5]
	;; [unrolled: 1-line block ×3, first 2 shown]
	v_ashrrev_i32_e32 v21, 31, v20
	v_lshl_add_u64 v[12:13], v[12:13], 2, v[4:5]
	v_lshl_add_u64 v[20:21], v[20:21], 2, v[4:5]
	global_load_dword v24, v[10:11], off
	global_load_dword v25, v[12:13], off
	s_nop 0
	global_load_dword v15, v[14:15], off
	s_nop 0
	;; [unrolled: 2-line block ×4, first 2 shown]
	global_load_dword v18, v[20:21], off
	v_add_u32_e32 v10, s45, v81
	v_add_u32_e32 v12, s46, v81
	v_ashrrev_i32_e32 v11, 31, v10
	v_add_u32_e32 v14, s47, v81
	v_ashrrev_i32_e32 v13, 31, v12
	v_lshl_add_u64 v[10:11], v[10:11], 2, v[4:5]
	v_lshl_add_u64 v[12:13], v[12:13], 2, v[4:5]
	global_load_dword v33, v[10:11], off
	global_load_dword v34, v[12:13], off
	v_add_u32_e32 v12, s48, v81
	v_add_u32_e32 v20, s52, v81
	v_ashrrev_i32_e32 v13, 31, v12
	v_ashrrev_i32_e32 v21, 31, v20
	v_lshl_add_u64 v[12:13], v[12:13], 2, v[4:5]
	v_lshl_add_u64 v[20:21], v[20:21], 2, v[4:5]
	s_andn2_b64 vcc, exec, s[0:1]
	v_mov_b32_e32 v76, 0
	v_mov_b32_e32 v77, 0
	s_waitcnt vmcnt(17)
	ds_write_b32 v83, v0 offset:64
	s_waitcnt vmcnt(16)
	ds_write_b32 v83, v26 offset:328
	;; [unrolled: 2-line block ×16, first 2 shown]
	v_ashrrev_i32_e32 v15, 31, v14
	v_lshl_add_u64 v[10:11], v[14:15], 2, v[4:5]
	v_add_u32_e32 v14, s49, v81
	v_add_u32_e32 v16, s50, v81
	;; [unrolled: 1-line block ×5, first 2 shown]
	v_ashrrev_i32_e32 v15, 31, v14
	v_ashrrev_i32_e32 v17, 31, v16
	;; [unrolled: 1-line block ×5, first 2 shown]
	v_lshl_add_u64 v[14:15], v[14:15], 2, v[4:5]
	v_lshl_add_u64 v[16:17], v[16:17], 2, v[4:5]
	v_lshl_add_u64 v[18:19], v[18:19], 2, v[4:5]
	v_lshl_add_u64 v[22:23], v[22:23], 2, v[4:5]
	v_lshl_add_u64 v[24:25], v[24:25], 2, v[4:5]
	global_load_dword v0, v[10:11], off
	global_load_dword v26, v[12:13], off
	global_load_dword v27, v[14:15], off
	global_load_dword v30, v[16:17], off
	global_load_dword v31, v[18:19], off
	global_load_dword v32, v[20:21], off
	global_load_dword v35, v[22:23], off
	global_load_dword v36, v[24:25], off
	v_add_u32_e32 v10, s55, v81
	v_ashrrev_i32_e32 v11, 31, v10
	v_add_u32_e32 v12, s56, v81
	v_add_u32_e32 v14, s57, v81
	v_add_u32_e32 v16, s58, v81
	v_add_u32_e32 v18, s59, v81
	v_add_u32_e32 v20, s60, v81
	v_add_u32_e32 v22, s61, v81
	v_add_u32_e32 v24, s62, v81
	v_lshl_add_u64 v[10:11], v[10:11], 2, v[4:5]
	v_ashrrev_i32_e32 v13, 31, v12
	v_ashrrev_i32_e32 v15, 31, v14
	v_ashrrev_i32_e32 v17, 31, v16
	v_ashrrev_i32_e32 v19, 31, v18
	v_ashrrev_i32_e32 v21, 31, v20
	v_ashrrev_i32_e32 v23, 31, v22
	v_ashrrev_i32_e32 v25, 31, v24
	v_lshl_add_u64 v[12:13], v[12:13], 2, v[4:5]
	v_lshl_add_u64 v[14:15], v[14:15], 2, v[4:5]
	v_lshl_add_u64 v[16:17], v[16:17], 2, v[4:5]
	v_lshl_add_u64 v[18:19], v[18:19], 2, v[4:5]
	v_lshl_add_u64 v[20:21], v[20:21], 2, v[4:5]
	v_lshl_add_u64 v[22:23], v[22:23], 2, v[4:5]
	v_lshl_add_u64 v[24:25], v[24:25], 2, v[4:5]
	global_load_dword v37, v[10:11], off
	global_load_dword v38, v[12:13], off
	global_load_dword v39, v[14:15], off
	global_load_dword v40, v[16:17], off
	global_load_dword v41, v[18:19], off
	global_load_dword v42, v[20:21], off
	global_load_dword v44, v[22:23], off
	global_load_dword v45, v[24:25], off
	v_add_u32_e32 v10, s63, v81
	v_ashrrev_i32_e32 v11, 31, v10
	v_add_u32_e32 v12, s64, v81
	v_add_u32_e32 v14, s65, v81
	v_add_u32_e32 v16, s66, v81
	v_add_u32_e32 v18, s67, v81
	v_add_u32_e32 v20, s68, v81
	v_add_u32_e32 v22, s69, v81
	v_add_u32_e32 v24, s70, v81
	v_lshl_add_u64 v[10:11], v[10:11], 2, v[4:5]
	v_ashrrev_i32_e32 v13, 31, v12
	v_ashrrev_i32_e32 v15, 31, v14
	v_ashrrev_i32_e32 v17, 31, v16
	v_ashrrev_i32_e32 v19, 31, v18
	v_ashrrev_i32_e32 v21, 31, v20
	v_ashrrev_i32_e32 v23, 31, v22
	v_ashrrev_i32_e32 v25, 31, v24
	v_lshl_add_u64 v[12:13], v[12:13], 2, v[4:5]
	v_lshl_add_u64 v[14:15], v[14:15], 2, v[4:5]
	v_lshl_add_u64 v[16:17], v[16:17], 2, v[4:5]
	v_lshl_add_u64 v[18:19], v[18:19], 2, v[4:5]
	v_lshl_add_u64 v[20:21], v[20:21], 2, v[4:5]
	v_lshl_add_u64 v[22:23], v[22:23], 2, v[4:5]
	v_lshl_add_u64 v[24:25], v[24:25], 2, v[4:5]
	global_load_dword v46, v[10:11], off
	global_load_dword v47, v[12:13], off
	global_load_dword v48, v[14:15], off
	global_load_dword v49, v[16:17], off
	global_load_dword v50, v[18:19], off
	global_load_dword v51, v[20:21], off
	global_load_dword v52, v[22:23], off
	global_load_dword v53, v[24:25], off
	v_add_u32_e32 v10, s71, v81
	v_ashrrev_i32_e32 v11, 31, v10
	v_add_u32_e32 v12, s72, v81
	v_add_u32_e32 v14, s73, v81
	v_add_u32_e32 v16, s74, v81
	v_add_u32_e32 v18, s75, v81
	v_add_u32_e32 v20, s76, v81
	v_add_u32_e32 v22, s77, v81
	v_add_u32_e32 v24, s78, v81
	v_lshl_add_u64 v[10:11], v[10:11], 2, v[4:5]
	v_ashrrev_i32_e32 v13, 31, v12
	v_ashrrev_i32_e32 v15, 31, v14
	v_ashrrev_i32_e32 v17, 31, v16
	v_ashrrev_i32_e32 v19, 31, v18
	v_ashrrev_i32_e32 v21, 31, v20
	v_ashrrev_i32_e32 v23, 31, v22
	v_ashrrev_i32_e32 v25, 31, v24
	v_lshl_add_u64 v[12:13], v[12:13], 2, v[4:5]
	v_lshl_add_u64 v[14:15], v[14:15], 2, v[4:5]
	v_lshl_add_u64 v[16:17], v[16:17], 2, v[4:5]
	v_lshl_add_u64 v[18:19], v[18:19], 2, v[4:5]
	v_lshl_add_u64 v[20:21], v[20:21], 2, v[4:5]
	v_lshl_add_u64 v[22:23], v[22:23], 2, v[4:5]
	v_lshl_add_u64 v[24:25], v[24:25], 2, v[4:5]
	global_load_dword v54, v[10:11], off
	global_load_dword v55, v[12:13], off
	global_load_dword v56, v[14:15], off
	global_load_dword v57, v[16:17], off
	global_load_dword v58, v[18:19], off
	global_load_dword v59, v[20:21], off
	global_load_dword v60, v[22:23], off
	global_load_dword v61, v[24:25], off
	v_add_u32_e32 v10, s79, v81
	v_ashrrev_i32_e32 v11, 31, v10
	v_add_u32_e32 v12, s80, v81
	v_add_u32_e32 v14, s81, v81
	v_add_u32_e32 v16, s82, v81
	v_add_u32_e32 v18, s83, v81
	v_add_u32_e32 v20, s84, v81
	v_add_u32_e32 v22, s85, v81
	v_add_u32_e32 v24, s86, v81
	v_lshl_add_u64 v[10:11], v[10:11], 2, v[4:5]
	v_ashrrev_i32_e32 v13, 31, v12
	v_ashrrev_i32_e32 v15, 31, v14
	v_ashrrev_i32_e32 v17, 31, v16
	v_ashrrev_i32_e32 v19, 31, v18
	v_ashrrev_i32_e32 v21, 31, v20
	v_ashrrev_i32_e32 v23, 31, v22
	v_ashrrev_i32_e32 v25, 31, v24
	v_lshl_add_u64 v[12:13], v[12:13], 2, v[4:5]
	v_lshl_add_u64 v[14:15], v[14:15], 2, v[4:5]
	v_lshl_add_u64 v[16:17], v[16:17], 2, v[4:5]
	v_lshl_add_u64 v[18:19], v[18:19], 2, v[4:5]
	;; [unrolled: 1-line block ×5, first 2 shown]
	global_load_dword v62, v[10:11], off
	global_load_dword v63, v[12:13], off
	;; [unrolled: 1-line block ×8, first 2 shown]
	v_add_u32_e32 v10, s87, v81
	v_ashrrev_i32_e32 v11, 31, v10
	v_add_u32_e32 v12, s88, v81
	v_lshl_add_u64 v[10:11], v[10:11], 2, v[4:5]
	v_ashrrev_i32_e32 v13, 31, v12
	v_lshl_add_u64 v[12:13], v[12:13], 2, v[4:5]
	global_load_dword v70, v[10:11], off
	global_load_dword v71, v[12:13], off
	v_add_u32_e32 v10, s89, v81
	v_ashrrev_i32_e32 v11, 31, v10
	v_add_u32_e32 v12, s90, v81
	v_add_u32_e32 v14, s91, v81
	;; [unrolled: 1-line block ×3, first 2 shown]
	v_lshl_add_u64 v[10:11], v[10:11], 2, v[4:5]
	v_ashrrev_i32_e32 v13, 31, v12
	v_ashrrev_i32_e32 v15, 31, v14
	;; [unrolled: 1-line block ×3, first 2 shown]
	v_lshl_add_u64 v[12:13], v[12:13], 2, v[4:5]
	v_lshl_add_u64 v[14:15], v[14:15], 2, v[4:5]
	;; [unrolled: 1-line block ×3, first 2 shown]
	global_load_dword v72, v[10:11], off
	global_load_dword v73, v[12:13], off
	;; [unrolled: 1-line block ×4, first 2 shown]
	ds_read_b64 v[28:29], v84 offset:64
	ds_read_b64 v[22:23], v84 offset:96
	ds_read_b64 v[20:21], v84 offset:128
	ds_read_b64 v[18:19], v84 offset:160
	ds_read_b64 v[16:17], v84 offset:192
	ds_read_b64 v[14:15], v84 offset:224
	ds_read_b64 v[12:13], v84 offset:256
	ds_read_b64 v[10:11], v84 offset:288
	s_waitcnt vmcnt(47)
	ds_write_b32 v83, v33 offset:64
	s_waitcnt vmcnt(46)
	ds_write_b32 v83, v34 offset:328
	s_waitcnt vmcnt(45)
	ds_write_b32 v83, v0 offset:592
	s_waitcnt vmcnt(44)
	ds_write_b32 v83, v26 offset:856
	s_waitcnt vmcnt(43)
	ds_write_b32 v83, v27 offset:1120
	s_waitcnt vmcnt(42)
	ds_write_b32 v83, v30 offset:1384
	s_waitcnt vmcnt(41)
	ds_write_b32 v83, v31 offset:1648
	s_waitcnt vmcnt(40)
	ds_write_b32 v83, v32 offset:1912
	s_waitcnt vmcnt(39)
	ds_write_b32 v83, v35 offset:2176
	s_waitcnt vmcnt(38)
	ds_write_b32 v83, v36 offset:2440
	s_waitcnt vmcnt(37)
	ds_write_b32 v83, v37 offset:2704
	s_waitcnt vmcnt(36)
	ds_write_b32 v83, v38 offset:2968
	s_waitcnt vmcnt(35)
	ds_write_b32 v83, v39 offset:3232
	s_waitcnt vmcnt(34)
	ds_write_b32 v83, v40 offset:3496
	s_waitcnt vmcnt(33)
	ds_write_b32 v83, v41 offset:3760
	s_waitcnt vmcnt(32)
	ds_write_b32 v83, v42 offset:4024
	ds_read_b64 v[42:43], v84 offset:64
	ds_read_b64 v[40:41], v84 offset:96
	ds_read_b64 v[36:37], v84 offset:128
	ds_read_b64 v[34:35], v84 offset:160
	ds_read_b64 v[32:33], v84 offset:192
	ds_read_b64 v[30:31], v84 offset:224
	ds_read_b64 v[26:27], v84 offset:256
	ds_read_b64 v[24:25], v84 offset:288
	s_waitcnt vmcnt(31)
	ds_write_b32 v83, v44 offset:64
	s_waitcnt vmcnt(30)
	ds_write_b32 v83, v45 offset:328
	s_waitcnt vmcnt(29)
	ds_write_b32 v83, v46 offset:592
	s_waitcnt vmcnt(28)
	ds_write_b32 v83, v47 offset:856
	s_waitcnt vmcnt(27)
	ds_write_b32 v83, v48 offset:1120
	s_waitcnt vmcnt(26)
	ds_write_b32 v83, v49 offset:1384
	s_waitcnt vmcnt(25)
	ds_write_b32 v83, v50 offset:1648
	s_waitcnt vmcnt(24)
	ds_write_b32 v83, v51 offset:1912
	s_waitcnt vmcnt(23)
	ds_write_b32 v83, v52 offset:2176
	s_waitcnt vmcnt(22)
	ds_write_b32 v83, v53 offset:2440
	s_waitcnt vmcnt(21)
	ds_write_b32 v83, v54 offset:2704
	s_waitcnt vmcnt(20)
	ds_write_b32 v83, v55 offset:2968
	s_waitcnt vmcnt(19)
	ds_write_b32 v83, v56 offset:3232
	s_waitcnt vmcnt(18)
	ds_write_b32 v83, v57 offset:3496
	s_waitcnt vmcnt(17)
	ds_write_b32 v83, v58 offset:3760
	s_waitcnt vmcnt(16)
	ds_write_b32 v83, v59 offset:4024
	;; [unrolled: 40-line block ×3, first 2 shown]
	ds_read_b64 v[72:73], v84 offset:64
	ds_read_b64 v[70:71], v84 offset:96
	;; [unrolled: 1-line block ×8, first 2 shown]
	v_mov_b32_e32 v74, 0
	s_cbranch_vccnz .LBB103_38
; %bb.35:                               ;   in Loop: Header=BB103_34 Depth=1
	ds_read_b32 v0, v82
	s_waitcnt lgkmcnt(0)
	v_cmp_gt_i32_e32 vcc, 0, v0
	s_cbranch_vccnz .LBB103_37
; %bb.36:                               ;   in Loop: Header=BB103_34 Depth=1
	v_mul_lo_u32 v0, v0, s25
	v_add_u32_e32 v76, v85, v0
	v_ashrrev_i32_e32 v77, 31, v76
	v_lshl_add_u64 v[76:77], v[76:77], 2, v[6:7]
	global_load_dwordx2 v[76:77], v[76:77], off
	s_branch .LBB103_38
.LBB103_37:                             ;   in Loop: Header=BB103_34 Depth=1
	v_mov_b32_e32 v76, 0
	v_mov_b32_e32 v77, 0
.LBB103_38:                             ;   in Loop: Header=BB103_34 Depth=1
	s_waitcnt vmcnt(0)
	v_cvt_pk_f16_f32 v0, v76, v77
	s_andn2_b64 vcc, exec, s[6:7]
	v_mov_b32_e32 v76, 0
	v_mov_b32_e32 v77, 0
	ds_write_b32 v83, v0 offset:64
	s_cbranch_vccnz .LBB103_42
; %bb.39:                               ;   in Loop: Header=BB103_34 Depth=1
	ds_read_b32 v0, v82 offset:4
	s_waitcnt lgkmcnt(0)
	v_cmp_gt_i32_e32 vcc, 0, v0
	s_cbranch_vccnz .LBB103_41
; %bb.40:                               ;   in Loop: Header=BB103_34 Depth=1
	v_mul_lo_u32 v0, v0, s25
	v_add_u32_e32 v0, s20, v0
	v_add_u32_e32 v76, v0, v85
	v_ashrrev_i32_e32 v77, 31, v76
	v_lshl_add_u64 v[76:77], v[76:77], 2, v[6:7]
	global_load_dwordx2 v[76:77], v[76:77], off
	s_branch .LBB103_42
.LBB103_41:                             ;   in Loop: Header=BB103_34 Depth=1
	v_mov_b32_e32 v76, 0
	v_mov_b32_e32 v77, 0
.LBB103_42:                             ;   in Loop: Header=BB103_34 Depth=1
	s_waitcnt vmcnt(0)
	v_cvt_pk_f16_f32 v0, v76, v77
	s_andn2_b64 vcc, exec, s[8:9]
	v_mov_b32_e32 v75, 0
	ds_write_b32 v83, v0 offset:328
	s_cbranch_vccnz .LBB103_33
; %bb.43:                               ;   in Loop: Header=BB103_34 Depth=1
	ds_read_b32 v0, v82 offset:8
	s_waitcnt lgkmcnt(0)
	v_cmp_gt_i32_e32 vcc, 0, v0
	s_cbranch_vccz .LBB103_32
; %bb.44:                               ;   in Loop: Header=BB103_34 Depth=1
	v_mov_b32_e32 v74, 0
	v_mov_b32_e32 v75, 0
	s_branch .LBB103_33
.LBB103_45:
	s_or_b64 exec, exec, s[18:19]
.LBB103_46:
	s_or_b64 exec, exec, s[22:23]
	v_mov_b32_e32 v1, 0x100
	v_lshl_add_u32 v0, v79, 2, v1
	v_mul_u32_u24_e32 v4, 0x208, v80
	v_and_b32_e32 v5, 0x3f0, v2
	v_add3_u32 v4, v0, v4, v5
	v_accvgpr_read_b32 v5, a13
	v_accvgpr_read_b32 v6, a12
	s_waitcnt lgkmcnt(0)
	s_barrier
	ds_write2_b32 v4, v6, v5 offset0:16 offset1:17
	v_accvgpr_read_b32 v5, a15
	v_accvgpr_read_b32 v6, a14
	ds_write2_b32 v4, v6, v5 offset0:18 offset1:19
	v_accvgpr_read_b32 v5, a9
	v_accvgpr_read_b32 v6, a8
	;; [unrolled: 3-line block ×7, first 2 shown]
	s_movk_i32 s0, 0x208
	ds_write2_b32 v4, v6, v5 offset0:66 offset1:67
	v_lshl_add_u32 v6, v2, 2, v1
	v_mad_u32_u24 v1, v3, s0, v6
	s_waitcnt lgkmcnt(0)
	s_barrier
	ds_read2_b32 v[4:5], v1 offset0:16 offset1:80
	v_cmp_gt_u32_e32 vcc, 3, v3
	v_mov_b32_e32 v7, -1
	s_and_saveexec_b64 s[0:1], vcc
; %bb.47:
	s_movk_i32 s2, 0xff04
	v_mad_i32_i24 v0, v3, s2, v0
	ds_read_b32 v7, v0
; %bb.48:
	s_or_b64 exec, exec, s[0:1]
	s_mul_hi_i32 s1, s30, s4
	s_mul_i32 s0, s30, s4
	s_lshl_b64 s[0:1], s[0:1], 2
	v_mul_hi_i32 v1, v78, s21
	v_mul_lo_u32 v0, v78, s21
	s_add_u32 s0, s14, s0
	s_addc_u32 s1, s15, s1
	v_lshlrev_b64 v[0:1], 2, v[0:1]
	s_waitcnt lgkmcnt(0)
	v_cmp_lt_i32_e32 vcc, -1, v7
	v_add_u32_e32 v2, s5, v2
	v_lshl_add_u64 v[0:1], s[0:1], 0, v[0:1]
	s_and_b64 s[2:3], vcc, s[10:11]
	s_and_saveexec_b64 s[0:1], s[2:3]
	s_cbranch_execz .LBB103_50
; %bb.49:
	v_add_f32_e32 v4, 0, v4
	v_add_f32_e32 v8, v4, v5
	v_mul_lo_u32 v4, v7, s26
	v_mul_lo_u32 v5, v3, s21
	v_add3_u32 v4, v2, v5, v4
	v_mov_b32_e32 v5, 0
	v_lshl_add_u64 v[4:5], v[4:5], 2, v[0:1]
	global_store_dword v[4:5], v8, off
.LBB103_50:
	s_or_b64 exec, exec, s[0:1]
	v_cmp_eq_u32_e32 vcc, 0, v3
	s_and_saveexec_b64 s[0:1], vcc
	s_cbranch_execz .LBB103_53
; %bb.51:
	v_mov_b32_e32 v3, 0x100
	ds_read_b32 v3, v3 offset:8
	s_waitcnt lgkmcnt(0)
	v_readfirstlane_b32 s0, v3
	s_cmp_gt_i32 s0, -1
	s_cselect_b64 s[0:1], -1, 0
	s_and_b64 s[0:1], s[0:1], s[12:13]
	s_and_b64 exec, exec, s[0:1]
	s_cbranch_execz .LBB103_53
; %bb.52:
	v_add_u32_e32 v4, 0x50, v6
	ds_read2st64_b32 v[4:5], v4 offset0:4 offset1:5
	v_mul_lo_u32 v3, v3, s26
	s_lshl_b32 s0, s21, 1
	v_add_u32_e32 v3, s0, v3
	v_add_u32_e32 v2, v3, v2
	s_waitcnt lgkmcnt(0)
	v_add_f32_e32 v3, 0, v4
	v_add_f32_e32 v4, v3, v5
	v_mov_b32_e32 v3, 0
	v_lshl_add_u64 v[0:1], v[2:3], 2, v[0:1]
	global_store_dword v[0:1], v4, off
.LBB103_53:
	s_endpgm
	.section	.rodata,"a",@progbits
	.p2align	6, 0x0
	.amdhsa_kernel _ZL9mul_mat_fI7__half2Li64ELi3ELi2ELb1EEvPKT_PKfPKiPfiiiiiiiiiiiiiiii
		.amdhsa_group_segment_fixed_size 256
		.amdhsa_private_segment_fixed_size 0
		.amdhsa_kernarg_size 352
		.amdhsa_user_sgpr_count 2
		.amdhsa_user_sgpr_dispatch_ptr 0
		.amdhsa_user_sgpr_queue_ptr 0
		.amdhsa_user_sgpr_kernarg_segment_ptr 1
		.amdhsa_user_sgpr_dispatch_id 0
		.amdhsa_user_sgpr_kernarg_preload_length 0
		.amdhsa_user_sgpr_kernarg_preload_offset 0
		.amdhsa_user_sgpr_private_segment_size 0
		.amdhsa_uses_dynamic_stack 0
		.amdhsa_enable_private_segment 0
		.amdhsa_system_sgpr_workgroup_id_x 1
		.amdhsa_system_sgpr_workgroup_id_y 1
		.amdhsa_system_sgpr_workgroup_id_z 1
		.amdhsa_system_sgpr_workgroup_info 0
		.amdhsa_system_vgpr_workitem_id 2
		.amdhsa_next_free_vgpr 104
		.amdhsa_next_free_sgpr 93
		.amdhsa_accum_offset 88
		.amdhsa_reserve_vcc 1
		.amdhsa_float_round_mode_32 0
		.amdhsa_float_round_mode_16_64 0
		.amdhsa_float_denorm_mode_32 3
		.amdhsa_float_denorm_mode_16_64 3
		.amdhsa_dx10_clamp 1
		.amdhsa_ieee_mode 1
		.amdhsa_fp16_overflow 0
		.amdhsa_tg_split 0
		.amdhsa_exception_fp_ieee_invalid_op 0
		.amdhsa_exception_fp_denorm_src 0
		.amdhsa_exception_fp_ieee_div_zero 0
		.amdhsa_exception_fp_ieee_overflow 0
		.amdhsa_exception_fp_ieee_underflow 0
		.amdhsa_exception_fp_ieee_inexact 0
		.amdhsa_exception_int_div_zero 0
	.end_amdhsa_kernel
	.section	.text._ZL9mul_mat_fI7__half2Li64ELi3ELi2ELb1EEvPKT_PKfPKiPfiiiiiiiiiiiiiiii,"axG",@progbits,_ZL9mul_mat_fI7__half2Li64ELi3ELi2ELb1EEvPKT_PKfPKiPfiiiiiiiiiiiiiiii,comdat
.Lfunc_end103:
	.size	_ZL9mul_mat_fI7__half2Li64ELi3ELi2ELb1EEvPKT_PKfPKiPfiiiiiiiiiiiiiiii, .Lfunc_end103-_ZL9mul_mat_fI7__half2Li64ELi3ELi2ELb1EEvPKT_PKfPKiPfiiiiiiiiiiiiiiii
                                        ; -- End function
	.set _ZL9mul_mat_fI7__half2Li64ELi3ELi2ELb1EEvPKT_PKfPKiPfiiiiiiiiiiiiiiii.num_vgpr, 86
	.set _ZL9mul_mat_fI7__half2Li64ELi3ELi2ELb1EEvPKT_PKfPKiPfiiiiiiiiiiiiiiii.num_agpr, 16
	.set _ZL9mul_mat_fI7__half2Li64ELi3ELi2ELb1EEvPKT_PKfPKiPfiiiiiiiiiiiiiiii.numbered_sgpr, 93
	.set _ZL9mul_mat_fI7__half2Li64ELi3ELi2ELb1EEvPKT_PKfPKiPfiiiiiiiiiiiiiiii.num_named_barrier, 0
	.set _ZL9mul_mat_fI7__half2Li64ELi3ELi2ELb1EEvPKT_PKfPKiPfiiiiiiiiiiiiiiii.private_seg_size, 0
	.set _ZL9mul_mat_fI7__half2Li64ELi3ELi2ELb1EEvPKT_PKfPKiPfiiiiiiiiiiiiiiii.uses_vcc, 1
	.set _ZL9mul_mat_fI7__half2Li64ELi3ELi2ELb1EEvPKT_PKfPKiPfiiiiiiiiiiiiiiii.uses_flat_scratch, 0
	.set _ZL9mul_mat_fI7__half2Li64ELi3ELi2ELb1EEvPKT_PKfPKiPfiiiiiiiiiiiiiiii.has_dyn_sized_stack, 0
	.set _ZL9mul_mat_fI7__half2Li64ELi3ELi2ELb1EEvPKT_PKfPKiPfiiiiiiiiiiiiiiii.has_recursion, 0
	.set _ZL9mul_mat_fI7__half2Li64ELi3ELi2ELb1EEvPKT_PKfPKiPfiiiiiiiiiiiiiiii.has_indirect_call, 0
	.section	.AMDGPU.csdata,"",@progbits
; Kernel info:
; codeLenInByte = 6104
; TotalNumSgprs: 99
; NumVgprs: 86
; NumAgprs: 16
; TotalNumVgprs: 104
; ScratchSize: 0
; MemoryBound: 0
; FloatMode: 240
; IeeeMode: 1
; LDSByteSize: 256 bytes/workgroup (compile time only)
; SGPRBlocks: 12
; VGPRBlocks: 12
; NumSGPRsForWavesPerEU: 99
; NumVGPRsForWavesPerEU: 104
; AccumOffset: 88
; Occupancy: 4
; WaveLimiterHint : 0
; COMPUTE_PGM_RSRC2:SCRATCH_EN: 0
; COMPUTE_PGM_RSRC2:USER_SGPR: 2
; COMPUTE_PGM_RSRC2:TRAP_HANDLER: 0
; COMPUTE_PGM_RSRC2:TGID_X_EN: 1
; COMPUTE_PGM_RSRC2:TGID_Y_EN: 1
; COMPUTE_PGM_RSRC2:TGID_Z_EN: 1
; COMPUTE_PGM_RSRC2:TIDIG_COMP_CNT: 2
; COMPUTE_PGM_RSRC3_GFX90A:ACCUM_OFFSET: 21
; COMPUTE_PGM_RSRC3_GFX90A:TG_SPLIT: 0
	.section	.text._ZL9mul_mat_fI7__half2Li64ELi3ELi2ELb0EEvPKT_PKfPKiPfiiiiiiiiiiiiiiii,"axG",@progbits,_ZL9mul_mat_fI7__half2Li64ELi3ELi2ELb0EEvPKT_PKfPKiPfiiiiiiiiiiiiiiii,comdat
	.globl	_ZL9mul_mat_fI7__half2Li64ELi3ELi2ELb0EEvPKT_PKfPKiPfiiiiiiiiiiiiiiii ; -- Begin function _ZL9mul_mat_fI7__half2Li64ELi3ELi2ELb0EEvPKT_PKfPKiPfiiiiiiiiiiiiiiii
	.p2align	8
	.type	_ZL9mul_mat_fI7__half2Li64ELi3ELi2ELb0EEvPKT_PKfPKiPfiiiiiiiiiiiiiiii,@function
_ZL9mul_mat_fI7__half2Li64ELi3ELi2ELb0EEvPKT_PKfPKiPfiiiiiiiiiiiiiiii: ; @_ZL9mul_mat_fI7__half2Li64ELi3ELi2ELb0EEvPKT_PKfPKiPfiiiiiiiiiiiiiiii
; %bb.0:
	s_load_dword s5, s[0:1], 0x20
	s_load_dwordx4 s[16:19], s[0:1], 0x2c
	v_bfe_u32 v82, v0, 10, 10
	v_lshlrev_b32_e32 v84, 6, v82
	v_and_b32_e32 v83, 0x3ff, v0
	v_add_u32_e32 v86, v84, v83
	s_waitcnt lgkmcnt(0)
	s_ashr_i32 s19, s4, 31
	v_cmp_le_i32_e32 vcc, s5, v86
	v_and_b32_e32 v85, 15, v83
	s_and_saveexec_b64 s[6:7], vcc
	s_xor_b64 s[6:7], exec, s[6:7]
; %bb.1:
	v_and_b32_e32 v85, 15, v83
                                        ; implicit-def: $vgpr86
; %bb.2:
	s_or_saveexec_b64 s[24:25], s[6:7]
	s_load_dwordx8 s[8:15], s[0:1], 0x40
	s_load_dwordx2 s[6:7], s[0:1], 0x18
	s_lshl_b32 s2, s2, 6
	v_mov_b32_e32 v1, 0
	v_accvgpr_write_b32 a0, 0
	v_accvgpr_write_b32 a1, 0
	;; [unrolled: 1-line block ×16, first 2 shown]
	s_xor_b64 exec, exec, s[24:25]
	s_cbranch_execz .LBB104_6
; %bb.3:
	s_waitcnt lgkmcnt(0)
	s_abs_i32 s26, s8
	v_cvt_f32_u32_e32 v0, s26
	s_abs_i32 s27, s12
	v_cvt_f32_u32_e32 v2, s27
	s_sub_i32 s20, 0, s26
	v_rcp_iflag_f32_e32 v0, v0
	s_abs_i32 s28, s3
	v_rcp_iflag_f32_e32 v2, v2
	s_sub_i32 s21, 0, s27
	v_mul_f32_e32 v0, 0x4f7ffffe, v0
	v_cvt_u32_f32_e32 v0, v0
	v_mul_f32_e32 v2, 0x4f7ffffe, v2
	v_cvt_u32_f32_e32 v2, v2
	s_abs_i32 s29, s4
	v_mul_lo_u32 v3, s20, v0
	v_mul_hi_u32 v3, v0, v3
	v_add_u32_e32 v0, v0, v3
	v_mul_hi_u32 v0, s28, v0
	v_mul_lo_u32 v4, s21, v2
	v_mul_lo_u32 v3, v0, s26
	v_mul_hi_u32 v4, v2, v4
	v_sub_u32_e32 v3, s28, v3
	v_add_u32_e32 v2, v2, v4
	v_subrev_u32_e32 v5, s26, v3
	v_cmp_le_u32_e32 vcc, s26, v3
	v_mul_hi_u32 v2, s29, v2
	v_add_u32_e32 v4, 1, v0
	v_cndmask_b32_e32 v3, v3, v5, vcc
	v_cndmask_b32_e32 v0, v0, v4, vcc
	v_cmp_le_u32_e32 vcc, s26, v3
	v_mul_lo_u32 v3, v2, s27
	s_load_dwordx4 s[20:23], s[0:1], 0x0
	s_ashr_i32 s0, s3, 31
	s_ashr_i32 s1, s8, 31
	v_add_u32_e32 v4, 1, v0
	v_sub_u32_e32 v3, s29, v3
	s_xor_b32 s0, s0, s1
	v_cndmask_b32_e32 v0, v0, v4, vcc
	v_add_u32_e32 v4, 1, v2
	v_subrev_u32_e32 v5, s27, v3
	v_cmp_le_u32_e32 vcc, s27, v3
	v_xor_b32_e32 v0, s0, v0
	s_ashr_i32 s8, s12, 31
	v_cndmask_b32_e32 v2, v2, v4, vcc
	v_cndmask_b32_e32 v3, v3, v5, vcc
	v_subrev_u32_e32 v0, s0, v0
	v_add_u32_e32 v4, 1, v2
	v_cmp_le_u32_e32 vcc, s27, v3
	s_xor_b32 s0, s19, s8
	s_mul_i32 s8, s14, s4
	v_cndmask_b32_e32 v2, v2, v4, vcc
	v_mul_lo_u32 v4, v0, s9
	s_mul_hi_i32 s9, s14, s4
	v_xor_b32_e32 v2, s0, v2
	s_lshl_b64 s[26:27], s[8:9], 2
	v_subrev_u32_e32 v2, s0, v2
	s_mul_i32 s0, s16, s2
	s_mul_i32 s28, s10, s3
	s_waitcnt lgkmcnt(0)
	s_add_u32 s8, s22, s26
	v_mul_hi_i32 v3, v2, s13
	v_mul_lo_u32 v2, v2, s13
	s_addc_u32 s9, s23, s27
	s_ashr_i32 s1, s0, 31
	s_ashr_i32 s29, s28, 31
	v_ashrrev_i32_e32 v5, 31, v4
	v_lshlrev_b64 v[6:7], 2, v[2:3]
	s_lshl_b64 s[12:13], s[0:1], 2
	s_lshl_b64 s[28:29], s[28:29], 2
	v_lshl_add_u64 v[2:3], s[20:21], 0, v[6:7]
	v_lshlrev_b64 v[4:5], 2, v[4:5]
	s_add_u32 s0, s8, s28
	s_movk_i32 s8, 0x1080
	v_lshrrev_b32_e32 v10, 1, v83
	v_lshl_add_u64 v[2:3], v[2:3], 0, v[4:5]
	v_mad_u32_u24 v0, v82, s8, 0
	v_lshlrev_b32_e32 v8, 2, v83
	v_mul_u32_u24_e32 v9, 0x108, v85
	v_and_b32_e32 v10, 0x1f8, v10
	v_lshl_add_u64 v[4:5], v[4:5], 0, s[12:13]
	s_addc_u32 s1, s9, s29
	v_add_u32_e32 v87, v0, v8
	v_add3_u32 v88, v0, v9, v10
	s_ashr_i32 s9, s16, 31
	s_mov_b32 s8, s16
	s_ashr_i32 s75, s17, 31
	s_mov_b32 s74, s17
	v_lshlrev_b32_e32 v0, 8, v82
	v_lshl_add_u64 v[4:5], v[4:5], 0, v[6:7]
	v_lshl_add_u64 v[2:3], v[2:3], 0, s[12:13]
	s_add_i32 s10, s16, s16
	s_add_i32 s14, s17, s17
	s_lshl_b32 s30, s16, 2
	s_lshl_b32 s35, s16, 3
	;; [unrolled: 1-line block ×4, first 2 shown]
	s_lshl_b64 s[8:9], s[8:9], 2
	s_lshl_b64 s[12:13], s[74:75], 3
	v_lshl_add_u64 v[4:5], v[4:5], 0, v[0:1]
	v_lshlrev_b32_e32 v0, 9, v82
	s_add_u32 s22, s22, s28
	v_mov_b32_e32 v9, v1
	v_lshl_add_u64 v[6:7], s[26:27], 0, v[0:1]
	v_lshlrev_b32_e32 v0, 3, v83
	s_addc_u32 s23, s23, s29
	v_lshl_add_u64 v[4:5], v[4:5], 0, v[8:9]
	v_lshl_add_u64 v[6:7], v[6:7], 0, v[0:1]
	s_mul_i32 s19, s16, 3
	s_mul_i32 s31, s16, 5
	s_mul_i32 s33, s16, 6
	s_mul_i32 s34, s16, 7
	s_mul_i32 s36, s16, 9
	s_mul_i32 s37, s16, 10
	s_mul_i32 s38, s16, 11
	s_mul_i32 s39, s16, 12
	s_mul_i32 s40, s16, 13
	s_mul_i32 s41, s16, 14
	s_mul_i32 s42, s16, 15
	s_mul_i32 s44, s16, 17
	s_mul_i32 s45, s16, 18
	s_mul_i32 s46, s16, 19
	s_mul_i32 s47, s16, 20
	s_mul_i32 s48, s16, 21
	s_mul_i32 s49, s16, 22
	s_mul_i32 s50, s16, 23
	s_mul_i32 s51, s16, 24
	s_mul_i32 s52, s16, 25
	s_mul_i32 s53, s16, 26
	s_mul_i32 s54, s16, 27
	s_mul_i32 s55, s16, 28
	s_mul_i32 s56, s16, 29
	s_mul_i32 s57, s16, 30
	s_mul_i32 s58, s16, 31
	s_mul_i32 s60, s16, 33
	s_mul_i32 s61, s16, 34
	s_mul_i32 s62, s16, 35
	s_mul_i32 s63, s16, 36
	s_mul_i32 s64, s16, 37
	s_mul_i32 s65, s16, 38
	s_mul_i32 s66, s16, 39
	s_mul_i32 s67, s16, 40
	s_mul_i32 s68, s16, 41
	s_mul_i32 s69, s16, 42
	s_mul_i32 s70, s16, 43
	s_mul_i32 s71, s16, 44
	s_mul_i32 s72, s16, 45
	s_mul_i32 s28, s16, 46
	s_mul_i32 s29, s16, 47
	v_lshl_add_u64 v[4:5], s[20:21], 0, v[4:5]
	s_mul_i32 s73, s16, 48
	s_mul_i32 s74, s16, 49
	;; [unrolled: 1-line block ×6, first 2 shown]
	v_lshl_add_u64 v[6:7], s[22:23], 0, v[6:7]
	s_mul_i32 s77, s16, 54
	s_mul_i32 s78, s16, 55
	v_accvgpr_write_b32 a15, 0
	v_accvgpr_write_b32 a14, 0
	;; [unrolled: 1-line block ×16, first 2 shown]
	s_mul_i32 s79, s16, 56
	s_mul_i32 s80, s16, 57
	;; [unrolled: 1-line block ×8, first 2 shown]
	s_mov_b64 s[16:17], 0
	s_mov_b64 s[20:21], 0x200
	;; [unrolled: 1-line block ×3, first 2 shown]
.LBB104_4:                              ; =>This Inner Loop Header: Depth=1
	v_add_u32_e32 v80, s10, v86
	v_add_u32_e32 v64, s19, v86
	;; [unrolled: 1-line block ×3, first 2 shown]
	v_lshl_add_u64 v[60:61], v[4:5], 0, s[8:9]
	v_add_u32_e32 v74, s31, v86
	v_add_u32_e32 v76, s33, v86
	v_ashrrev_i32_e32 v81, 31, v80
	v_ashrrev_i32_e32 v65, 31, v64
	;; [unrolled: 1-line block ×3, first 2 shown]
	v_add_u32_e32 v70, s34, v86
	v_add_u32_e32 v72, s35, v86
	global_load_dword v0, v[60:61], off
	v_lshl_add_u64 v[60:61], v[80:81], 2, v[2:3]
	v_lshl_add_u64 v[64:65], v[64:65], 2, v[2:3]
	;; [unrolled: 1-line block ×3, first 2 shown]
	v_ashrrev_i32_e32 v75, 31, v74
	v_ashrrev_i32_e32 v77, 31, v76
	v_add_u32_e32 v66, s36, v86
	v_add_u32_e32 v68, s37, v86
	global_load_dword v80, v[60:61], off
	global_load_dword v78, v[64:65], off
	;; [unrolled: 1-line block ×3, first 2 shown]
	v_lshl_add_u64 v[74:75], v[74:75], 2, v[2:3]
	v_lshl_add_u64 v[90:91], v[76:77], 2, v[2:3]
	v_ashrrev_i32_e32 v71, 31, v70
	v_ashrrev_i32_e32 v73, 31, v72
	v_add_u32_e32 v58, s38, v86
	v_add_u32_e32 v62, s39, v86
	global_load_dword v76, v[74:75], off
	global_load_dword v77, v[90:91], off
	v_lshl_add_u64 v[70:71], v[70:71], 2, v[2:3]
	v_lshl_add_u64 v[90:91], v[72:73], 2, v[2:3]
	v_ashrrev_i32_e32 v67, 31, v66
	v_ashrrev_i32_e32 v69, 31, v68
	v_add_u32_e32 v52, s40, v86
	v_add_u32_e32 v56, s41, v86
	global_load_dword v72, v[70:71], off
	global_load_dword v73, v[90:91], off
	;; [unrolled: 8-line block ×3, first 2 shown]
	v_lshl_add_u64 v[58:59], v[58:59], 2, v[2:3]
	v_lshl_add_u64 v[90:91], v[62:63], 2, v[2:3]
	v_ashrrev_i32_e32 v53, 31, v52
	v_ashrrev_i32_e32 v57, 31, v56
	v_add_u32_e32 v38, s44, v86
	v_add_u32_e32 v44, s45, v86
	;; [unrolled: 1-line block ×6, first 2 shown]
	global_load_dword v62, v[58:59], off
	global_load_dword v63, v[90:91], off
	v_lshl_add_u64 v[52:53], v[52:53], 2, v[2:3]
	v_lshl_add_u64 v[90:91], v[56:57], 2, v[2:3]
	v_ashrrev_i32_e32 v43, 31, v42
	v_ashrrev_i32_e32 v55, 31, v54
	v_add_u32_e32 v34, s47, v86
	v_add_u32_e32 v14, s51, v86
	;; [unrolled: 1-line block ×4, first 2 shown]
	global_load_dword v56, v[52:53], off
	global_load_dword v57, v[90:91], off
	v_lshl_add_u64 v[42:43], v[42:43], 2, v[2:3]
	v_lshl_add_u64 v[90:91], v[54:55], 2, v[2:3]
	v_ashrrev_i32_e32 v39, 31, v38
	v_ashrrev_i32_e32 v45, 31, v44
	;; [unrolled: 1-line block ×6, first 2 shown]
	v_add_u32_e32 v12, s54, v86
	v_add_u32_e32 v20, s55, v86
	global_load_dword v55, v[42:43], off
	global_load_dword v54, v[90:91], off
	v_lshl_add_u64 v[38:39], v[38:39], 2, v[2:3]
	v_lshl_add_u64 v[90:91], v[44:45], 2, v[2:3]
	v_ashrrev_i32_e32 v35, 31, v34
	v_lshl_add_u64 v[30:31], v[30:31], 2, v[2:3]
	v_lshl_add_u64 v[22:23], v[22:23], 2, v[2:3]
	;; [unrolled: 1-line block ×3, first 2 shown]
	v_ashrrev_i32_e32 v15, 31, v14
	v_lshl_add_u64 v[10:11], v[10:11], 2, v[2:3]
	v_ashrrev_i32_e32 v9, 31, v8
	v_ashrrev_i32_e32 v17, 31, v16
	v_add_u32_e32 v18, s56, v86
	v_add_u32_e32 v28, s57, v86
	global_load_dword v44, v[38:39], off
	global_load_dword v45, v[90:91], off
	v_lshl_add_u64 v[90:91], v[34:35], 2, v[2:3]
	global_load_dword v34, v[30:31], off
	global_load_dword v35, v[90:91], off
	s_nop 0
	global_load_dword v22, v[22:23], off
	s_nop 0
	global_load_dword v23, v[26:27], off
	v_lshl_add_u64 v[14:15], v[14:15], 2, v[2:3]
	global_load_dword v26, v[10:11], off
	global_load_dword v27, v[14:15], off
	v_lshl_add_u64 v[8:9], v[8:9], 2, v[2:3]
	v_lshl_add_u64 v[10:11], v[16:17], 2, v[2:3]
	v_ashrrev_i32_e32 v13, 31, v12
	v_ashrrev_i32_e32 v21, 31, v20
	v_add_u32_e32 v24, s58, v86
	v_add_u32_e32 v36, s59, v86
	global_load_dword v81, v[8:9], off
	global_load_dword v89, v[10:11], off
	v_lshl_add_u64 v[8:9], v[12:13], 2, v[2:3]
	v_lshl_add_u64 v[10:11], v[20:21], 2, v[2:3]
	v_ashrrev_i32_e32 v19, 31, v18
	v_ashrrev_i32_e32 v29, 31, v28
	v_add_u32_e32 v32, s60, v86
	v_add_u32_e32 v46, s61, v86
	;; [unrolled: 8-line block ×10, first 2 shown]
	global_load_dword v48, v[8:9], off
	global_load_dword v49, v[10:11], off
	v_lshl_add_u64 v[8:9], v[42:43], 2, v[2:3]
	v_lshl_add_u64 v[10:11], v[38:39], 2, v[2:3]
	v_ashrrev_i32_e32 v31, 31, v30
	v_ashrrev_i32_e32 v91, 31, v90
	v_add_u32_e32 v92, s76, v86
	global_load_dword v38, v[8:9], off
	global_load_dword v39, v[10:11], off
	v_lshl_add_u64 v[10:11], v[30:31], 2, v[2:3]
	v_lshl_add_u64 v[12:13], v[90:91], 2, v[2:3]
	v_ashrrev_i32_e32 v15, 31, v14
	v_ashrrev_i32_e32 v17, 31, v16
	v_add_u32_e32 v94, s26, v86
	v_add_u32_e32 v96, s27, v86
	global_load_dword v31, v[10:11], off
	global_load_dword v30, v[12:13], off
	v_lshl_add_u64 v[12:13], v[14:15], 2, v[2:3]
	v_lshl_add_u64 v[14:15], v[16:17], 2, v[2:3]
	v_ashrrev_i32_e32 v93, 31, v92
	v_add_u32_e32 v98, s77, v86
	v_add_u32_e32 v50, s78, v86
	global_load_dword v58, v[12:13], off
	global_load_dword v59, v[14:15], off
	v_ashrrev_i32_e32 v95, 31, v94
	v_lshl_add_u64 v[14:15], v[92:93], 2, v[2:3]
	v_ashrrev_i32_e32 v97, 31, v96
	v_add_u32_e32 v60, s79, v86
	v_add_u32_e32 v64, s80, v86
	v_lshl_add_u64 v[16:17], v[94:95], 2, v[2:3]
	global_load_dword v70, v[14:15], off
	global_load_dword v71, v[16:17], off
	v_lshl_add_u64 v[14:15], v[96:97], 2, v[2:3]
	v_ashrrev_i32_e32 v99, 31, v98
	v_ashrrev_i32_e32 v51, 31, v50
	v_add_u32_e32 v66, s81, v86
	global_load_dword v74, v[14:15], off
	global_load_dword v75, v[4:5], off
	v_lshl_add_u64 v[14:15], v[98:99], 2, v[2:3]
	v_lshl_add_u64 v[42:43], v[50:51], 2, v[2:3]
	v_ashrrev_i32_e32 v61, 31, v60
	v_ashrrev_i32_e32 v65, 31, v64
	v_add_u32_e32 v52, s82, v86
	global_load_dword v90, v[14:15], off
	global_load_dword v91, v[42:43], off
	s_nop 0
	global_load_dwordx2 v[14:15], v[6:7], off
	v_lshl_add_u64 v[42:43], v[60:61], 2, v[2:3]
	v_lshl_add_u64 v[50:51], v[64:65], 2, v[2:3]
	v_ashrrev_i32_e32 v67, 31, v66
	global_load_dword v60, v[42:43], off
	global_load_dword v61, v[50:51], off
	v_ashrrev_i32_e32 v53, 31, v52
	v_lshl_add_u64 v[50:51], v[66:67], 2, v[2:3]
	v_lshl_add_u64 v[42:43], v[6:7], 0, s[12:13]
	;; [unrolled: 1-line block ×3, first 2 shown]
	global_load_dword v64, v[50:51], off
	global_load_dword v65, v[52:53], off
	v_add_u32_e32 v50, s14, v86
	v_add_u32_e32 v8, s83, v86
	;; [unrolled: 1-line block ×5, first 2 shown]
	global_load_dwordx2 v[42:43], v[42:43], off
	v_ashrrev_i32_e32 v51, 31, v50
	v_ashrrev_i32_e32 v9, 31, v8
	v_ashrrev_i32_e32 v11, 31, v10
	v_ashrrev_i32_e32 v13, 31, v12
	v_ashrrev_i32_e32 v17, 31, v16
	v_lshl_add_u64 v[50:51], v[50:51], 3, s[0:1]
	v_lshl_add_u64 v[8:9], v[8:9], 2, v[2:3]
	;; [unrolled: 1-line block ×5, first 2 shown]
	global_load_dwordx2 v[50:51], v[50:51], off
	s_nop 0
	global_load_dword v66, v[8:9], off
	global_load_dword v67, v[10:11], off
	;; [unrolled: 1-line block ×4, first 2 shown]
	s_waitcnt vmcnt(62)
	ds_write_b32 v87, v0 offset:264
	v_accvgpr_read_b32 v95, a9
	v_accvgpr_read_b32 v94, a8
	;; [unrolled: 1-line block ×4, first 2 shown]
	v_accvgpr_mov_b32 a6, a12
	v_accvgpr_read_b32 v98, a4
	v_accvgpr_read_b32 v97, a11
	v_accvgpr_read_b32 v96, a10
	v_accvgpr_mov_b32 a7, a13
	v_accvgpr_mov_b32 a8, a14
	;; [unrolled: 1-line block ×3, first 2 shown]
	v_accvgpr_read_b32 v99, a5
	v_accvgpr_write_b32 a10, v94
	v_accvgpr_mov_b32 a17, a3
	v_accvgpr_mov_b32 a16, a2
	v_accvgpr_write_b32 a2, v98
	v_accvgpr_write_b32 a11, v95
	v_accvgpr_write_b32 a12, v96
	v_accvgpr_write_b32 a13, v97
	v_accvgpr_write_b32 a3, v99
	v_accvgpr_write_b32 a4, v100
	v_accvgpr_write_b32 a5, v101
	v_accvgpr_mov_b32 a15, a1
	v_accvgpr_mov_b32 a14, a0
	v_add_u32_e32 v86, 0x80, v86
	v_cmp_le_i32_e32 vcc, s5, v86
	v_lshl_add_u64 v[4:5], v[4:5], 0, s[20:21]
	s_or_b64 s[16:17], vcc, s[16:17]
	v_lshl_add_u64 v[6:7], v[6:7], 0, s[22:23]
	s_waitcnt vmcnt(13)
	ds_write_b32 v87, v75
	ds_write_b32 v87, v80 offset:528
	ds_write_b32 v87, v78 offset:792
	;; [unrolled: 1-line block ×14, first 2 shown]
	s_waitcnt vmcnt(10)
	v_cvt_pk_f16_f32 v75, v14, v15
	s_waitcnt vmcnt(5)
	v_cvt_pk_f16_f32 v0, v42, v43
	;; [unrolled: 2-line block ×3, first 2 shown]
	ds_read_b64 v[8:9], v88
	ds_read_b64 v[10:11], v88 offset:32
	ds_read_b64 v[12:13], v88 offset:64
	;; [unrolled: 1-line block ×7, first 2 shown]
	ds_write_b32 v87, v54
	ds_write_b32 v87, v44 offset:264
	ds_write_b32 v87, v45 offset:528
	;; [unrolled: 1-line block ×15, first 2 shown]
	ds_read_b64 v[18:19], v88
	ds_read_b64 v[20:21], v88 offset:32
	ds_read_b64 v[22:23], v88 offset:64
	ds_read_b64 v[26:27], v88 offset:96
	ds_read_b64 v[34:35], v88 offset:128
	ds_read_b64 v[44:45], v88 offset:160
	ds_read_b64 v[54:55], v88 offset:192
	ds_read_b64 v[56:57], v88 offset:224
	ds_write_b32 v87, v24
	ds_write_b32 v87, v28 offset:264
	ds_write_b32 v87, v29 offset:528
	;; [unrolled: 1-line block ×15, first 2 shown]
	ds_read_b64 v[24:25], v88
	ds_read_b64 v[28:29], v88 offset:32
	ds_read_b64 v[32:33], v88 offset:64
	;; [unrolled: 1-line block ×7, first 2 shown]
	ds_write_b32 v87, v30
	ds_write_b32 v87, v58 offset:264
	ds_write_b32 v87, v59 offset:528
	;; [unrolled: 1-line block ×11, first 2 shown]
	s_waitcnt vmcnt(3)
	ds_write_b32 v87, v66 offset:3168
	s_waitcnt vmcnt(2)
	ds_write_b32 v87, v67 offset:3432
	;; [unrolled: 2-line block ×4, first 2 shown]
	ds_read_b64 v[30:31], v88
	ds_read_b64 v[58:59], v88 offset:32
	ds_read_b64 v[60:61], v88 offset:64
	ds_read_b64 v[62:63], v88 offset:96
	ds_read_b64 v[64:65], v88 offset:128
	ds_read_b64 v[66:67], v88 offset:160
	ds_read_b64 v[68:69], v88 offset:192
	ds_read_b64 v[70:71], v88 offset:224
	ds_write_b32 v87, v75
	ds_write_b32 v87, v0 offset:264
	ds_write_b32 v87, v72 offset:528
	;; [unrolled: 1-line block ×15, first 2 shown]
	ds_read_b64 v[72:73], v88
	s_waitcnt lgkmcnt(0)
	v_mfma_f32_16x16x16_f16 a[6:9], v[8:9], v[72:73], a[6:9]
	ds_read_b64 v[8:9], v88 offset:32
	v_mfma_f32_16x16x16_f16 a[10:13], v[18:19], v[72:73], a[10:13]
	v_mfma_f32_16x16x16_f16 a[2:5], v[24:25], v[72:73], a[2:5]
	v_mfma_f32_16x16x16_f16 a[14:17], v[30:31], v[72:73], a[14:17]
	s_waitcnt lgkmcnt(0)
	v_mfma_f32_16x16x16_f16 a[6:9], v[10:11], v[8:9], a[6:9]
	v_mfma_f32_16x16x16_f16 a[10:13], v[20:21], v[8:9], a[10:13]
	v_mfma_f32_16x16x16_f16 a[0:3], v[28:29], v[8:9], a[2:5]
	v_mfma_f32_16x16x16_f16 a[14:17], v[58:59], v[8:9], a[14:17]
	ds_read_b64 v[8:9], v88 offset:64
	s_waitcnt lgkmcnt(0)
	v_mfma_f32_16x16x16_f16 a[4:7], v[12:13], v[8:9], a[6:9]
	v_mfma_f32_16x16x16_f16 a[8:11], v[22:23], v[8:9], a[10:13]
	v_mfma_f32_16x16x16_f16 a[0:3], v[32:33], v[8:9], a[0:3]
	v_mfma_f32_16x16x16_f16 a[12:15], v[60:61], v[8:9], a[14:17]
	ds_read_b64 v[8:9], v88 offset:96
	;; [unrolled: 6-line block ×6, first 2 shown]
	s_waitcnt lgkmcnt(0)
	v_mfma_f32_16x16x16_f16 a[12:15], v[52:53], v[8:9], a[4:7]
	v_mfma_f32_16x16x16_f16 a[8:11], v[56:57], v[8:9], a[8:11]
	;; [unrolled: 1-line block ×4, first 2 shown]
	s_andn2_b64 exec, exec, s[16:17]
	s_cbranch_execnz .LBB104_4
; %bb.5:
	s_or_b64 exec, exec, s[16:17]
.LBB104_6:
	s_or_b64 exec, exec, s[24:25]
	v_lshl_add_u32 v0, v84, 2, 0
	v_mul_u32_u24_e32 v1, 0x208, v85
	v_and_b32_e32 v2, 0x3f0, v83
	v_add3_u32 v0, v0, v1, v2
	v_accvgpr_read_b32 v1, a13
	v_accvgpr_read_b32 v2, a12
	s_waitcnt lgkmcnt(0)
	s_barrier
	ds_write2_b32 v0, v2, v1 offset1:1
	v_accvgpr_read_b32 v1, a15
	v_accvgpr_read_b32 v2, a14
	ds_write2_b32 v0, v2, v1 offset0:2 offset1:3
	v_accvgpr_read_b32 v1, a9
	v_accvgpr_read_b32 v2, a8
	ds_write2_b32 v0, v2, v1 offset0:16 offset1:17
	;; [unrolled: 3-line block ×3, first 2 shown]
	v_accvgpr_read_b32 v1, a5
	v_accvgpr_read_b32 v2, a4
	s_mul_hi_i32 s1, s15, s4
	s_mul_i32 s0, s15, s4
	ds_write2_b32 v0, v2, v1 offset0:32 offset1:33
	v_accvgpr_read_b32 v1, a7
	v_accvgpr_read_b32 v2, a6
	s_lshl_b64 s[0:1], s[0:1], 2
	ds_write2_b32 v0, v2, v1 offset0:34 offset1:35
	v_accvgpr_read_b32 v1, a1
	v_accvgpr_read_b32 v2, a0
	s_mul_i32 s4, s11, s3
	s_add_u32 s3, s6, s0
	s_movk_i32 s0, 0x208
	ds_write2_b32 v0, v2, v1 offset0:48 offset1:49
	v_accvgpr_read_b32 v1, a3
	v_accvgpr_read_b32 v2, a2
	v_lshl_add_u32 v3, v83, 2, 0
	ds_write2_b32 v0, v2, v1 offset0:50 offset1:51
	v_mad_u32_u24 v0, v82, s0, v3
	s_waitcnt lgkmcnt(0)
	s_barrier
	ds_read2st64_b32 v[0:1], v0 offset1:1
	s_addc_u32 s6, s7, s1
	s_ashr_i32 s5, s4, 31
	s_lshl_b64 s[0:1], s[4:5], 2
	v_add_u32_e32 v2, s2, v83
	s_waitcnt lgkmcnt(0)
	v_add_f32_e32 v0, 0, v0
	s_add_u32 s0, s3, s0
	v_add_f32_e32 v6, v0, v1
	v_mad_u64_u32 v[0:1], s[2:3], v82, s18, v[2:3]
	s_addc_u32 s1, s6, s1
	v_mov_b32_e32 v1, 0
	v_lshl_add_u64 v[4:5], v[0:1], 2, s[0:1]
	v_cmp_eq_u32_e32 vcc, 0, v82
	global_store_dword v[4:5], v6, off
	s_and_saveexec_b64 s[2:3], vcc
	s_cbranch_execz .LBB104_8
; %bb.7:
	v_add_u32_e32 v0, 16, v3
	ds_read2st64_b32 v[4:5], v0 offset0:4 offset1:5
	v_lshl_add_u32 v0, s18, 1, v2
	v_lshl_add_u64 v[0:1], v[0:1], 2, s[0:1]
	s_waitcnt lgkmcnt(0)
	v_add_f32_e32 v2, 0, v4
	v_add_f32_e32 v2, v2, v5
	global_store_dword v[0:1], v2, off
.LBB104_8:
	s_endpgm
	.section	.rodata,"a",@progbits
	.p2align	6, 0x0
	.amdhsa_kernel _ZL9mul_mat_fI7__half2Li64ELi3ELi2ELb0EEvPKT_PKfPKiPfiiiiiiiiiiiiiiii
		.amdhsa_group_segment_fixed_size 0
		.amdhsa_private_segment_fixed_size 0
		.amdhsa_kernarg_size 96
		.amdhsa_user_sgpr_count 2
		.amdhsa_user_sgpr_dispatch_ptr 0
		.amdhsa_user_sgpr_queue_ptr 0
		.amdhsa_user_sgpr_kernarg_segment_ptr 1
		.amdhsa_user_sgpr_dispatch_id 0
		.amdhsa_user_sgpr_kernarg_preload_length 0
		.amdhsa_user_sgpr_kernarg_preload_offset 0
		.amdhsa_user_sgpr_private_segment_size 0
		.amdhsa_uses_dynamic_stack 0
		.amdhsa_enable_private_segment 0
		.amdhsa_system_sgpr_workgroup_id_x 1
		.amdhsa_system_sgpr_workgroup_id_y 1
		.amdhsa_system_sgpr_workgroup_id_z 1
		.amdhsa_system_sgpr_workgroup_info 0
		.amdhsa_system_vgpr_workitem_id 1
		.amdhsa_next_free_vgpr 124
		.amdhsa_next_free_sgpr 87
		.amdhsa_accum_offset 104
		.amdhsa_reserve_vcc 1
		.amdhsa_float_round_mode_32 0
		.amdhsa_float_round_mode_16_64 0
		.amdhsa_float_denorm_mode_32 3
		.amdhsa_float_denorm_mode_16_64 3
		.amdhsa_dx10_clamp 1
		.amdhsa_ieee_mode 1
		.amdhsa_fp16_overflow 0
		.amdhsa_tg_split 0
		.amdhsa_exception_fp_ieee_invalid_op 0
		.amdhsa_exception_fp_denorm_src 0
		.amdhsa_exception_fp_ieee_div_zero 0
		.amdhsa_exception_fp_ieee_overflow 0
		.amdhsa_exception_fp_ieee_underflow 0
		.amdhsa_exception_fp_ieee_inexact 0
		.amdhsa_exception_int_div_zero 0
	.end_amdhsa_kernel
	.section	.text._ZL9mul_mat_fI7__half2Li64ELi3ELi2ELb0EEvPKT_PKfPKiPfiiiiiiiiiiiiiiii,"axG",@progbits,_ZL9mul_mat_fI7__half2Li64ELi3ELi2ELb0EEvPKT_PKfPKiPfiiiiiiiiiiiiiiii,comdat
.Lfunc_end104:
	.size	_ZL9mul_mat_fI7__half2Li64ELi3ELi2ELb0EEvPKT_PKfPKiPfiiiiiiiiiiiiiiii, .Lfunc_end104-_ZL9mul_mat_fI7__half2Li64ELi3ELi2ELb0EEvPKT_PKfPKiPfiiiiiiiiiiiiiiii
                                        ; -- End function
	.set _ZL9mul_mat_fI7__half2Li64ELi3ELi2ELb0EEvPKT_PKfPKiPfiiiiiiiiiiiiiiii.num_vgpr, 102
	.set _ZL9mul_mat_fI7__half2Li64ELi3ELi2ELb0EEvPKT_PKfPKiPfiiiiiiiiiiiiiiii.num_agpr, 20
	.set _ZL9mul_mat_fI7__half2Li64ELi3ELi2ELb0EEvPKT_PKfPKiPfiiiiiiiiiiiiiiii.numbered_sgpr, 87
	.set _ZL9mul_mat_fI7__half2Li64ELi3ELi2ELb0EEvPKT_PKfPKiPfiiiiiiiiiiiiiiii.num_named_barrier, 0
	.set _ZL9mul_mat_fI7__half2Li64ELi3ELi2ELb0EEvPKT_PKfPKiPfiiiiiiiiiiiiiiii.private_seg_size, 0
	.set _ZL9mul_mat_fI7__half2Li64ELi3ELi2ELb0EEvPKT_PKfPKiPfiiiiiiiiiiiiiiii.uses_vcc, 1
	.set _ZL9mul_mat_fI7__half2Li64ELi3ELi2ELb0EEvPKT_PKfPKiPfiiiiiiiiiiiiiiii.uses_flat_scratch, 0
	.set _ZL9mul_mat_fI7__half2Li64ELi3ELi2ELb0EEvPKT_PKfPKiPfiiiiiiiiiiiiiiii.has_dyn_sized_stack, 0
	.set _ZL9mul_mat_fI7__half2Li64ELi3ELi2ELb0EEvPKT_PKfPKiPfiiiiiiiiiiiiiiii.has_recursion, 0
	.set _ZL9mul_mat_fI7__half2Li64ELi3ELi2ELb0EEvPKT_PKfPKiPfiiiiiiiiiiiiiiii.has_indirect_call, 0
	.section	.AMDGPU.csdata,"",@progbits
; Kernel info:
; codeLenInByte = 4680
; TotalNumSgprs: 93
; NumVgprs: 102
; NumAgprs: 20
; TotalNumVgprs: 124
; ScratchSize: 0
; MemoryBound: 0
; FloatMode: 240
; IeeeMode: 1
; LDSByteSize: 0 bytes/workgroup (compile time only)
; SGPRBlocks: 11
; VGPRBlocks: 15
; NumSGPRsForWavesPerEU: 93
; NumVGPRsForWavesPerEU: 124
; AccumOffset: 104
; Occupancy: 4
; WaveLimiterHint : 0
; COMPUTE_PGM_RSRC2:SCRATCH_EN: 0
; COMPUTE_PGM_RSRC2:USER_SGPR: 2
; COMPUTE_PGM_RSRC2:TRAP_HANDLER: 0
; COMPUTE_PGM_RSRC2:TGID_X_EN: 1
; COMPUTE_PGM_RSRC2:TGID_Y_EN: 1
; COMPUTE_PGM_RSRC2:TGID_Z_EN: 1
; COMPUTE_PGM_RSRC2:TIDIG_COMP_CNT: 1
; COMPUTE_PGM_RSRC3_GFX90A:ACCUM_OFFSET: 25
; COMPUTE_PGM_RSRC3_GFX90A:TG_SPLIT: 0
	.section	.text._ZL13mul_mat_f_idsI7__half2Li64ELi3ELi3EEvPKT_PKfPKiS7_S7_Pfiiiiiiiiiiiiii15HIP_vector_typeIjLj3EESA_,"axG",@progbits,_ZL13mul_mat_f_idsI7__half2Li64ELi3ELi3EEvPKT_PKfPKiS7_S7_Pfiiiiiiiiiiiiii15HIP_vector_typeIjLj3EESA_,comdat
	.globl	_ZL13mul_mat_f_idsI7__half2Li64ELi3ELi3EEvPKT_PKfPKiS7_S7_Pfiiiiiiiiiiiiii15HIP_vector_typeIjLj3EESA_ ; -- Begin function _ZL13mul_mat_f_idsI7__half2Li64ELi3ELi3EEvPKT_PKfPKiS7_S7_Pfiiiiiiiiiiiiii15HIP_vector_typeIjLj3EESA_
	.p2align	8
	.type	_ZL13mul_mat_f_idsI7__half2Li64ELi3ELi3EEvPKT_PKfPKiS7_S7_Pfiiiiiiiiiiiiii15HIP_vector_typeIjLj3EESA_,@function
_ZL13mul_mat_f_idsI7__half2Li64ELi3ELi3EEvPKT_PKfPKiS7_S7_Pfiiiiiiiiiiiiii15HIP_vector_typeIjLj3EESA_: ; @_ZL13mul_mat_f_idsI7__half2Li64ELi3ELi3EEvPKT_PKfPKiS7_S7_Pfiiiiiiiiiiiiii15HIP_vector_typeIjLj3EESA_
; %bb.0:
	s_load_dwordx2 s[6:7], s[0:1], 0x20
	s_mov_b32 s34, s3
	s_ashr_i32 s35, s3, 31
	s_lshl_b64 s[8:9], s[34:35], 2
	s_waitcnt lgkmcnt(0)
	s_add_u32 s6, s6, s8
	s_addc_u32 s7, s7, s9
	s_load_dwordx2 s[24:25], s[6:7], 0x0
	s_waitcnt lgkmcnt(0)
	s_sub_i32 s33, s25, s24
	s_add_i32 s3, s33, 2
	s_mul_hi_i32 s3, s3, 0x55555556
	s_lshr_b32 s5, s3, 31
	s_add_i32 s3, s3, s5
	s_cmp_ge_i32 s4, s3
	s_cbranch_scc1 .LBB105_19
; %bb.1:
	v_bfe_u32 v69, v0, 10, 10
	v_lshlrev_b32_e32 v70, 6, v69
	v_and_b32_e32 v68, 0x3ff, v0
	s_load_dwordx4 s[12:15], s[0:1], 0x30
	s_load_dwordx2 s[20:21], s[0:1], 0x40
	s_load_dwordx4 s[8:11], s[0:1], 0x4c
	s_load_dwordx4 s[16:19], s[0:1], 0x68
	s_load_dwordx2 s[26:27], s[0:1], 0x78
	v_add_u32_e32 v72, v70, v68
	s_ashr_i32 s25, s24, 31
	s_waitcnt lgkmcnt(0)
	v_cmp_le_i32_e32 vcc, s12, v72
	v_and_b32_e32 v71, 15, v68
	s_and_saveexec_b64 s[6:7], vcc
	s_xor_b64 s[6:7], exec, s[6:7]
; %bb.2:
	v_and_b32_e32 v71, 15, v68
                                        ; implicit-def: $vgpr72
; %bb.3:
	s_or_saveexec_b64 s[30:31], s[6:7]
	s_load_dwordx2 s[28:29], s[0:1], 0x18
	s_load_dwordx2 s[6:7], s[0:1], 0x28
                                        ; implicit-def: $vgpr82 : SGPR spill to VGPR lane
	s_lshl_b32 s11, s2, 6
	s_mul_i32 s2, s4, 3
	v_mov_b32_e32 v1, 0
	v_accvgpr_write_b32 a4, 0
	s_waitcnt lgkmcnt(0)
	v_writelane_b32 v82, s6, 0
	v_accvgpr_write_b32 a5, 0
	v_accvgpr_write_b32 a6, 0
	;; [unrolled: 1-line block ×15, first 2 shown]
	v_writelane_b32 v82, s7, 1
	s_xor_b64 exec, exec, s[30:31]
	s_cbranch_execz .LBB105_16
; %bb.4:
	s_load_dwordx4 s[4:7], s[0:1], 0x0
	s_load_dwordx2 s[22:23], s[0:1], 0x10
	s_mul_i32 s0, s8, s34
	s_ashr_i32 s1, s0, 31
	v_writelane_b32 v82, s26, 2
	s_lshl_b64 s[44:45], s[0:1], 2
	s_waitcnt lgkmcnt(0)
	s_add_u32 s0, s4, s44
	v_writelane_b32 v82, s27, 3
	s_mul_i32 s26, s15, s11
	s_addc_u32 s1, s5, s45
	s_ashr_i32 s27, s26, 31
	s_lshl_b64 s[46:47], s[26:27], 2
	s_add_u32 s0, s0, s46
	s_addc_u32 s1, s1, s47
	s_lshl_b64 s[26:27], s[24:25], 2
	s_add_u32 s8, s22, s26
	s_addc_u32 s26, s23, s27
	s_movk_i32 s3, 0x1080
	s_cmp_lt_i32 s2, s33
	v_mad_u32_u24 v0, v69, s3, 0
	s_cselect_b64 s[34:35], -1, 0
	s_ashr_i32 s3, s2, 31
	s_lshl_b64 s[22:23], s[2:3], 2
	s_add_u32 s36, s8, s22
	s_addc_u32 s37, s26, s23
	s_add_i32 s3, s2, 1
	s_cmp_lt_i32 s3, s33
	s_cselect_b64 s[38:39], -1, 0
	s_add_i32 s3, s2, 2
	s_cmp_lt_i32 s3, s33
	s_cselect_b64 s[40:41], -1, 0
	s_ashr_i32 s23, s15, 31
	s_mov_b32 s22, s15
	v_lshrrev_b32_e32 v4, 1, v68
	s_add_i32 s3, s15, s15
	s_lshl_b32 s48, s15, 2
	s_lshl_b32 s52, s15, 3
	;; [unrolled: 1-line block ×4, first 2 shown]
	s_lshl_b64 s[42:43], s[22:23], 2
	v_lshlrev_b32_e32 v2, 2, v68
	v_mul_u32_u24_e32 v3, 0x108, v71
	v_and_b32_e32 v4, 0x1f8, v4
	s_add_u32 s22, s44, s46
	v_add_u32_e32 v73, v0, v2
	v_add3_u32 v74, v0, v3, v4
	s_addc_u32 s23, s45, s47
	v_lshlrev_b32_e32 v0, 8, v69
	v_lshl_add_u64 v[4:5], s[22:23], 0, v[0:1]
	v_mov_b32_e32 v3, v1
	v_lshl_add_u64 v[2:3], v[4:5], 0, v[2:3]
	s_mul_i32 s8, s15, 3
	s_mul_i32 s49, s15, 5
	;; [unrolled: 1-line block ×43, first 2 shown]
	v_accvgpr_write_b32 a15, 0
	v_accvgpr_write_b32 a14, 0
	;; [unrolled: 1-line block ×16, first 2 shown]
	v_lshl_add_u64 v[2:3], s[4:5], 0, v[2:3]
	s_mul_i32 s90, s15, 50
	s_mul_i32 s91, s15, 51
	;; [unrolled: 1-line block ×14, first 2 shown]
	s_mov_b32 s23, 0x5040100
	s_mov_b64 s[4:5], 0
	v_writelane_b32 v82, s11, 4
	s_branch .LBB105_6
.LBB105_5:                              ;   in Loop: Header=BB105_6 Depth=1
	v_perm_b32 v0, v0, v75, s23
	v_perm_b32 v75, v77, v78, s23
	ds_write2_b32 v73, v0, v75 offset1:66
	v_perm_b32 v0, v79, v76, s23
	ds_write2_b32 v73, v0, v1 offset0:132 offset1:198
	v_add_u32_e32 v0, 0x400, v73
	ds_write2_b32 v0, v1, v1 offset0:8 offset1:74
	ds_write2_b32 v0, v1, v1 offset0:140 offset1:206
	v_add_u32_e32 v0, 0x800, v73
	ds_write2_b32 v0, v1, v1 offset0:16 offset1:82
	;; [unrolled: 3-line block ×3, first 2 shown]
	ds_write2_b32 v0, v1, v1 offset0:156 offset1:222
	ds_read2_b64 v[76:79], v74 offset1:4
	s_waitcnt lgkmcnt(0)
	v_mfma_f32_16x16x16_f16 a[4:7], v[10:11], v[76:77], a[4:7]
	v_add_u32_e32 v72, 0xc0, v72
	s_mov_b64 vcc, 0x300
	v_lshl_add_u64 v[2:3], v[2:3], 0, vcc
	v_mfma_f32_16x16x16_f16 a[0:3], v[36:37], v[76:77], a[0:3]
	v_cmp_le_i32_e32 vcc, s12, v72
	s_or_b64 s[4:5], vcc, s[4:5]
	v_mfma_f32_16x16x16_f16 a[8:11], v[50:51], v[76:77], a[8:11]
	v_mfma_f32_16x16x16_f16 a[12:15], v[66:67], v[76:77], a[12:15]
	;; [unrolled: 1-line block ×3, first 2 shown]
	ds_read2_b64 v[8:11], v74 offset0:8 offset1:12
	v_mfma_f32_16x16x16_f16 a[0:3], v[34:35], v[78:79], a[0:3]
	v_mfma_f32_16x16x16_f16 a[8:11], v[48:49], v[78:79], a[8:11]
	;; [unrolled: 1-line block ×3, first 2 shown]
	s_waitcnt lgkmcnt(0)
	v_mfma_f32_16x16x16_f16 a[4:7], v[6:7], v[8:9], a[4:7]
	v_mfma_f32_16x16x16_f16 a[0:3], v[30:31], v[8:9], a[0:3]
	;; [unrolled: 1-line block ×5, first 2 shown]
	ds_read2_b64 v[4:7], v74 offset0:16 offset1:20
	v_mfma_f32_16x16x16_f16 a[0:3], v[28:29], v[10:11], a[0:3]
	v_mfma_f32_16x16x16_f16 a[8:11], v[44:45], v[10:11], a[8:11]
	;; [unrolled: 1-line block ×3, first 2 shown]
	s_waitcnt lgkmcnt(0)
	v_mfma_f32_16x16x16_f16 a[4:7], v[18:19], v[4:5], a[4:7]
	v_mfma_f32_16x16x16_f16 a[0:3], v[26:27], v[4:5], a[0:3]
	;; [unrolled: 1-line block ×8, first 2 shown]
	ds_read2_b64 v[4:7], v74 offset0:24 offset1:28
	s_waitcnt lgkmcnt(0)
	v_mfma_f32_16x16x16_f16 a[4:7], v[14:15], v[4:5], a[4:7]
	v_mfma_f32_16x16x16_f16 a[0:3], v[22:23], v[4:5], a[0:3]
	v_mfma_f32_16x16x16_f16 a[8:11], v[38:39], v[4:5], a[8:11]
	v_mfma_f32_16x16x16_f16 a[12:15], v[54:55], v[4:5], a[12:15]
	v_mfma_f32_16x16x16_f16 a[4:7], v[12:13], v[6:7], a[4:7]
	v_mfma_f32_16x16x16_f16 a[0:3], v[20:21], v[6:7], a[0:3]
	v_mfma_f32_16x16x16_f16 a[8:11], v[32:33], v[6:7], a[8:11]
	v_mfma_f32_16x16x16_f16 a[12:15], v[52:53], v[6:7], a[12:15]
	s_andn2_b64 exec, exec, s[4:5]
	s_cbranch_execz .LBB105_15
.LBB105_6:                              ; =>This Inner Loop Header: Depth=1
	v_lshl_add_u64 v[4:5], v[2:3], 0, s[42:43]
	global_load_dword v0, v[2:3], off
	global_load_dword v20, v[4:5], off
	v_add_u32_e32 v4, s3, v72
	v_add_u32_e32 v8, s48, v72
	;; [unrolled: 1-line block ×4, first 2 shown]
	v_ashrrev_i32_e32 v5, 31, v4
	v_add_u32_e32 v6, s8, v72
	v_ashrrev_i32_e32 v9, 31, v8
	v_ashrrev_i32_e32 v11, 31, v10
	v_add_u32_e32 v12, s50, v72
	v_add_u32_e32 v14, s51, v72
	v_ashrrev_i32_e32 v17, 31, v16
	v_add_u32_e32 v18, s53, v72
	v_lshl_add_u64 v[4:5], v[4:5], 2, s[0:1]
	v_ashrrev_i32_e32 v7, 31, v6
	v_lshl_add_u64 v[8:9], v[8:9], 2, s[0:1]
	v_lshl_add_u64 v[10:11], v[10:11], 2, s[0:1]
	v_ashrrev_i32_e32 v13, 31, v12
	v_ashrrev_i32_e32 v15, 31, v14
	v_lshl_add_u64 v[16:17], v[16:17], 2, s[0:1]
	v_ashrrev_i32_e32 v19, 31, v18
	v_lshl_add_u64 v[6:7], v[6:7], 2, s[0:1]
	v_lshl_add_u64 v[12:13], v[12:13], 2, s[0:1]
	v_lshl_add_u64 v[14:15], v[14:15], 2, s[0:1]
	v_lshl_add_u64 v[18:19], v[18:19], 2, s[0:1]
	global_load_dword v21, v[4:5], off
	global_load_dword v22, v[6:7], off
	;; [unrolled: 1-line block ×6, first 2 shown]
	s_nop 0
	global_load_dword v16, v[16:17], off
	s_nop 0
	global_load_dword v17, v[18:19], off
	v_add_u32_e32 v4, s54, v72
	v_add_u32_e32 v8, s56, v72
	;; [unrolled: 1-line block ×3, first 2 shown]
	v_ashrrev_i32_e32 v5, 31, v4
	v_add_u32_e32 v6, s55, v72
	v_ashrrev_i32_e32 v9, 31, v8
	v_ashrrev_i32_e32 v11, 31, v10
	v_add_u32_e32 v12, s58, v72
	v_add_u32_e32 v14, s59, v72
	v_lshl_add_u64 v[4:5], v[4:5], 2, s[0:1]
	v_ashrrev_i32_e32 v7, 31, v6
	v_lshl_add_u64 v[8:9], v[8:9], 2, s[0:1]
	v_lshl_add_u64 v[10:11], v[10:11], 2, s[0:1]
	v_ashrrev_i32_e32 v13, 31, v12
	v_ashrrev_i32_e32 v15, 31, v14
	v_lshl_add_u64 v[6:7], v[6:7], 2, s[0:1]
	v_lshl_add_u64 v[12:13], v[12:13], 2, s[0:1]
	;; [unrolled: 1-line block ×3, first 2 shown]
	global_load_dword v18, v[4:5], off
	global_load_dword v19, v[6:7], off
	s_nop 0
	global_load_dword v8, v[8:9], off
	s_nop 0
	;; [unrolled: 2-line block ×3, first 2 shown]
	global_load_dword v10, v[12:13], off
	global_load_dword v11, v[14:15], off
	v_add_u32_e32 v4, s60, v72
	v_add_u32_e32 v6, s61, v72
	v_ashrrev_i32_e32 v5, 31, v4
	v_ashrrev_i32_e32 v7, 31, v6
	v_lshl_add_u64 v[4:5], v[4:5], 2, s[0:1]
	v_add_u32_e32 v12, s62, v72
	v_lshl_add_u64 v[6:7], v[6:7], 2, s[0:1]
	global_load_dword v28, v[4:5], off
	global_load_dword v29, v[6:7], off
	v_ashrrev_i32_e32 v13, 31, v12
	v_add_u32_e32 v14, s63, v72
	v_lshl_add_u64 v[12:13], v[12:13], 2, s[0:1]
	v_ashrrev_i32_e32 v15, 31, v14
	v_lshl_add_u64 v[14:15], v[14:15], 2, s[0:1]
	s_andn2_b64 vcc, exec, s[34:35]
	s_waitcnt vmcnt(17)
	ds_write_b32 v73, v0
	s_waitcnt vmcnt(16)
	ds_write_b32 v73, v20 offset:264
	s_waitcnt vmcnt(15)
	ds_write_b32 v73, v21 offset:528
	;; [unrolled: 2-line block ×15, first 2 shown]
	v_add_u32_e32 v16, s64, v72
	v_add_u32_e32 v18, s65, v72
	;; [unrolled: 1-line block ×6, first 2 shown]
	v_ashrrev_i32_e32 v17, 31, v16
	v_ashrrev_i32_e32 v19, 31, v18
	;; [unrolled: 1-line block ×6, first 2 shown]
	ds_read_b64 v[10:11], v74
	ds_read_b64 v[8:9], v74 offset:32
	ds_read_b64 v[6:7], v74 offset:64
	;; [unrolled: 1-line block ×3, first 2 shown]
	v_lshl_add_u64 v[16:17], v[16:17], 2, s[0:1]
	v_lshl_add_u64 v[18:19], v[18:19], 2, s[0:1]
	v_lshl_add_u64 v[20:21], v[20:21], 2, s[0:1]
	v_lshl_add_u64 v[22:23], v[22:23], 2, s[0:1]
	v_lshl_add_u64 v[24:25], v[24:25], 2, s[0:1]
	v_lshl_add_u64 v[26:27], v[26:27], 2, s[0:1]
	global_load_dword v0, v[12:13], off
	global_load_dword v30, v[14:15], off
	global_load_dword v31, v[16:17], off
	global_load_dword v32, v[18:19], off
	global_load_dword v33, v[20:21], off
	global_load_dword v34, v[22:23], off
	global_load_dword v35, v[24:25], off
	global_load_dword v36, v[26:27], off
	v_add_u32_e32 v12, s70, v72
	v_ashrrev_i32_e32 v13, 31, v12
	v_add_u32_e32 v14, s71, v72
	v_add_u32_e32 v16, s72, v72
	v_add_u32_e32 v18, s73, v72
	v_add_u32_e32 v20, s74, v72
	v_add_u32_e32 v22, s75, v72
	v_add_u32_e32 v24, s76, v72
	v_add_u32_e32 v26, s77, v72
	v_lshl_add_u64 v[12:13], v[12:13], 2, s[0:1]
	v_ashrrev_i32_e32 v15, 31, v14
	v_ashrrev_i32_e32 v17, 31, v16
	v_ashrrev_i32_e32 v19, 31, v18
	v_ashrrev_i32_e32 v21, 31, v20
	v_ashrrev_i32_e32 v23, 31, v22
	v_ashrrev_i32_e32 v25, 31, v24
	v_ashrrev_i32_e32 v27, 31, v26
	v_lshl_add_u64 v[14:15], v[14:15], 2, s[0:1]
	v_lshl_add_u64 v[16:17], v[16:17], 2, s[0:1]
	v_lshl_add_u64 v[18:19], v[18:19], 2, s[0:1]
	v_lshl_add_u64 v[20:21], v[20:21], 2, s[0:1]
	v_lshl_add_u64 v[22:23], v[22:23], 2, s[0:1]
	v_lshl_add_u64 v[24:25], v[24:25], 2, s[0:1]
	v_lshl_add_u64 v[26:27], v[26:27], 2, s[0:1]
	global_load_dword v37, v[12:13], off
	global_load_dword v38, v[14:15], off
	global_load_dword v39, v[16:17], off
	global_load_dword v40, v[18:19], off
	global_load_dword v41, v[20:21], off
	global_load_dword v42, v[22:23], off
	global_load_dword v43, v[24:25], off
	global_load_dword v44, v[26:27], off
	v_add_u32_e32 v12, s78, v72
	v_ashrrev_i32_e32 v13, 31, v12
	v_add_u32_e32 v14, s79, v72
	v_add_u32_e32 v16, s80, v72
	v_add_u32_e32 v18, s81, v72
	v_add_u32_e32 v20, s82, v72
	v_add_u32_e32 v22, s83, v72
	v_add_u32_e32 v24, s84, v72
	v_add_u32_e32 v26, s85, v72
	v_lshl_add_u64 v[12:13], v[12:13], 2, s[0:1]
	v_ashrrev_i32_e32 v15, 31, v14
	v_ashrrev_i32_e32 v17, 31, v16
	v_ashrrev_i32_e32 v19, 31, v18
	v_ashrrev_i32_e32 v21, 31, v20
	v_ashrrev_i32_e32 v23, 31, v22
	v_ashrrev_i32_e32 v25, 31, v24
	v_ashrrev_i32_e32 v27, 31, v26
	v_lshl_add_u64 v[14:15], v[14:15], 2, s[0:1]
	;; [unrolled: 32-line block ×4, first 2 shown]
	v_lshl_add_u64 v[16:17], v[16:17], 2, s[0:1]
	v_lshl_add_u64 v[18:19], v[18:19], 2, s[0:1]
	;; [unrolled: 1-line block ×6, first 2 shown]
	global_load_dword v61, v[12:13], off
	global_load_dword v62, v[14:15], off
	;; [unrolled: 1-line block ×8, first 2 shown]
	v_add_u32_e32 v12, s98, v72
	v_ashrrev_i32_e32 v13, 31, v12
	v_add_u32_e32 v14, s99, v72
	v_add_u32_e32 v16, s26, v72
	;; [unrolled: 1-line block ×5, first 2 shown]
	v_lshl_add_u64 v[12:13], v[12:13], 2, s[0:1]
	v_ashrrev_i32_e32 v15, 31, v14
	v_ashrrev_i32_e32 v17, 31, v16
	;; [unrolled: 1-line block ×5, first 2 shown]
	v_lshl_add_u64 v[14:15], v[14:15], 2, s[0:1]
	v_lshl_add_u64 v[16:17], v[16:17], 2, s[0:1]
	;; [unrolled: 1-line block ×5, first 2 shown]
	global_load_dword v76, v[12:13], off
	global_load_dword v77, v[14:15], off
	global_load_dword v78, v[16:17], off
	global_load_dword v79, v[18:19], off
	global_load_dword v80, v[20:21], off
	global_load_dword v81, v[22:23], off
	ds_read_b64 v[18:19], v74 offset:128
	ds_read_b64 v[16:17], v74 offset:160
	ds_read_b64 v[14:15], v74 offset:192
	ds_read_b64 v[12:13], v74 offset:224
	s_waitcnt vmcnt(47)
	ds_write_b32 v73, v28
	s_waitcnt vmcnt(46)
	ds_write_b32 v73, v29 offset:264
	s_waitcnt vmcnt(45)
	ds_write_b32 v73, v0 offset:528
	s_waitcnt vmcnt(44)
	ds_write_b32 v73, v30 offset:792
	s_waitcnt vmcnt(43)
	ds_write_b32 v73, v31 offset:1056
	s_waitcnt vmcnt(42)
	ds_write_b32 v73, v32 offset:1320
	s_waitcnt vmcnt(41)
	ds_write_b32 v73, v33 offset:1584
	s_waitcnt vmcnt(40)
	ds_write_b32 v73, v34 offset:1848
	s_waitcnt vmcnt(39)
	ds_write_b32 v73, v35 offset:2112
	s_waitcnt vmcnt(38)
	ds_write_b32 v73, v36 offset:2376
	s_waitcnt vmcnt(37)
	ds_write_b32 v73, v37 offset:2640
	s_waitcnt vmcnt(36)
	ds_write_b32 v73, v38 offset:2904
	s_waitcnt vmcnt(35)
	ds_write_b32 v73, v39 offset:3168
	s_waitcnt vmcnt(34)
	ds_write_b32 v73, v40 offset:3432
	s_waitcnt vmcnt(33)
	ds_write_b32 v73, v41 offset:3696
	s_waitcnt vmcnt(32)
	ds_write_b32 v73, v42 offset:3960
	ds_read_b64 v[36:37], v74
	ds_read_b64 v[34:35], v74 offset:32
	ds_read_b64 v[30:31], v74 offset:64
	ds_read_b64 v[28:29], v74 offset:96
	ds_read_b64 v[26:27], v74 offset:128
	ds_read_b64 v[24:25], v74 offset:160
	ds_read_b64 v[22:23], v74 offset:192
	ds_read_b64 v[20:21], v74 offset:224
	s_waitcnt vmcnt(31)
	ds_write_b32 v73, v43
	s_waitcnt vmcnt(30)
	ds_write_b32 v73, v44 offset:264
	s_waitcnt vmcnt(29)
	ds_write_b32 v73, v45 offset:528
	s_waitcnt vmcnt(28)
	ds_write_b32 v73, v46 offset:792
	s_waitcnt vmcnt(27)
	ds_write_b32 v73, v47 offset:1056
	s_waitcnt vmcnt(26)
	ds_write_b32 v73, v48 offset:1320
	s_waitcnt vmcnt(25)
	ds_write_b32 v73, v49 offset:1584
	s_waitcnt vmcnt(24)
	ds_write_b32 v73, v50 offset:1848
	s_waitcnt vmcnt(23)
	ds_write_b32 v73, v51 offset:2112
	s_waitcnt vmcnt(22)
	ds_write_b32 v73, v52 offset:2376
	s_waitcnt vmcnt(21)
	ds_write_b32 v73, v53 offset:2640
	s_waitcnt vmcnt(20)
	ds_write_b32 v73, v54 offset:2904
	s_waitcnt vmcnt(19)
	ds_write_b32 v73, v55 offset:3168
	s_waitcnt vmcnt(18)
	ds_write_b32 v73, v56 offset:3432
	s_waitcnt vmcnt(17)
	ds_write_b32 v73, v57 offset:3696
	s_waitcnt vmcnt(16)
	ds_write_b32 v73, v58 offset:3960
	ds_read_b64 v[50:51], v74
	ds_read_b64 v[48:49], v74 offset:32
	ds_read_b64 v[46:47], v74 offset:64
	ds_read_b64 v[44:45], v74 offset:96
	ds_read_b64 v[42:43], v74 offset:128
	ds_read_b64 v[40:41], v74 offset:160
	ds_read_b64 v[38:39], v74 offset:192
	ds_read_b64 v[32:33], v74 offset:224
	s_waitcnt vmcnt(15)
	ds_write_b32 v73, v59
	s_waitcnt vmcnt(14)
	ds_write_b32 v73, v60 offset:264
	s_waitcnt vmcnt(13)
	ds_write_b32 v73, v61 offset:528
	s_waitcnt vmcnt(12)
	ds_write_b32 v73, v62 offset:792
	s_waitcnt vmcnt(11)
	ds_write_b32 v73, v63 offset:1056
	s_waitcnt vmcnt(10)
	ds_write_b32 v73, v64 offset:1320
	s_waitcnt vmcnt(9)
	ds_write_b32 v73, v65 offset:1584
	s_waitcnt vmcnt(8)
	ds_write_b32 v73, v66 offset:1848
	s_waitcnt vmcnt(7)
	ds_write_b32 v73, v67 offset:2112
	s_waitcnt vmcnt(6)
	ds_write_b32 v73, v75 offset:2376
	s_waitcnt vmcnt(5)
	ds_write_b32 v73, v76 offset:2640
	s_waitcnt vmcnt(4)
	ds_write_b32 v73, v77 offset:2904
	s_waitcnt vmcnt(3)
	ds_write_b32 v73, v78 offset:3168
	s_waitcnt vmcnt(2)
	ds_write_b32 v73, v79 offset:3432
	s_waitcnt vmcnt(1)
	ds_write_b32 v73, v80 offset:3696
	s_waitcnt vmcnt(0)
	ds_write_b32 v73, v81 offset:3960
	ds_read_b64 v[66:67], v74
	ds_read_b64 v[64:65], v74 offset:32
	ds_read_b64 v[60:61], v74 offset:64
	ds_read_b64 v[56:57], v74 offset:96
	ds_read_b64 v[62:63], v74 offset:128
	ds_read_b64 v[58:59], v74 offset:160
	;; [unrolled: 1-line block ×4, first 2 shown]
	v_mov_b32_e32 v75, 0
	v_mov_b32_e32 v0, 0
	s_cbranch_vccnz .LBB105_9
; %bb.7:                                ;   in Loop: Header=BB105_6 Depth=1
	s_load_dword vcc_lo, s[36:37], 0x0
	v_mov_b32_e32 v0, 0
	v_mov_b32_e32 v75, 0
	s_waitcnt lgkmcnt(0)
	s_mul_hi_u32 vcc_hi, vcc_lo, s16
	s_add_i32 vcc_hi, vcc_lo, vcc_hi
	s_lshr_b32 s11, vcc_hi, s17
	s_cmp_ge_i32 s11, s13
	s_cbranch_scc1 .LBB105_9
; %bb.8:                                ;   in Loop: Header=BB105_6 Depth=1
	s_mul_i32 vcc_hi, s11, s18
	s_sub_i32 vcc_lo, vcc_lo, vcc_hi
	s_mul_i32 s11, s11, s20
	s_mul_i32 vcc_lo, vcc_lo, s9
	v_add_u32_e32 v0, s11, v72
	v_lshl_add_u32 v76, v0, 1, vcc_lo
	v_ashrrev_i32_e32 v77, 31, v76
	v_lshl_add_u64 v[76:77], v[76:77], 2, s[6:7]
	global_load_dwordx2 v[76:77], v[76:77], off
	s_waitcnt vmcnt(0)
	v_cvt_f16_f32_e32 v75, v76
	v_cvt_f16_f32_e32 v0, v77
.LBB105_9:                              ;   in Loop: Header=BB105_6 Depth=1
	v_mov_b32_e32 v76, 0
	s_andn2_b64 vcc, exec, s[38:39]
	v_mov_b32_e32 v78, 0
	v_mov_b32_e32 v77, 0
	s_cbranch_vccnz .LBB105_12
; %bb.10:                               ;   in Loop: Header=BB105_6 Depth=1
	s_load_dword vcc_lo, s[36:37], 0x4
	v_mov_b32_e32 v77, 0
	v_mov_b32_e32 v78, 0
	s_waitcnt lgkmcnt(0)
	s_mul_hi_u32 s11, vcc_lo, s16
	s_add_i32 s11, vcc_lo, s11
	s_lshr_b32 vcc_hi, s11, s17
	s_cmp_ge_i32 vcc_hi, s13
	s_cbranch_scc1 .LBB105_12
; %bb.11:                               ;   in Loop: Header=BB105_6 Depth=1
	s_mul_i32 s11, vcc_hi, s18
	s_sub_i32 s11, vcc_lo, s11
	s_mul_i32 vcc_hi, vcc_hi, s20
	s_mul_i32 s11, s11, s9
	v_add_u32_e32 v77, vcc_hi, v72
	v_lshl_add_u32 v78, v77, 1, s11
	v_ashrrev_i32_e32 v79, 31, v78
	v_lshl_add_u64 v[78:79], v[78:79], 2, s[6:7]
	global_load_dwordx2 v[78:79], v[78:79], off
	s_waitcnt vmcnt(0)
	v_cvt_f16_f32_e32 v78, v78
	v_cvt_f16_f32_e32 v77, v79
.LBB105_12:                             ;   in Loop: Header=BB105_6 Depth=1
	s_andn2_b64 vcc, exec, s[40:41]
	v_mov_b32_e32 v79, 0
	s_cbranch_vccnz .LBB105_5
; %bb.13:                               ;   in Loop: Header=BB105_6 Depth=1
	s_load_dword vcc_lo, s[36:37], 0x8
	v_mov_b32_e32 v79, 0
	v_mov_b32_e32 v76, 0
	s_waitcnt lgkmcnt(0)
	s_mul_hi_u32 s11, vcc_lo, s16
	s_add_i32 s11, vcc_lo, s11
	s_lshr_b32 vcc_hi, s11, s17
	s_cmp_ge_i32 vcc_hi, s13
	s_cbranch_scc1 .LBB105_5
; %bb.14:                               ;   in Loop: Header=BB105_6 Depth=1
	s_mul_i32 s11, vcc_hi, s18
	s_sub_i32 s11, vcc_lo, s11
	s_mul_i32 vcc_hi, vcc_hi, s20
	s_mul_i32 s11, s11, s9
	v_add_u32_e32 v76, vcc_hi, v72
	v_lshl_add_u32 v80, v76, 1, s11
	v_ashrrev_i32_e32 v81, 31, v80
	v_lshl_add_u64 v[80:81], v[80:81], 2, s[6:7]
	global_load_dwordx2 v[80:81], v[80:81], off
	s_waitcnt vmcnt(0)
	v_cvt_f16_f32_e32 v76, v80
	v_cvt_f16_f32_e32 v79, v81
	s_branch .LBB105_5
.LBB105_15:
	s_or_b64 exec, exec, s[4:5]
	v_readlane_b32 s26, v82, 2
	v_readlane_b32 s27, v82, 3
	v_readlane_b32 s11, v82, 4
.LBB105_16:
	s_or_b64 exec, exec, s[30:31]
	v_lshl_add_u32 v0, v70, 2, 0
	v_mul_u32_u24_e32 v1, 0x308, v71
	v_and_b32_e32 v2, 0x3f0, v68
	v_add3_u32 v0, v0, v1, v2
	v_accvgpr_read_b32 v1, a5
	v_accvgpr_read_b32 v2, a4
	s_barrier
	ds_write2_b32 v0, v2, v1 offset1:1
	v_accvgpr_read_b32 v1, a7
	v_accvgpr_read_b32 v2, a6
	ds_write2_b32 v0, v2, v1 offset0:2 offset1:3
	v_accvgpr_read_b32 v1, a1
	v_accvgpr_read_b32 v2, a0
	ds_write2_b32 v0, v2, v1 offset0:16 offset1:17
	;; [unrolled: 3-line block ×7, first 2 shown]
	s_cmp_gt_i32 s14, 0
	v_add_u32_e32 v0, s2, v69
	s_cselect_b64 s[4:5], -1, 0
	v_cmp_gt_i32_e64 s[0:1], s33, v0
	v_cmp_gt_u32_e32 vcc, 3, v69
	s_and_b64 s[0:1], s[4:5], s[0:1]
	s_and_b64 s[0:1], vcc, s[0:1]
	s_waitcnt lgkmcnt(0)
	s_barrier
	s_and_saveexec_b64 s[2:3], s[0:1]
	s_cbranch_execz .LBB105_19
; %bb.17:
	s_lshl_b64 s[0:1], s[24:25], 2
	s_add_u32 s0, s28, s0
	s_addc_u32 s1, s29, s1
	v_ashrrev_i32_e32 v1, 31, v0
	v_lshl_add_u64 v[0:1], v[0:1], 2, s[0:1]
	global_load_dword v0, v[0:1], off
	s_waitcnt vmcnt(0)
	v_mul_hi_u32 v1, v0, s19
	v_add_u32_e32 v1, v0, v1
	v_lshrrev_b32_e32 v1, s26, v1
	v_cmp_gt_i32_e32 vcc, s13, v1
	s_and_b64 exec, exec, vcc
	s_cbranch_execz .LBB105_19
; %bb.18:
	v_lshlrev_b32_e32 v2, 2, v68
	v_mul_u32_u24_e32 v3, 0x308, v69
	v_add3_u32 v4, 0, v2, v3
	ds_read2st64_b32 v[2:3], v4 offset1:1
	ds_read_b32 v4, v4 offset:512
	v_mul_lo_u32 v6, v1, s27
	v_sub_u32_e32 v0, v0, v6
	v_add_u32_e32 v5, s11, v68
	s_waitcnt lgkmcnt(1)
	v_add_f32_e32 v2, 0, v2
	v_mul_lo_u32 v0, v0, s10
	v_mul_lo_u32 v1, v1, s21
	v_readlane_b32 s0, v82, 0
	v_add_f32_e32 v2, v2, v3
	v_add3_u32 v0, v5, v1, v0
	v_mov_b32_e32 v1, 0
	v_readlane_b32 s1, v82, 1
	s_waitcnt lgkmcnt(0)
	v_add_f32_e32 v2, v2, v4
	v_lshl_add_u64 v[0:1], v[0:1], 2, s[0:1]
	global_store_dword v[0:1], v2, off
.LBB105_19:
	s_endpgm
	.section	.rodata,"a",@progbits
	.p2align	6, 0x0
	.amdhsa_kernel _ZL13mul_mat_f_idsI7__half2Li64ELi3ELi3EEvPKT_PKfPKiS7_S7_Pfiiiiiiiiiiiiii15HIP_vector_typeIjLj3EESA_
		.amdhsa_group_segment_fixed_size 0
		.amdhsa_private_segment_fixed_size 0
		.amdhsa_kernarg_size 128
		.amdhsa_user_sgpr_count 2
		.amdhsa_user_sgpr_dispatch_ptr 0
		.amdhsa_user_sgpr_queue_ptr 0
		.amdhsa_user_sgpr_kernarg_segment_ptr 1
		.amdhsa_user_sgpr_dispatch_id 0
		.amdhsa_user_sgpr_kernarg_preload_length 0
		.amdhsa_user_sgpr_kernarg_preload_offset 0
		.amdhsa_user_sgpr_private_segment_size 0
		.amdhsa_uses_dynamic_stack 0
		.amdhsa_enable_private_segment 0
		.amdhsa_system_sgpr_workgroup_id_x 1
		.amdhsa_system_sgpr_workgroup_id_y 1
		.amdhsa_system_sgpr_workgroup_id_z 1
		.amdhsa_system_sgpr_workgroup_info 0
		.amdhsa_system_vgpr_workitem_id 1
		.amdhsa_next_free_vgpr 100
		.amdhsa_next_free_sgpr 100
		.amdhsa_accum_offset 84
		.amdhsa_reserve_vcc 1
		.amdhsa_float_round_mode_32 0
		.amdhsa_float_round_mode_16_64 0
		.amdhsa_float_denorm_mode_32 3
		.amdhsa_float_denorm_mode_16_64 3
		.amdhsa_dx10_clamp 1
		.amdhsa_ieee_mode 1
		.amdhsa_fp16_overflow 0
		.amdhsa_tg_split 0
		.amdhsa_exception_fp_ieee_invalid_op 0
		.amdhsa_exception_fp_denorm_src 0
		.amdhsa_exception_fp_ieee_div_zero 0
		.amdhsa_exception_fp_ieee_overflow 0
		.amdhsa_exception_fp_ieee_underflow 0
		.amdhsa_exception_fp_ieee_inexact 0
		.amdhsa_exception_int_div_zero 0
	.end_amdhsa_kernel
	.section	.text._ZL13mul_mat_f_idsI7__half2Li64ELi3ELi3EEvPKT_PKfPKiS7_S7_Pfiiiiiiiiiiiiii15HIP_vector_typeIjLj3EESA_,"axG",@progbits,_ZL13mul_mat_f_idsI7__half2Li64ELi3ELi3EEvPKT_PKfPKiS7_S7_Pfiiiiiiiiiiiiii15HIP_vector_typeIjLj3EESA_,comdat
.Lfunc_end105:
	.size	_ZL13mul_mat_f_idsI7__half2Li64ELi3ELi3EEvPKT_PKfPKiS7_S7_Pfiiiiiiiiiiiiii15HIP_vector_typeIjLj3EESA_, .Lfunc_end105-_ZL13mul_mat_f_idsI7__half2Li64ELi3ELi3EEvPKT_PKfPKiS7_S7_Pfiiiiiiiiiiiiii15HIP_vector_typeIjLj3EESA_
                                        ; -- End function
	.set _ZL13mul_mat_f_idsI7__half2Li64ELi3ELi3EEvPKT_PKfPKiS7_S7_Pfiiiiiiiiiiiiii15HIP_vector_typeIjLj3EESA_.num_vgpr, 83
	.set _ZL13mul_mat_f_idsI7__half2Li64ELi3ELi3EEvPKT_PKfPKiS7_S7_Pfiiiiiiiiiiiiii15HIP_vector_typeIjLj3EESA_.num_agpr, 16
	.set _ZL13mul_mat_f_idsI7__half2Li64ELi3ELi3EEvPKT_PKfPKiS7_S7_Pfiiiiiiiiiiiiii15HIP_vector_typeIjLj3EESA_.numbered_sgpr, 100
	.set _ZL13mul_mat_f_idsI7__half2Li64ELi3ELi3EEvPKT_PKfPKiS7_S7_Pfiiiiiiiiiiiiii15HIP_vector_typeIjLj3EESA_.num_named_barrier, 0
	.set _ZL13mul_mat_f_idsI7__half2Li64ELi3ELi3EEvPKT_PKfPKiS7_S7_Pfiiiiiiiiiiiiii15HIP_vector_typeIjLj3EESA_.private_seg_size, 0
	.set _ZL13mul_mat_f_idsI7__half2Li64ELi3ELi3EEvPKT_PKfPKiS7_S7_Pfiiiiiiiiiiiiii15HIP_vector_typeIjLj3EESA_.uses_vcc, 1
	.set _ZL13mul_mat_f_idsI7__half2Li64ELi3ELi3EEvPKT_PKfPKiS7_S7_Pfiiiiiiiiiiiiii15HIP_vector_typeIjLj3EESA_.uses_flat_scratch, 0
	.set _ZL13mul_mat_f_idsI7__half2Li64ELi3ELi3EEvPKT_PKfPKiS7_S7_Pfiiiiiiiiiiiiii15HIP_vector_typeIjLj3EESA_.has_dyn_sized_stack, 0
	.set _ZL13mul_mat_f_idsI7__half2Li64ELi3ELi3EEvPKT_PKfPKiS7_S7_Pfiiiiiiiiiiiiii15HIP_vector_typeIjLj3EESA_.has_recursion, 0
	.set _ZL13mul_mat_f_idsI7__half2Li64ELi3ELi3EEvPKT_PKfPKiS7_S7_Pfiiiiiiiiiiiiii15HIP_vector_typeIjLj3EESA_.has_indirect_call, 0
	.section	.AMDGPU.csdata,"",@progbits
; Kernel info:
; codeLenInByte = 4864
; TotalNumSgprs: 106
; NumVgprs: 83
; NumAgprs: 16
; TotalNumVgprs: 100
; ScratchSize: 0
; MemoryBound: 0
; FloatMode: 240
; IeeeMode: 1
; LDSByteSize: 0 bytes/workgroup (compile time only)
; SGPRBlocks: 13
; VGPRBlocks: 12
; NumSGPRsForWavesPerEU: 106
; NumVGPRsForWavesPerEU: 100
; AccumOffset: 84
; Occupancy: 4
; WaveLimiterHint : 1
; COMPUTE_PGM_RSRC2:SCRATCH_EN: 0
; COMPUTE_PGM_RSRC2:USER_SGPR: 2
; COMPUTE_PGM_RSRC2:TRAP_HANDLER: 0
; COMPUTE_PGM_RSRC2:TGID_X_EN: 1
; COMPUTE_PGM_RSRC2:TGID_Y_EN: 1
; COMPUTE_PGM_RSRC2:TGID_Z_EN: 1
; COMPUTE_PGM_RSRC2:TIDIG_COMP_CNT: 1
; COMPUTE_PGM_RSRC3_GFX90A:ACCUM_OFFSET: 20
; COMPUTE_PGM_RSRC3_GFX90A:TG_SPLIT: 0
	.section	.text._ZL9mul_mat_fI7__half2Li64ELi3ELi3ELb1EEvPKT_PKfPKiPfiiiiiiiiiiiiiiii,"axG",@progbits,_ZL9mul_mat_fI7__half2Li64ELi3ELi3ELb1EEvPKT_PKfPKiPfiiiiiiiiiiiiiiii,comdat
	.globl	_ZL9mul_mat_fI7__half2Li64ELi3ELi3ELb1EEvPKT_PKfPKiPfiiiiiiiiiiiiiiii ; -- Begin function _ZL9mul_mat_fI7__half2Li64ELi3ELi3ELb1EEvPKT_PKfPKiPfiiiiiiiiiiiiiiii
	.p2align	8
	.type	_ZL9mul_mat_fI7__half2Li64ELi3ELi3ELb1EEvPKT_PKfPKiPfiiiiiiiiiiiiiiii,@function
_ZL9mul_mat_fI7__half2Li64ELi3ELi3ELb1EEvPKT_PKfPKiPfiiiiiiiiiiiiiiii: ; @_ZL9mul_mat_fI7__half2Li64ELi3ELi3ELb1EEvPKT_PKfPKiPfiiiiiiiiiiiiiiii
; %bb.0:
	s_load_dwordx8 s[12:19], s[0:1], 0x20
	s_waitcnt lgkmcnt(0)
	s_add_i32 s5, s13, 2
	s_mul_hi_i32 s5, s5, 0x55555556
	s_lshr_b32 s6, s5, 31
	s_add_i32 s5, s5, s6
	v_cvt_f32_u32_e32 v1, s5
	s_load_dwordx4 s[20:23], s[0:1], 0x44
	s_load_dword s6, s[0:1], 0x64
	s_add_u32 s30, s0, 0x60
	s_addc_u32 s31, s1, 0
	v_rcp_iflag_f32_e32 v1, v1
	s_sub_i32 s7, 0, s5
	s_waitcnt lgkmcnt(0)
	s_abs_i32 s33, s23
	v_cvt_f32_u32_e32 v5, s33
	v_mul_f32_e32 v1, 0x4f7ffffe, v1
	v_cvt_u32_f32_e32 v1, v1
	v_mul_lo_u32 v2, s7, v1
	v_mul_hi_u32 v2, v1, v2
	v_add_u32_e32 v1, v1, v2
	v_mul_hi_u32 v1, s6, v1
	v_mul_lo_u32 v2, v1, s5
	v_sub_u32_e32 v2, s6, v2
	v_add_u32_e32 v3, 1, v1
	v_subrev_u32_e32 v4, s5, v2
	v_cmp_le_u32_e32 vcc, s5, v2
	s_nop 1
	v_cndmask_b32_e32 v1, v1, v3, vcc
	v_cndmask_b32_e32 v2, v2, v4, vcc
	v_add_u32_e32 v3, 1, v1
	v_cmp_le_u32_e32 vcc, s5, v2
	v_rcp_iflag_f32_e32 v2, v5
	s_sub_i32 s5, 0, s33
	v_cndmask_b32_e32 v4, v1, v3, vcc
	v_cvt_f32_u32_e32 v1, v4
	v_sub_u32_e32 v5, 0, v4
	v_rcp_iflag_f32_e32 v3, v1
	v_mul_f32_e32 v1, 0x4f7ffffe, v2
	v_cvt_u32_f32_e32 v1, v1
	v_mul_f32_e32 v2, 0x4f7ffffe, v3
	v_cvt_u32_f32_e32 v2, v2
	v_mul_lo_u32 v3, s5, v1
	v_mul_hi_u32 v6, v1, v3
	v_bfe_u32 v3, v0, 10, 10
	v_mul_lo_u32 v5, v5, v2
	v_mul_hi_u32 v5, v2, v5
	v_add_u32_e32 v2, v2, v5
	v_mul_hi_u32 v5, s3, v2
	v_and_b32_e32 v2, 0x3ff, v0
	v_cmp_eq_u32_e32 vcc, 0, v2
	s_and_saveexec_b64 s[6:7], vcc
; %bb.1:
	v_mov_b32_e32 v7, 0x100
	v_lshl_add_u32 v7, v3, 2, v7
	v_mov_b32_e32 v8, -1
	ds_write_b32 v7, v8
; %bb.2:
	s_or_b64 exec, exec, s[6:7]
	v_add_u32_e32 v1, v1, v6
	v_mul_lo_u32 v6, v5, v4
	v_sub_u32_e32 v6, s3, v6
	v_add_u32_e32 v7, 1, v5
	v_sub_u32_e32 v8, v6, v4
	v_cmp_ge_u32_e32 vcc, v6, v4
	s_load_dwordx4 s[24:27], s[0:1], 0x54
	s_waitcnt lgkmcnt(0)
	s_abs_i32 s27, s4
	v_cndmask_b32_e32 v5, v5, v7, vcc
	v_cndmask_b32_e32 v6, v6, v8, vcc
	v_add_u32_e32 v7, 1, v5
	v_cmp_ge_u32_e32 vcc, v6, v4
	v_mov_b32_e32 v9, 0
	s_nop 0
	v_cndmask_b32_e32 v5, v5, v7, vcc
	v_mul_lo_u32 v4, v5, v4
	v_mul_lo_u32 v78, v5, 3
	v_sub_u32_e32 v8, s3, v4
	v_add_u32_e32 v4, v3, v78
	v_cmp_gt_i32_e64 s[8:9], s13, v4
	s_and_saveexec_b64 s[10:11], s[8:9]
	s_cbranch_execz .LBB106_10
; %bb.3:
	v_cmp_gt_i32_e32 vcc, s14, v2
	v_mov_b32_e32 v9, 0
	s_and_saveexec_b64 s[28:29], vcc
	s_cbranch_execz .LBB106_9
; %bb.4:
	s_load_dwordx2 s[6:7], s[0:1], 0x10
	v_mul_hi_i32 v5, v78, s19
	v_mul_lo_u32 v4, v78, s19
	v_mul_lo_u32 v6, v3, s19
	v_lshlrev_b64 v[4:5], 2, v[4:5]
	s_waitcnt lgkmcnt(0)
	v_lshl_add_u64 v[4:5], s[6:7], 0, v[4:5]
	v_ashrrev_i32_e32 v7, 31, v6
	v_lshl_add_u64 v[4:5], v[6:7], 2, v[4:5]
	v_mov_b32_e32 v6, 0x100
	v_lshl_add_u32 v10, v3, 2, v6
	v_mul_lo_u32 v6, v2, s18
	s_lshl_b32 s3, s18, 6
	v_mov_b32_e32 v9, 0
	s_mov_b64 s[18:19], 0
	v_mov_b32_e32 v11, v2
	s_branch .LBB106_6
.LBB106_5:                              ;   in Loop: Header=BB106_6 Depth=1
	s_or_b64 exec, exec, s[34:35]
	v_add_u32_e32 v11, 64, v11
	v_cmp_le_i32_e64 s[6:7], s14, v11
	s_xor_b64 s[34:35], vcc, -1
	s_or_b64 s[6:7], s[34:35], s[6:7]
	s_and_b64 s[6:7], exec, s[6:7]
	s_or_b64 s[18:19], s[6:7], s[18:19]
	v_add_u32_e32 v6, s3, v6
	s_andn2_b64 exec, exec, s[18:19]
	s_cbranch_execz .LBB106_8
.LBB106_6:                              ; =>This Inner Loop Header: Depth=1
	v_ashrrev_i32_e32 v7, 31, v6
	v_lshl_add_u64 v[12:13], v[6:7], 2, v[4:5]
	global_load_dword v7, v[12:13], off
	s_waitcnt vmcnt(0)
	v_cmp_ne_u32_e32 vcc, v7, v8
	v_cmp_eq_u32_e64 s[6:7], v7, v8
	s_and_saveexec_b64 s[34:35], s[6:7]
	s_cbranch_execz .LBB106_5
; %bb.7:                                ;   in Loop: Header=BB106_6 Depth=1
	v_mov_b32_e32 v9, 1
	ds_write_b32 v10, v11
	s_branch .LBB106_5
.LBB106_8:
	s_or_b64 exec, exec, s[18:19]
.LBB106_9:
	s_or_b64 exec, exec, s[28:29]
.LBB106_10:
	s_or_b64 exec, exec, s[10:11]
	s_load_dwordx2 s[18:19], s[30:31], 0xc
	s_load_dwordx2 s[28:29], s[0:1], 0x8
	;; [unrolled: 1-line block ×3, first 2 shown]
	v_mul_hi_u32 v4, s27, v1
	v_or_b32_dpp v1, v9, v9 row_shl:1 row_mask:0xf bank_mask:0xf bound_ctrl:1
	s_waitcnt lgkmcnt(0)
	s_lshr_b32 s6, s18, 16
	s_and_b32 s5, s18, 0xffff
	v_or_b32_dpp v1, v1, v1 row_shl:2 row_mask:0xf bank_mask:0xf bound_ctrl:1
	s_mul_i32 s7, s6, s5
	s_and_b32 s3, s19, 0xffff
	v_or_b32_dpp v1, v1, v1 row_shl:4 row_mask:0xf bank_mask:0xf bound_ctrl:1
	s_bfe_i32 s7, s7, 0x180000
	s_mul_i32 s3, s7, s3
	v_or_b32_dpp v1, v1, v1 row_shl:8 row_mask:0xf bank_mask:0xf bound_ctrl:1
	s_add_i32 s7, s3, 63
	s_bitcmp1_b32 exec_hi, 0
	v_mov_b32_dpp v5, v1 wave_shl:1 row_mask:0xf bank_mask:0xf bound_ctrl:1
	s_nop 1
	v_or_b32_dpp v1, v5, v1 row_mirror row_mask:0xf bank_mask:0xf bound_ctrl:1
	s_nop 0
	v_readlane_b32 s3, v1, 32
	s_cselect_b32 s3, s3, 0
	v_readlane_b32 s14, v1, 0
	s_or_b32 s3, s3, s14
	s_andn2_b32 s7, s7, 63
	s_cmp_lg_u32 s7, 64
	v_mov_b32_e32 v1, s3
	s_cbranch_scc0 .LBB106_17
; %bb.11:
	v_bfe_u32 v0, v0, 20, 10
	v_mbcnt_lo_u32_b32 v1, -1, 0
	v_mad_u32_u24 v0, v0, s6, v3
	v_mbcnt_hi_u32_b32 v5, -1, v1
	v_mad_u64_u32 v[0:1], s[6:7], v0, s5, v[2:3]
	v_lshrrev_b32_e32 v1, 6, v0
	v_or_b32_e32 v1, v5, v1
	v_cmp_eq_u32_e32 vcc, 0, v1
	s_and_saveexec_b64 s[6:7], vcc
; %bb.12:
	v_mov_b32_e32 v1, 0
	v_mov_b32_e32 v6, s3
	ds_write_b32 v1, v6
; %bb.13:
	s_or_b64 exec, exec, s[6:7]
	v_cmp_eq_u32_e32 vcc, 0, v5
	v_cmp_lt_u32_e64 s[6:7], 63, v0
	s_and_b64 s[18:19], s[6:7], vcc
	s_waitcnt lgkmcnt(0)
	s_barrier
	s_and_saveexec_b64 s[6:7], s[18:19]
	s_cbranch_execz .LBB106_16
; %bb.14:
	v_mbcnt_lo_u32_b32 v0, exec_lo, 0
	v_mbcnt_hi_u32_b32 v0, exec_hi, v0
	v_cmp_eq_u32_e32 vcc, 0, v0
	s_and_b64 exec, exec, vcc
; %bb.15:
	v_mov_b32_e32 v0, 0
	v_mov_b32_e32 v1, s3
	ds_or_b32 v0, v1
.LBB106_16:
	s_or_b64 exec, exec, s[6:7]
	v_mov_b32_e32 v0, 0
	s_waitcnt lgkmcnt(0)
	s_barrier
	ds_read_b32 v1, v0
	s_waitcnt lgkmcnt(0)
	s_barrier
.LBB106_17:
	s_load_dwordx2 s[0:1], s[0:1], 0x0
	v_cmp_ne_u32_e32 vcc, 0, v1
	s_ashr_i32 s3, s4, 31
	s_ashr_i32 s14, s23, 31
	s_cbranch_vccz .LBB106_40
; %bb.18:
	v_lshlrev_b32_e32 v79, 6, v3
	v_add_u32_e32 v81, v79, v2
	v_cmp_le_i32_e32 vcc, s12, v81
	v_and_b32_e32 v80, 15, v2
	s_and_saveexec_b64 s[6:7], vcc
	s_xor_b64 s[6:7], exec, s[6:7]
; %bb.19:
	v_and_b32_e32 v80, 15, v2
                                        ; implicit-def: $vgpr81
                                        ; implicit-def: $vgpr4
                                        ; implicit-def: $vgpr8
; %bb.20:
	s_or_saveexec_b64 s[18:19], s[6:7]
	s_lshl_b32 s5, s2, 6
	v_mov_b32_e32 v1, 0
	v_accvgpr_write_b32 a0, 0
	v_accvgpr_write_b32 a1, 0
	;; [unrolled: 1-line block ×16, first 2 shown]
	s_xor_b64 exec, exec, s[18:19]
	s_cbranch_execz .LBB106_36
; %bb.21:
	v_mul_lo_u32 v0, v4, s33
	v_sub_u32_e32 v0, s27, v0
	v_add_u32_e32 v5, 1, v4
	v_subrev_u32_e32 v6, s33, v0
	v_cmp_le_u32_e32 vcc, s33, v0
	s_xor_b32 s2, s3, s14
	s_movk_i32 s6, 0x1080
	v_cndmask_b32_e32 v4, v4, v5, vcc
	v_cndmask_b32_e32 v0, v0, v6, vcc
	v_add_u32_e32 v5, 1, v4
	v_cmp_le_u32_e32 vcc, s33, v0
	v_mov_b32_e32 v82, 0x100
	v_mul_lo_u32 v6, v8, s20
	v_cndmask_b32_e32 v0, v4, v5, vcc
	v_xor_b32_e32 v0, s2, v0
	v_subrev_u32_e32 v0, s2, v0
	s_mul_i32 s2, s15, s5
	v_mul_hi_i32 v5, v0, s24
	v_mul_lo_u32 v4, v0, s24
	s_ashr_i32 s3, s2, 31
	v_mad_u32_u24 v0, v3, s6, v82
	s_mul_hi_i32 s7, s25, s4
	s_mul_i32 s6, s25, s4
	v_ashrrev_i32_e32 v7, 31, v6
	v_lshlrev_b64 v[8:9], 2, v[4:5]
	s_lshl_b64 s[2:3], s[2:3], 2
	s_lshl_b64 s[6:7], s[6:7], 2
	v_lshrrev_b32_e32 v13, 1, v2
	s_waitcnt lgkmcnt(0)
	v_lshl_add_u64 v[4:5], s[0:1], 0, v[8:9]
	v_lshlrev_b64 v[10:11], 2, v[6:7]
	v_mul_hi_i32 v7, s16, v78
	v_mul_lo_u32 v6, s16, v78
	s_add_u32 s6, s28, s6
	v_mul_u32_u24_e32 v12, 0x108, v80
	v_and_b32_e32 v13, 0x1f8, v13
	v_lshl_add_u64 v[8:9], v[8:9], 0, s[2:3]
	v_lshlrev_b64 v[6:7], 3, v[6:7]
	s_addc_u32 s7, s29, s7
	v_lshl_add_u32 v83, v2, 2, v0
	v_add3_u32 v84, v0, v12, v13
	v_lshl_add_u64 v[8:9], v[8:9], 0, v[10:11]
	v_lshlrev_b32_e32 v0, 1, v2
	v_lshl_add_u64 v[4:5], v[4:5], 0, v[10:11]
	v_lshl_add_u64 v[6:7], s[6:7], 0, v[6:7]
	v_add_u32_e32 v12, 1, v78
	v_add_u32_e32 v13, 2, v78
	s_ashr_i32 s7, s15, 31
	s_mov_b32 s6, s15
	v_lshl_add_u64 v[8:9], s[0:1], 0, v[8:9]
	v_lshl_add_u32 v85, v3, 7, v0
	v_lshlrev_b32_e32 v0, 2, v81
	v_lshl_add_u64 v[4:5], v[4:5], 0, s[2:3]
	s_lshl_b32 s20, s16, 2
	s_add_i32 s23, s15, s15
	s_mul_i32 s27, s15, 3
	s_lshl_b32 s30, s15, 2
	s_mul_i32 s31, s15, 5
	s_mul_i32 s33, s15, 6
	;; [unrolled: 1-line block ×3, first 2 shown]
	s_lshl_b32 s35, s15, 3
	s_mul_i32 s36, s15, 9
	s_mul_i32 s37, s15, 10
	;; [unrolled: 1-line block ×7, first 2 shown]
	s_lshl_b32 s43, s15, 4
	s_mul_i32 s44, s15, 17
	s_mul_i32 s45, s15, 18
	;; [unrolled: 1-line block ×15, first 2 shown]
	s_lshl_b32 s59, s15, 5
	s_mul_i32 s60, s15, 33
	s_mul_i32 s61, s15, 34
	s_mul_i32 s62, s15, 35
	s_mul_i32 s63, s15, 36
	s_mul_i32 s64, s15, 37
	s_mul_i32 s65, s15, 38
	s_mul_i32 s66, s15, 39
	s_mul_i32 s67, s15, 40
	s_mul_i32 s68, s15, 41
	s_mul_i32 s69, s15, 42
	s_mul_i32 s70, s15, 43
	s_mul_i32 s71, s15, 44
	s_mul_i32 s72, s15, 45
	s_mul_i32 s73, s15, 46
	s_mul_i32 s74, s15, 47
	s_mul_i32 s75, s15, 48
	s_mul_i32 s76, s15, 49
	s_mul_i32 s77, s15, 50
	s_mul_i32 s78, s15, 51
	s_mul_i32 s79, s15, 52
	s_mul_i32 s80, s15, 53
	s_mul_i32 s81, s15, 54
	v_cmp_gt_i32_e64 s[2:3], s13, v78
	s_mul_i32 s82, s15, 55
	s_mul_i32 s83, s15, 56
	s_lshl_b64 s[24:25], s[6:7], 2
	v_accvgpr_write_b32 a15, 0
	v_accvgpr_write_b32 a14, 0
	;; [unrolled: 1-line block ×16, first 2 shown]
	v_lshl_add_u64 v[8:9], v[8:9], 0, v[0:1]
	s_mul_i32 s84, s15, 57
	s_mul_i32 s85, s15, 58
	;; [unrolled: 1-line block ×7, first 2 shown]
	s_lshl_b32 s16, s16, 1
	v_cmp_gt_i32_e64 s[0:1], s13, v12
	v_cmp_gt_i32_e64 s[6:7], s13, v13
	s_mov_b64 s[14:15], 0
	s_mov_b64 s[28:29], 0x300
	s_branch .LBB106_24
.LBB106_22:                             ;   in Loop: Header=BB106_24 Depth=1
	v_mul_lo_u32 v0, v0, s21
	v_add_u32_e32 v0, s20, v0
	v_add_u32_e32 v74, v0, v85
	v_ashrrev_i32_e32 v75, 31, v74
	v_lshl_add_u64 v[74:75], v[74:75], 2, v[6:7]
	global_load_dwordx2 v[74:75], v[74:75], off
.LBB106_23:                             ;   in Loop: Header=BB106_24 Depth=1
	s_waitcnt vmcnt(0)
	v_cvt_pk_f16_f32 v0, v74, v75
	ds_write2_b32 v83, v0, v1 offset0:148 offset1:214
	v_add_u32_e32 v0, 0x400, v83
	ds_write2_b32 v0, v1, v1 offset0:24 offset1:90
	ds_write2_b32 v0, v1, v1 offset0:156 offset1:222
	v_add_u32_e32 v0, 0x800, v83
	ds_write2_b32 v0, v1, v1 offset0:32 offset1:98
	;; [unrolled: 3-line block ×3, first 2 shown]
	ds_write2_b32 v0, v1, v1 offset0:172 offset1:238
	ds_read2_b64 v[74:77], v84 offset0:8 offset1:12
	v_add_u32_e32 v81, 0xc0, v81
	s_waitcnt lgkmcnt(0)
	v_mfma_f32_16x16x16_f16 a[8:11], v[42:43], v[74:75], a[8:11]
	v_cmp_le_i32_e32 vcc, s12, v81
	v_add_u32_e32 v85, 0x180, v85
	v_lshl_add_u64 v[8:9], v[8:9], 0, s[28:29]
	v_mfma_f32_16x16x16_f16 a[12:15], v[28:29], v[74:75], a[12:15]
	s_or_b64 s[14:15], vcc, s[14:15]
	v_mfma_f32_16x16x16_f16 a[4:7], v[56:57], v[74:75], a[4:7]
	v_mfma_f32_16x16x16_f16 a[0:3], v[72:73], v[74:75], a[0:3]
	v_mfma_f32_16x16x16_f16 a[8:11], v[40:41], v[76:77], a[8:11]
	ds_read2_b64 v[40:43], v84 offset0:16 offset1:20
	v_mfma_f32_16x16x16_f16 a[12:15], v[22:23], v[76:77], a[12:15]
	v_mfma_f32_16x16x16_f16 a[4:7], v[54:55], v[76:77], a[4:7]
	v_mfma_f32_16x16x16_f16 a[0:3], v[70:71], v[76:77], a[0:3]
	s_waitcnt lgkmcnt(0)
	v_mfma_f32_16x16x16_f16 a[12:15], v[20:21], v[40:41], a[12:15]
	v_mfma_f32_16x16x16_f16 a[8:11], v[36:37], v[40:41], a[8:11]
	v_mfma_f32_16x16x16_f16 a[4:7], v[52:53], v[40:41], a[4:7]
	v_mfma_f32_16x16x16_f16 a[0:3], v[68:69], v[40:41], a[0:3]
	v_mfma_f32_16x16x16_f16 a[12:15], v[18:19], v[42:43], a[12:15]
	ds_read2_b64 v[18:21], v84 offset0:24 offset1:28
	v_mfma_f32_16x16x16_f16 a[8:11], v[34:35], v[42:43], a[8:11]
	v_mfma_f32_16x16x16_f16 a[4:7], v[50:51], v[42:43], a[4:7]
	v_mfma_f32_16x16x16_f16 a[0:3], v[66:67], v[42:43], a[0:3]
	s_waitcnt lgkmcnt(0)
	v_mfma_f32_16x16x16_f16 a[12:15], v[16:17], v[18:19], a[12:15]
	v_mfma_f32_16x16x16_f16 a[8:11], v[32:33], v[18:19], a[8:11]
	;; [unrolled: 10-line block ×3, first 2 shown]
	v_mfma_f32_16x16x16_f16 a[4:7], v[44:45], v[14:15], a[4:7]
	v_mfma_f32_16x16x16_f16 a[0:3], v[60:61], v[14:15], a[0:3]
	v_mfma_f32_16x16x16_f16 a[12:15], v[10:11], v[16:17], a[12:15]
	v_mfma_f32_16x16x16_f16 a[8:11], v[24:25], v[16:17], a[8:11]
	v_mfma_f32_16x16x16_f16 a[4:7], v[38:39], v[16:17], a[4:7]
	v_mfma_f32_16x16x16_f16 a[0:3], v[58:59], v[16:17], a[0:3]
	s_andn2_b64 exec, exec, s[14:15]
	s_cbranch_execz .LBB106_35
.LBB106_24:                             ; =>This Inner Loop Header: Depth=1
	v_lshl_add_u64 v[10:11], v[8:9], 0, s[24:25]
	global_load_dword v0, v[8:9], off
	global_load_dword v26, v[10:11], off
	v_add_u32_e32 v10, s23, v81
	v_add_u32_e32 v14, s30, v81
	;; [unrolled: 1-line block ×5, first 2 shown]
	v_ashrrev_i32_e32 v11, 31, v10
	v_add_u32_e32 v12, s27, v81
	v_ashrrev_i32_e32 v15, 31, v14
	v_ashrrev_i32_e32 v17, 31, v16
	v_ashrrev_i32_e32 v19, 31, v18
	v_add_u32_e32 v20, s34, v81
	v_ashrrev_i32_e32 v23, 31, v22
	v_add_u32_e32 v24, s36, v81
	v_lshl_add_u64 v[10:11], v[10:11], 2, v[4:5]
	v_ashrrev_i32_e32 v13, 31, v12
	v_lshl_add_u64 v[14:15], v[14:15], 2, v[4:5]
	v_lshl_add_u64 v[16:17], v[16:17], 2, v[4:5]
	;; [unrolled: 1-line block ×3, first 2 shown]
	v_ashrrev_i32_e32 v21, 31, v20
	v_lshl_add_u64 v[22:23], v[22:23], 2, v[4:5]
	v_ashrrev_i32_e32 v25, 31, v24
	v_lshl_add_u64 v[12:13], v[12:13], 2, v[4:5]
	v_lshl_add_u64 v[20:21], v[20:21], 2, v[4:5]
	;; [unrolled: 1-line block ×3, first 2 shown]
	global_load_dword v27, v[10:11], off
	global_load_dword v28, v[12:13], off
	;; [unrolled: 1-line block ×6, first 2 shown]
	s_nop 0
	global_load_dword v22, v[22:23], off
	s_nop 0
	global_load_dword v23, v[24:25], off
	v_add_u32_e32 v10, s37, v81
	v_add_u32_e32 v14, s39, v81
	;; [unrolled: 1-line block ×4, first 2 shown]
	v_ashrrev_i32_e32 v11, 31, v10
	v_add_u32_e32 v12, s38, v81
	v_ashrrev_i32_e32 v15, 31, v14
	v_ashrrev_i32_e32 v17, 31, v16
	;; [unrolled: 1-line block ×3, first 2 shown]
	v_add_u32_e32 v20, s42, v81
	v_lshl_add_u64 v[10:11], v[10:11], 2, v[4:5]
	v_ashrrev_i32_e32 v13, 31, v12
	v_lshl_add_u64 v[14:15], v[14:15], 2, v[4:5]
	v_lshl_add_u64 v[16:17], v[16:17], 2, v[4:5]
	;; [unrolled: 1-line block ×3, first 2 shown]
	v_ashrrev_i32_e32 v21, 31, v20
	v_lshl_add_u64 v[12:13], v[12:13], 2, v[4:5]
	v_lshl_add_u64 v[20:21], v[20:21], 2, v[4:5]
	global_load_dword v24, v[10:11], off
	global_load_dword v25, v[12:13], off
	s_nop 0
	global_load_dword v15, v[14:15], off
	s_nop 0
	;; [unrolled: 2-line block ×4, first 2 shown]
	global_load_dword v18, v[20:21], off
	v_add_u32_e32 v10, s43, v81
	v_add_u32_e32 v12, s44, v81
	v_ashrrev_i32_e32 v11, 31, v10
	v_add_u32_e32 v14, s45, v81
	v_ashrrev_i32_e32 v13, 31, v12
	v_lshl_add_u64 v[10:11], v[10:11], 2, v[4:5]
	v_lshl_add_u64 v[12:13], v[12:13], 2, v[4:5]
	global_load_dword v33, v[10:11], off
	global_load_dword v34, v[12:13], off
	v_add_u32_e32 v12, s46, v81
	v_add_u32_e32 v20, s50, v81
	v_ashrrev_i32_e32 v13, 31, v12
	v_ashrrev_i32_e32 v21, 31, v20
	v_lshl_add_u64 v[12:13], v[12:13], 2, v[4:5]
	v_lshl_add_u64 v[20:21], v[20:21], 2, v[4:5]
	s_andn2_b64 vcc, exec, s[2:3]
	v_mov_b32_e32 v76, 0
	v_mov_b32_e32 v77, 0
	s_waitcnt vmcnt(17)
	ds_write_b32 v83, v0 offset:64
	s_waitcnt vmcnt(16)
	ds_write_b32 v83, v26 offset:328
	;; [unrolled: 2-line block ×16, first 2 shown]
	v_ashrrev_i32_e32 v15, 31, v14
	v_lshl_add_u64 v[10:11], v[14:15], 2, v[4:5]
	v_add_u32_e32 v14, s47, v81
	v_add_u32_e32 v16, s48, v81
	;; [unrolled: 1-line block ×5, first 2 shown]
	v_ashrrev_i32_e32 v15, 31, v14
	v_ashrrev_i32_e32 v17, 31, v16
	;; [unrolled: 1-line block ×5, first 2 shown]
	v_lshl_add_u64 v[14:15], v[14:15], 2, v[4:5]
	v_lshl_add_u64 v[16:17], v[16:17], 2, v[4:5]
	v_lshl_add_u64 v[18:19], v[18:19], 2, v[4:5]
	v_lshl_add_u64 v[22:23], v[22:23], 2, v[4:5]
	v_lshl_add_u64 v[24:25], v[24:25], 2, v[4:5]
	global_load_dword v0, v[10:11], off
	global_load_dword v26, v[12:13], off
	global_load_dword v27, v[14:15], off
	global_load_dword v30, v[16:17], off
	global_load_dword v31, v[18:19], off
	global_load_dword v32, v[20:21], off
	global_load_dword v35, v[22:23], off
	global_load_dword v36, v[24:25], off
	v_add_u32_e32 v10, s53, v81
	v_ashrrev_i32_e32 v11, 31, v10
	v_add_u32_e32 v12, s54, v81
	v_add_u32_e32 v14, s55, v81
	v_add_u32_e32 v16, s56, v81
	v_add_u32_e32 v18, s57, v81
	v_add_u32_e32 v20, s58, v81
	v_add_u32_e32 v22, s59, v81
	v_add_u32_e32 v24, s60, v81
	v_lshl_add_u64 v[10:11], v[10:11], 2, v[4:5]
	v_ashrrev_i32_e32 v13, 31, v12
	v_ashrrev_i32_e32 v15, 31, v14
	v_ashrrev_i32_e32 v17, 31, v16
	v_ashrrev_i32_e32 v19, 31, v18
	v_ashrrev_i32_e32 v21, 31, v20
	v_ashrrev_i32_e32 v23, 31, v22
	v_ashrrev_i32_e32 v25, 31, v24
	v_lshl_add_u64 v[12:13], v[12:13], 2, v[4:5]
	v_lshl_add_u64 v[14:15], v[14:15], 2, v[4:5]
	v_lshl_add_u64 v[16:17], v[16:17], 2, v[4:5]
	v_lshl_add_u64 v[18:19], v[18:19], 2, v[4:5]
	v_lshl_add_u64 v[20:21], v[20:21], 2, v[4:5]
	v_lshl_add_u64 v[22:23], v[22:23], 2, v[4:5]
	v_lshl_add_u64 v[24:25], v[24:25], 2, v[4:5]
	global_load_dword v37, v[10:11], off
	global_load_dword v38, v[12:13], off
	global_load_dword v39, v[14:15], off
	global_load_dword v40, v[16:17], off
	global_load_dword v41, v[18:19], off
	global_load_dword v42, v[20:21], off
	global_load_dword v44, v[22:23], off
	global_load_dword v45, v[24:25], off
	v_add_u32_e32 v10, s61, v81
	v_ashrrev_i32_e32 v11, 31, v10
	v_add_u32_e32 v12, s62, v81
	v_add_u32_e32 v14, s63, v81
	v_add_u32_e32 v16, s64, v81
	v_add_u32_e32 v18, s65, v81
	v_add_u32_e32 v20, s66, v81
	v_add_u32_e32 v22, s67, v81
	v_add_u32_e32 v24, s68, v81
	v_lshl_add_u64 v[10:11], v[10:11], 2, v[4:5]
	v_ashrrev_i32_e32 v13, 31, v12
	v_ashrrev_i32_e32 v15, 31, v14
	v_ashrrev_i32_e32 v17, 31, v16
	v_ashrrev_i32_e32 v19, 31, v18
	v_ashrrev_i32_e32 v21, 31, v20
	v_ashrrev_i32_e32 v23, 31, v22
	v_ashrrev_i32_e32 v25, 31, v24
	v_lshl_add_u64 v[12:13], v[12:13], 2, v[4:5]
	v_lshl_add_u64 v[14:15], v[14:15], 2, v[4:5]
	;; [unrolled: 32-line block ×4, first 2 shown]
	v_lshl_add_u64 v[16:17], v[16:17], 2, v[4:5]
	v_lshl_add_u64 v[18:19], v[18:19], 2, v[4:5]
	;; [unrolled: 1-line block ×5, first 2 shown]
	global_load_dword v62, v[10:11], off
	global_load_dword v63, v[12:13], off
	;; [unrolled: 1-line block ×8, first 2 shown]
	v_add_u32_e32 v10, s85, v81
	v_ashrrev_i32_e32 v11, 31, v10
	v_add_u32_e32 v12, s86, v81
	v_lshl_add_u64 v[10:11], v[10:11], 2, v[4:5]
	v_ashrrev_i32_e32 v13, 31, v12
	v_lshl_add_u64 v[12:13], v[12:13], 2, v[4:5]
	global_load_dword v70, v[10:11], off
	global_load_dword v71, v[12:13], off
	v_add_u32_e32 v10, s87, v81
	v_ashrrev_i32_e32 v11, 31, v10
	v_add_u32_e32 v12, s88, v81
	v_add_u32_e32 v14, s89, v81
	v_add_u32_e32 v16, s90, v81
	v_lshl_add_u64 v[10:11], v[10:11], 2, v[4:5]
	v_ashrrev_i32_e32 v13, 31, v12
	v_ashrrev_i32_e32 v15, 31, v14
	;; [unrolled: 1-line block ×3, first 2 shown]
	v_lshl_add_u64 v[12:13], v[12:13], 2, v[4:5]
	v_lshl_add_u64 v[14:15], v[14:15], 2, v[4:5]
	;; [unrolled: 1-line block ×3, first 2 shown]
	global_load_dword v72, v[10:11], off
	global_load_dword v73, v[12:13], off
	;; [unrolled: 1-line block ×4, first 2 shown]
	ds_read_b64 v[28:29], v84 offset:64
	ds_read_b64 v[22:23], v84 offset:96
	ds_read_b64 v[20:21], v84 offset:128
	ds_read_b64 v[18:19], v84 offset:160
	ds_read_b64 v[16:17], v84 offset:192
	ds_read_b64 v[14:15], v84 offset:224
	ds_read_b64 v[12:13], v84 offset:256
	ds_read_b64 v[10:11], v84 offset:288
	s_waitcnt vmcnt(47)
	ds_write_b32 v83, v33 offset:64
	s_waitcnt vmcnt(46)
	ds_write_b32 v83, v34 offset:328
	s_waitcnt vmcnt(45)
	ds_write_b32 v83, v0 offset:592
	s_waitcnt vmcnt(44)
	ds_write_b32 v83, v26 offset:856
	s_waitcnt vmcnt(43)
	ds_write_b32 v83, v27 offset:1120
	s_waitcnt vmcnt(42)
	ds_write_b32 v83, v30 offset:1384
	s_waitcnt vmcnt(41)
	ds_write_b32 v83, v31 offset:1648
	s_waitcnt vmcnt(40)
	ds_write_b32 v83, v32 offset:1912
	s_waitcnt vmcnt(39)
	ds_write_b32 v83, v35 offset:2176
	s_waitcnt vmcnt(38)
	ds_write_b32 v83, v36 offset:2440
	s_waitcnt vmcnt(37)
	ds_write_b32 v83, v37 offset:2704
	s_waitcnt vmcnt(36)
	ds_write_b32 v83, v38 offset:2968
	s_waitcnt vmcnt(35)
	ds_write_b32 v83, v39 offset:3232
	s_waitcnt vmcnt(34)
	ds_write_b32 v83, v40 offset:3496
	s_waitcnt vmcnt(33)
	ds_write_b32 v83, v41 offset:3760
	s_waitcnt vmcnt(32)
	ds_write_b32 v83, v42 offset:4024
	ds_read_b64 v[42:43], v84 offset:64
	ds_read_b64 v[40:41], v84 offset:96
	ds_read_b64 v[36:37], v84 offset:128
	ds_read_b64 v[34:35], v84 offset:160
	ds_read_b64 v[32:33], v84 offset:192
	ds_read_b64 v[30:31], v84 offset:224
	ds_read_b64 v[26:27], v84 offset:256
	ds_read_b64 v[24:25], v84 offset:288
	s_waitcnt vmcnt(31)
	ds_write_b32 v83, v44 offset:64
	s_waitcnt vmcnt(30)
	ds_write_b32 v83, v45 offset:328
	s_waitcnt vmcnt(29)
	ds_write_b32 v83, v46 offset:592
	s_waitcnt vmcnt(28)
	ds_write_b32 v83, v47 offset:856
	s_waitcnt vmcnt(27)
	ds_write_b32 v83, v48 offset:1120
	s_waitcnt vmcnt(26)
	ds_write_b32 v83, v49 offset:1384
	s_waitcnt vmcnt(25)
	ds_write_b32 v83, v50 offset:1648
	s_waitcnt vmcnt(24)
	ds_write_b32 v83, v51 offset:1912
	s_waitcnt vmcnt(23)
	ds_write_b32 v83, v52 offset:2176
	s_waitcnt vmcnt(22)
	ds_write_b32 v83, v53 offset:2440
	s_waitcnt vmcnt(21)
	ds_write_b32 v83, v54 offset:2704
	s_waitcnt vmcnt(20)
	ds_write_b32 v83, v55 offset:2968
	s_waitcnt vmcnt(19)
	ds_write_b32 v83, v56 offset:3232
	s_waitcnt vmcnt(18)
	ds_write_b32 v83, v57 offset:3496
	s_waitcnt vmcnt(17)
	ds_write_b32 v83, v58 offset:3760
	s_waitcnt vmcnt(16)
	ds_write_b32 v83, v59 offset:4024
	ds_read_b64 v[56:57], v84 offset:64
	ds_read_b64 v[54:55], v84 offset:96
	ds_read_b64 v[52:53], v84 offset:128
	ds_read_b64 v[50:51], v84 offset:160
	ds_read_b64 v[48:49], v84 offset:192
	ds_read_b64 v[46:47], v84 offset:224
	ds_read_b64 v[44:45], v84 offset:256
	ds_read_b64 v[38:39], v84 offset:288
	s_waitcnt vmcnt(15)
	ds_write_b32 v83, v60 offset:64
	s_waitcnt vmcnt(14)
	ds_write_b32 v83, v61 offset:328
	s_waitcnt vmcnt(13)
	ds_write_b32 v83, v62 offset:592
	s_waitcnt vmcnt(12)
	ds_write_b32 v83, v63 offset:856
	s_waitcnt vmcnt(11)
	ds_write_b32 v83, v64 offset:1120
	s_waitcnt vmcnt(10)
	ds_write_b32 v83, v65 offset:1384
	s_waitcnt vmcnt(9)
	ds_write_b32 v83, v66 offset:1648
	s_waitcnt vmcnt(8)
	ds_write_b32 v83, v67 offset:1912
	s_waitcnt vmcnt(7)
	ds_write_b32 v83, v68 offset:2176
	s_waitcnt vmcnt(6)
	ds_write_b32 v83, v69 offset:2440
	s_waitcnt vmcnt(5)
	ds_write_b32 v83, v70 offset:2704
	s_waitcnt vmcnt(4)
	ds_write_b32 v83, v71 offset:2968
	s_waitcnt vmcnt(3)
	ds_write_b32 v83, v72 offset:3232
	s_waitcnt vmcnt(2)
	ds_write_b32 v83, v73 offset:3496
	s_waitcnt vmcnt(1)
	ds_write_b32 v83, v74 offset:3760
	s_waitcnt vmcnt(0)
	ds_write_b32 v83, v75 offset:4024
	ds_read_b64 v[72:73], v84 offset:64
	ds_read_b64 v[70:71], v84 offset:96
	;; [unrolled: 1-line block ×8, first 2 shown]
	v_mov_b32_e32 v74, 0
	s_cbranch_vccnz .LBB106_28
; %bb.25:                               ;   in Loop: Header=BB106_24 Depth=1
	ds_read_b32 v0, v82
	s_waitcnt lgkmcnt(0)
	v_cmp_gt_i32_e32 vcc, 0, v0
	s_cbranch_vccnz .LBB106_27
; %bb.26:                               ;   in Loop: Header=BB106_24 Depth=1
	v_mul_lo_u32 v0, v0, s21
	v_add_u32_e32 v76, v85, v0
	v_ashrrev_i32_e32 v77, 31, v76
	v_lshl_add_u64 v[76:77], v[76:77], 2, v[6:7]
	global_load_dwordx2 v[76:77], v[76:77], off
	s_branch .LBB106_28
.LBB106_27:                             ;   in Loop: Header=BB106_24 Depth=1
	v_mov_b32_e32 v76, 0
	v_mov_b32_e32 v77, 0
.LBB106_28:                             ;   in Loop: Header=BB106_24 Depth=1
	s_waitcnt vmcnt(0)
	v_cvt_pk_f16_f32 v0, v76, v77
	s_andn2_b64 vcc, exec, s[0:1]
	v_mov_b32_e32 v76, 0
	v_mov_b32_e32 v77, 0
	ds_write_b32 v83, v0 offset:64
	s_cbranch_vccnz .LBB106_32
; %bb.29:                               ;   in Loop: Header=BB106_24 Depth=1
	ds_read_b32 v0, v82 offset:4
	s_waitcnt lgkmcnt(0)
	v_cmp_gt_i32_e32 vcc, 0, v0
	s_cbranch_vccnz .LBB106_31
; %bb.30:                               ;   in Loop: Header=BB106_24 Depth=1
	v_mul_lo_u32 v0, v0, s21
	v_add_u32_e32 v0, s16, v0
	v_add_u32_e32 v76, v0, v85
	v_ashrrev_i32_e32 v77, 31, v76
	v_lshl_add_u64 v[76:77], v[76:77], 2, v[6:7]
	global_load_dwordx2 v[76:77], v[76:77], off
	s_branch .LBB106_32
.LBB106_31:                             ;   in Loop: Header=BB106_24 Depth=1
	v_mov_b32_e32 v76, 0
	v_mov_b32_e32 v77, 0
.LBB106_32:                             ;   in Loop: Header=BB106_24 Depth=1
	s_waitcnt vmcnt(0)
	v_cvt_pk_f16_f32 v0, v76, v77
	s_andn2_b64 vcc, exec, s[6:7]
	v_mov_b32_e32 v75, 0
	ds_write_b32 v83, v0 offset:328
	s_cbranch_vccnz .LBB106_23
; %bb.33:                               ;   in Loop: Header=BB106_24 Depth=1
	ds_read_b32 v0, v82 offset:8
	s_waitcnt lgkmcnt(0)
	v_cmp_gt_i32_e32 vcc, 0, v0
	s_cbranch_vccz .LBB106_22
; %bb.34:                               ;   in Loop: Header=BB106_24 Depth=1
	v_mov_b32_e32 v74, 0
	v_mov_b32_e32 v75, 0
	s_branch .LBB106_23
.LBB106_35:
	s_or_b64 exec, exec, s[14:15]
.LBB106_36:
	s_or_b64 exec, exec, s[18:19]
	v_mov_b32_e32 v0, 0x100
	v_lshl_add_u32 v4, v79, 2, v0
	v_mul_u32_u24_e32 v0, 0x308, v80
	v_and_b32_e32 v1, 0x3f0, v2
	v_add3_u32 v0, v4, v0, v1
	v_accvgpr_read_b32 v1, a13
	v_accvgpr_read_b32 v5, a12
	s_waitcnt lgkmcnt(0)
	s_barrier
	ds_write2_b32 v0, v5, v1 offset0:16 offset1:17
	v_accvgpr_read_b32 v1, a15
	v_accvgpr_read_b32 v5, a14
	ds_write2_b32 v0, v5, v1 offset0:18 offset1:19
	v_accvgpr_read_b32 v1, a9
	v_accvgpr_read_b32 v5, a8
	;; [unrolled: 3-line block ×7, first 2 shown]
	s_movk_i32 s0, 0x100
	ds_write2_b32 v0, v5, v1 offset0:66 offset1:67
	v_lshlrev_b32_e32 v0, 2, v2
	v_mul_u32_u24_e32 v1, 0x308, v3
	v_add3_u32 v5, s0, v0, v1
	s_waitcnt lgkmcnt(0)
	s_barrier
	ds_read2_b32 v[0:1], v5 offset0:16 offset1:80
	ds_read_b32 v6, v5 offset:576
	v_cmp_gt_u32_e32 vcc, 3, v3
	v_mov_b32_e32 v5, -1
	s_and_saveexec_b64 s[0:1], vcc
; %bb.37:
	s_movk_i32 s2, 0xff04
	v_mad_i32_i24 v4, v3, s2, v4
	ds_read_b32 v5, v4
; %bb.38:
	s_or_b64 exec, exec, s[0:1]
	s_waitcnt lgkmcnt(0)
	v_cmp_lt_i32_e32 vcc, -1, v5
	s_and_b64 s[0:1], vcc, s[8:9]
	s_and_saveexec_b64 s[2:3], s[0:1]
	s_cbranch_execz .LBB106_40
; %bb.39:
	v_add_f32_e32 v0, 0, v0
	s_mul_hi_i32 s1, s26, s4
	s_mul_i32 s0, s26, s4
	v_add_f32_e32 v0, v0, v1
	s_lshl_b64 s[0:1], s[0:1], 2
	v_add_f32_e32 v4, v0, v6
	v_mul_hi_i32 v1, v78, s17
	v_mul_lo_u32 v0, v78, s17
	s_add_u32 s0, s10, s0
	v_add_u32_e32 v2, s5, v2
	s_addc_u32 s1, s11, s1
	v_lshlrev_b64 v[0:1], 2, v[0:1]
	v_mul_lo_u32 v5, v5, s22
	v_mul_lo_u32 v3, v3, s17
	v_lshl_add_u64 v[0:1], s[0:1], 0, v[0:1]
	v_add3_u32 v2, v2, v3, v5
	v_mov_b32_e32 v3, 0
	v_lshl_add_u64 v[0:1], v[2:3], 2, v[0:1]
	global_store_dword v[0:1], v4, off
.LBB106_40:
	s_endpgm
	.section	.rodata,"a",@progbits
	.p2align	6, 0x0
	.amdhsa_kernel _ZL9mul_mat_fI7__half2Li64ELi3ELi3ELb1EEvPKT_PKfPKiPfiiiiiiiiiiiiiiii
		.amdhsa_group_segment_fixed_size 256
		.amdhsa_private_segment_fixed_size 0
		.amdhsa_kernarg_size 352
		.amdhsa_user_sgpr_count 2
		.amdhsa_user_sgpr_dispatch_ptr 0
		.amdhsa_user_sgpr_queue_ptr 0
		.amdhsa_user_sgpr_kernarg_segment_ptr 1
		.amdhsa_user_sgpr_dispatch_id 0
		.amdhsa_user_sgpr_kernarg_preload_length 0
		.amdhsa_user_sgpr_kernarg_preload_offset 0
		.amdhsa_user_sgpr_private_segment_size 0
		.amdhsa_uses_dynamic_stack 0
		.amdhsa_enable_private_segment 0
		.amdhsa_system_sgpr_workgroup_id_x 1
		.amdhsa_system_sgpr_workgroup_id_y 1
		.amdhsa_system_sgpr_workgroup_id_z 1
		.amdhsa_system_sgpr_workgroup_info 0
		.amdhsa_system_vgpr_workitem_id 2
		.amdhsa_next_free_vgpr 104
		.amdhsa_next_free_sgpr 91
		.amdhsa_accum_offset 88
		.amdhsa_reserve_vcc 1
		.amdhsa_float_round_mode_32 0
		.amdhsa_float_round_mode_16_64 0
		.amdhsa_float_denorm_mode_32 3
		.amdhsa_float_denorm_mode_16_64 3
		.amdhsa_dx10_clamp 1
		.amdhsa_ieee_mode 1
		.amdhsa_fp16_overflow 0
		.amdhsa_tg_split 0
		.amdhsa_exception_fp_ieee_invalid_op 0
		.amdhsa_exception_fp_denorm_src 0
		.amdhsa_exception_fp_ieee_div_zero 0
		.amdhsa_exception_fp_ieee_overflow 0
		.amdhsa_exception_fp_ieee_underflow 0
		.amdhsa_exception_fp_ieee_inexact 0
		.amdhsa_exception_int_div_zero 0
	.end_amdhsa_kernel
	.section	.text._ZL9mul_mat_fI7__half2Li64ELi3ELi3ELb1EEvPKT_PKfPKiPfiiiiiiiiiiiiiiii,"axG",@progbits,_ZL9mul_mat_fI7__half2Li64ELi3ELi3ELb1EEvPKT_PKfPKiPfiiiiiiiiiiiiiiii,comdat
.Lfunc_end106:
	.size	_ZL9mul_mat_fI7__half2Li64ELi3ELi3ELb1EEvPKT_PKfPKiPfiiiiiiiiiiiiiiii, .Lfunc_end106-_ZL9mul_mat_fI7__half2Li64ELi3ELi3ELb1EEvPKT_PKfPKiPfiiiiiiiiiiiiiiii
                                        ; -- End function
	.set _ZL9mul_mat_fI7__half2Li64ELi3ELi3ELb1EEvPKT_PKfPKiPfiiiiiiiiiiiiiiii.num_vgpr, 86
	.set _ZL9mul_mat_fI7__half2Li64ELi3ELi3ELb1EEvPKT_PKfPKiPfiiiiiiiiiiiiiiii.num_agpr, 16
	.set _ZL9mul_mat_fI7__half2Li64ELi3ELi3ELb1EEvPKT_PKfPKiPfiiiiiiiiiiiiiiii.numbered_sgpr, 91
	.set _ZL9mul_mat_fI7__half2Li64ELi3ELi3ELb1EEvPKT_PKfPKiPfiiiiiiiiiiiiiiii.num_named_barrier, 0
	.set _ZL9mul_mat_fI7__half2Li64ELi3ELi3ELb1EEvPKT_PKfPKiPfiiiiiiiiiiiiiiii.private_seg_size, 0
	.set _ZL9mul_mat_fI7__half2Li64ELi3ELi3ELb1EEvPKT_PKfPKiPfiiiiiiiiiiiiiiii.uses_vcc, 1
	.set _ZL9mul_mat_fI7__half2Li64ELi3ELi3ELb1EEvPKT_PKfPKiPfiiiiiiiiiiiiiiii.uses_flat_scratch, 0
	.set _ZL9mul_mat_fI7__half2Li64ELi3ELi3ELb1EEvPKT_PKfPKiPfiiiiiiiiiiiiiiii.has_dyn_sized_stack, 0
	.set _ZL9mul_mat_fI7__half2Li64ELi3ELi3ELb1EEvPKT_PKfPKiPfiiiiiiiiiiiiiiii.has_recursion, 0
	.set _ZL9mul_mat_fI7__half2Li64ELi3ELi3ELb1EEvPKT_PKfPKiPfiiiiiiiiiiiiiiii.has_indirect_call, 0
	.section	.AMDGPU.csdata,"",@progbits
; Kernel info:
; codeLenInByte = 5716
; TotalNumSgprs: 97
; NumVgprs: 86
; NumAgprs: 16
; TotalNumVgprs: 104
; ScratchSize: 0
; MemoryBound: 0
; FloatMode: 240
; IeeeMode: 1
; LDSByteSize: 256 bytes/workgroup (compile time only)
; SGPRBlocks: 12
; VGPRBlocks: 12
; NumSGPRsForWavesPerEU: 97
; NumVGPRsForWavesPerEU: 104
; AccumOffset: 88
; Occupancy: 4
; WaveLimiterHint : 0
; COMPUTE_PGM_RSRC2:SCRATCH_EN: 0
; COMPUTE_PGM_RSRC2:USER_SGPR: 2
; COMPUTE_PGM_RSRC2:TRAP_HANDLER: 0
; COMPUTE_PGM_RSRC2:TGID_X_EN: 1
; COMPUTE_PGM_RSRC2:TGID_Y_EN: 1
; COMPUTE_PGM_RSRC2:TGID_Z_EN: 1
; COMPUTE_PGM_RSRC2:TIDIG_COMP_CNT: 2
; COMPUTE_PGM_RSRC3_GFX90A:ACCUM_OFFSET: 21
; COMPUTE_PGM_RSRC3_GFX90A:TG_SPLIT: 0
	.section	.text._ZL9mul_mat_fI7__half2Li64ELi3ELi3ELb0EEvPKT_PKfPKiPfiiiiiiiiiiiiiiii,"axG",@progbits,_ZL9mul_mat_fI7__half2Li64ELi3ELi3ELb0EEvPKT_PKfPKiPfiiiiiiiiiiiiiiii,comdat
	.globl	_ZL9mul_mat_fI7__half2Li64ELi3ELi3ELb0EEvPKT_PKfPKiPfiiiiiiiiiiiiiiii ; -- Begin function _ZL9mul_mat_fI7__half2Li64ELi3ELi3ELb0EEvPKT_PKfPKiPfiiiiiiiiiiiiiiii
	.p2align	8
	.type	_ZL9mul_mat_fI7__half2Li64ELi3ELi3ELb0EEvPKT_PKfPKiPfiiiiiiiiiiiiiiii,@function
_ZL9mul_mat_fI7__half2Li64ELi3ELi3ELb0EEvPKT_PKfPKiPfiiiiiiiiiiiiiiii: ; @_ZL9mul_mat_fI7__half2Li64ELi3ELi3ELb0EEvPKT_PKfPKiPfiiiiiiiiiiiiiiii
; %bb.0:
	s_load_dword s5, s[0:1], 0x20
	s_load_dwordx4 s[16:19], s[0:1], 0x2c
	v_bfe_u32 v84, v0, 10, 10
	v_lshlrev_b32_e32 v86, 6, v84
	v_and_b32_e32 v85, 0x3ff, v0
	v_add_u32_e32 v88, v86, v85
	s_waitcnt lgkmcnt(0)
	s_ashr_i32 s19, s4, 31
	v_cmp_le_i32_e32 vcc, s5, v88
	v_and_b32_e32 v87, 15, v85
	s_and_saveexec_b64 s[6:7], vcc
	s_xor_b64 s[6:7], exec, s[6:7]
; %bb.1:
	v_and_b32_e32 v87, 15, v85
                                        ; implicit-def: $vgpr88
; %bb.2:
	s_or_saveexec_b64 s[24:25], s[6:7]
	s_load_dwordx8 s[8:15], s[0:1], 0x40
	s_load_dwordx2 s[6:7], s[0:1], 0x18
	s_lshl_b32 s2, s2, 6
	v_mov_b32_e32 v3, 0
	v_accvgpr_write_b32 a0, 0
	v_accvgpr_write_b32 a1, 0
	;; [unrolled: 1-line block ×16, first 2 shown]
	v_lshlrev_b32_e32 v0, 2, v85
	s_xor_b64 exec, exec, s[24:25]
	s_cbranch_execz .LBB107_6
; %bb.3:
	s_waitcnt lgkmcnt(0)
	s_abs_i32 s26, s8
	v_cvt_f32_u32_e32 v1, s26
	s_abs_i32 s27, s12
	v_cvt_f32_u32_e32 v2, s27
	s_sub_i32 s20, 0, s26
	v_rcp_iflag_f32_e32 v1, v1
	s_abs_i32 s28, s3
	v_rcp_iflag_f32_e32 v2, v2
	s_sub_i32 s21, 0, s27
	v_mul_f32_e32 v1, 0x4f7ffffe, v1
	v_cvt_u32_f32_e32 v1, v1
	v_mul_f32_e32 v2, 0x4f7ffffe, v2
	v_cvt_u32_f32_e32 v2, v2
	s_abs_i32 s29, s4
	v_mul_lo_u32 v4, s20, v1
	v_mul_hi_u32 v4, v1, v4
	v_add_u32_e32 v1, v1, v4
	v_mul_hi_u32 v1, s28, v1
	v_mul_lo_u32 v5, s21, v2
	v_mul_lo_u32 v4, v1, s26
	v_mul_hi_u32 v5, v2, v5
	v_sub_u32_e32 v4, s28, v4
	v_add_u32_e32 v2, v2, v5
	v_subrev_u32_e32 v6, s26, v4
	v_cmp_le_u32_e32 vcc, s26, v4
	v_mul_hi_u32 v2, s29, v2
	v_add_u32_e32 v5, 1, v1
	v_cndmask_b32_e32 v4, v4, v6, vcc
	v_cndmask_b32_e32 v1, v1, v5, vcc
	v_cmp_le_u32_e32 vcc, s26, v4
	v_mul_lo_u32 v4, v2, s27
	s_load_dwordx4 s[20:23], s[0:1], 0x0
	s_ashr_i32 s0, s3, 31
	s_ashr_i32 s1, s8, 31
	v_add_u32_e32 v5, 1, v1
	v_sub_u32_e32 v4, s29, v4
	s_xor_b32 s0, s0, s1
	v_cndmask_b32_e32 v1, v1, v5, vcc
	v_add_u32_e32 v5, 1, v2
	v_subrev_u32_e32 v6, s27, v4
	v_cmp_le_u32_e32 vcc, s27, v4
	v_xor_b32_e32 v1, s0, v1
	s_ashr_i32 s8, s12, 31
	v_cndmask_b32_e32 v2, v2, v5, vcc
	v_cndmask_b32_e32 v4, v4, v6, vcc
	v_subrev_u32_e32 v1, s0, v1
	v_add_u32_e32 v5, 1, v2
	v_cmp_le_u32_e32 vcc, s27, v4
	s_xor_b32 s0, s19, s8
	v_mul_lo_u32 v6, v1, s9
	v_cndmask_b32_e32 v2, v2, v5, vcc
	s_mul_hi_i32 s9, s14, s4
	s_mul_i32 s8, s14, s4
	v_xor_b32_e32 v2, s0, v2
	s_lshl_b64 s[26:27], s[8:9], 2
	v_subrev_u32_e32 v2, s0, v2
	s_mul_i32 s0, s16, s2
	s_mul_i32 s28, s10, s3
	s_waitcnt lgkmcnt(0)
	s_add_u32 s8, s22, s26
	v_mul_hi_i32 v5, v2, s13
	v_mul_lo_u32 v4, v2, s13
	s_addc_u32 s9, s23, s27
	s_ashr_i32 s1, s0, 31
	s_ashr_i32 s29, s28, 31
	v_ashrrev_i32_e32 v7, 31, v6
	v_lshlrev_b64 v[8:9], 2, v[4:5]
	s_lshl_b64 s[12:13], s[0:1], 2
	s_lshl_b64 s[28:29], s[28:29], 2
	v_lshl_add_u64 v[4:5], s[20:21], 0, v[8:9]
	v_lshlrev_b64 v[6:7], 2, v[6:7]
	s_add_u32 s0, s8, s28
	s_movk_i32 s8, 0x1080
	v_lshrrev_b32_e32 v10, 1, v85
	v_lshl_add_u64 v[4:5], v[4:5], 0, v[6:7]
	v_mad_u32_u24 v1, v84, s8, 0
	v_mul_u32_u24_e32 v2, 0x108, v87
	v_and_b32_e32 v10, 0x1f8, v10
	v_lshl_add_u64 v[6:7], v[6:7], 0, s[12:13]
	s_addc_u32 s1, s9, s29
	v_add3_u32 v90, v1, v2, v10
	s_ashr_i32 s9, s16, 31
	s_mov_b32 s8, s16
	s_ashr_i32 s75, s17, 31
	s_mov_b32 s74, s17
	v_lshlrev_b32_e32 v2, 8, v84
	v_lshl_add_u64 v[6:7], v[6:7], 0, v[8:9]
	v_lshl_add_u64 v[4:5], v[4:5], 0, s[12:13]
	s_add_i32 s10, s16, s16
	s_add_i32 s14, s17, s17
	s_lshl_b32 s30, s16, 2
	s_lshl_b32 s35, s16, 3
	;; [unrolled: 1-line block ×4, first 2 shown]
	s_lshl_b64 s[8:9], s[8:9], 2
	s_lshl_b64 s[12:13], s[74:75], 3
	v_lshl_add_u64 v[6:7], v[6:7], 0, v[2:3]
	v_lshlrev_b32_e32 v2, 9, v84
	v_add_u32_e32 v89, v1, v0
	s_add_u32 s22, s22, s28
	v_mov_b32_e32 v1, v3
	v_lshl_add_u64 v[8:9], s[26:27], 0, v[2:3]
	v_lshlrev_b32_e32 v2, 3, v85
	s_addc_u32 s23, s23, s29
	v_lshl_add_u64 v[6:7], v[6:7], 0, v[0:1]
	v_lshl_add_u64 v[8:9], v[8:9], 0, v[2:3]
	s_mul_i32 s19, s16, 3
	s_mul_i32 s31, s16, 5
	s_mul_i32 s33, s16, 6
	s_mul_i32 s34, s16, 7
	s_mul_i32 s36, s16, 9
	s_mul_i32 s37, s16, 10
	s_mul_i32 s38, s16, 11
	s_mul_i32 s39, s16, 12
	s_mul_i32 s40, s16, 13
	s_mul_i32 s41, s16, 14
	s_mul_i32 s42, s16, 15
	s_mul_i32 s44, s16, 17
	s_mul_i32 s45, s16, 18
	s_mul_i32 s46, s16, 19
	s_mul_i32 s47, s16, 20
	s_mul_i32 s48, s16, 21
	s_mul_i32 s49, s16, 22
	s_mul_i32 s50, s16, 23
	s_mul_i32 s51, s16, 24
	s_mul_i32 s52, s16, 25
	s_mul_i32 s53, s16, 26
	s_mul_i32 s54, s16, 27
	s_mul_i32 s55, s16, 28
	s_mul_i32 s56, s16, 29
	s_mul_i32 s57, s16, 30
	s_mul_i32 s58, s16, 31
	s_mul_i32 s60, s16, 33
	s_mul_i32 s61, s16, 34
	s_mul_i32 s62, s16, 35
	s_mul_i32 s63, s16, 36
	s_mul_i32 s64, s16, 37
	s_mul_i32 s65, s16, 38
	s_mul_i32 s66, s16, 39
	s_mul_i32 s67, s16, 40
	s_mul_i32 s68, s16, 41
	s_mul_i32 s69, s16, 42
	s_mul_i32 s70, s16, 43
	s_mul_i32 s71, s16, 44
	s_mul_i32 s72, s16, 45
	s_mul_i32 s28, s16, 46
	s_mul_i32 s29, s16, 47
	v_lshl_add_u64 v[6:7], s[20:21], 0, v[6:7]
	s_mul_i32 s73, s16, 48
	s_mul_i32 s74, s16, 49
	;; [unrolled: 1-line block ×6, first 2 shown]
	v_lshl_add_u64 v[8:9], s[22:23], 0, v[8:9]
	s_mul_i32 s77, s16, 54
	s_mul_i32 s78, s16, 55
	v_accvgpr_write_b32 a15, 0
	v_accvgpr_write_b32 a14, 0
	;; [unrolled: 1-line block ×16, first 2 shown]
	s_mul_i32 s79, s16, 56
	s_mul_i32 s80, s16, 57
	;; [unrolled: 1-line block ×8, first 2 shown]
	s_mov_b64 s[16:17], 0
	s_mov_b64 s[20:21], 0x300
	;; [unrolled: 1-line block ×3, first 2 shown]
.LBB107_4:                              ; =>This Inner Loop Header: Depth=1
	v_add_u32_e32 v82, s10, v88
	v_add_u32_e32 v66, s19, v88
	v_add_u32_e32 v80, s30, v88
	v_lshl_add_u64 v[62:63], v[6:7], 0, s[8:9]
	v_add_u32_e32 v76, s31, v88
	v_add_u32_e32 v78, s33, v88
	v_ashrrev_i32_e32 v83, 31, v82
	v_ashrrev_i32_e32 v67, 31, v66
	;; [unrolled: 1-line block ×3, first 2 shown]
	v_add_u32_e32 v72, s34, v88
	v_add_u32_e32 v74, s35, v88
	global_load_dword v1, v[62:63], off
	v_lshl_add_u64 v[62:63], v[82:83], 2, v[4:5]
	v_lshl_add_u64 v[66:67], v[66:67], 2, v[4:5]
	v_lshl_add_u64 v[82:83], v[80:81], 2, v[4:5]
	v_ashrrev_i32_e32 v77, 31, v76
	v_ashrrev_i32_e32 v79, 31, v78
	v_add_u32_e32 v68, s36, v88
	v_add_u32_e32 v70, s37, v88
	global_load_dword v2, v[62:63], off
	global_load_dword v80, v[66:67], off
	;; [unrolled: 1-line block ×3, first 2 shown]
	v_lshl_add_u64 v[76:77], v[76:77], 2, v[4:5]
	v_lshl_add_u64 v[82:83], v[78:79], 2, v[4:5]
	v_ashrrev_i32_e32 v73, 31, v72
	v_ashrrev_i32_e32 v75, 31, v74
	v_add_u32_e32 v60, s38, v88
	v_add_u32_e32 v64, s39, v88
	global_load_dword v78, v[76:77], off
	global_load_dword v79, v[82:83], off
	v_lshl_add_u64 v[72:73], v[72:73], 2, v[4:5]
	v_lshl_add_u64 v[82:83], v[74:75], 2, v[4:5]
	v_ashrrev_i32_e32 v69, 31, v68
	v_ashrrev_i32_e32 v71, 31, v70
	v_add_u32_e32 v54, s40, v88
	v_add_u32_e32 v58, s41, v88
	global_load_dword v74, v[72:73], off
	global_load_dword v75, v[82:83], off
	;; [unrolled: 8-line block ×3, first 2 shown]
	v_lshl_add_u64 v[60:61], v[60:61], 2, v[4:5]
	v_lshl_add_u64 v[82:83], v[64:65], 2, v[4:5]
	v_ashrrev_i32_e32 v55, 31, v54
	v_ashrrev_i32_e32 v59, 31, v58
	v_add_u32_e32 v40, s44, v88
	v_add_u32_e32 v46, s45, v88
	v_add_u32_e32 v32, s46, v88
	v_add_u32_e32 v24, s48, v88
	v_add_u32_e32 v28, s49, v88
	v_add_u32_e32 v12, s50, v88
	global_load_dword v64, v[60:61], off
	global_load_dword v65, v[82:83], off
	v_lshl_add_u64 v[54:55], v[54:55], 2, v[4:5]
	v_lshl_add_u64 v[82:83], v[58:59], 2, v[4:5]
	v_ashrrev_i32_e32 v45, 31, v44
	v_ashrrev_i32_e32 v57, 31, v56
	v_add_u32_e32 v36, s47, v88
	v_add_u32_e32 v16, s51, v88
	v_add_u32_e32 v10, s52, v88
	v_add_u32_e32 v18, s53, v88
	global_load_dword v58, v[54:55], off
	global_load_dword v59, v[82:83], off
	v_lshl_add_u64 v[44:45], v[44:45], 2, v[4:5]
	v_lshl_add_u64 v[82:83], v[56:57], 2, v[4:5]
	v_ashrrev_i32_e32 v41, 31, v40
	v_ashrrev_i32_e32 v47, 31, v46
	;; [unrolled: 1-line block ×6, first 2 shown]
	v_add_u32_e32 v14, s54, v88
	v_add_u32_e32 v22, s55, v88
	global_load_dword v57, v[44:45], off
	global_load_dword v56, v[82:83], off
	v_lshl_add_u64 v[40:41], v[40:41], 2, v[4:5]
	v_lshl_add_u64 v[82:83], v[46:47], 2, v[4:5]
	v_ashrrev_i32_e32 v37, 31, v36
	v_lshl_add_u64 v[32:33], v[32:33], 2, v[4:5]
	v_lshl_add_u64 v[24:25], v[24:25], 2, v[4:5]
	;; [unrolled: 1-line block ×3, first 2 shown]
	v_ashrrev_i32_e32 v17, 31, v16
	v_lshl_add_u64 v[12:13], v[12:13], 2, v[4:5]
	v_ashrrev_i32_e32 v11, 31, v10
	v_ashrrev_i32_e32 v19, 31, v18
	v_add_u32_e32 v20, s56, v88
	v_add_u32_e32 v30, s57, v88
	global_load_dword v46, v[40:41], off
	global_load_dword v47, v[82:83], off
	v_lshl_add_u64 v[82:83], v[36:37], 2, v[4:5]
	global_load_dword v36, v[32:33], off
	global_load_dword v37, v[82:83], off
	s_nop 0
	global_load_dword v24, v[24:25], off
	s_nop 0
	global_load_dword v25, v[28:29], off
	v_lshl_add_u64 v[16:17], v[16:17], 2, v[4:5]
	global_load_dword v28, v[12:13], off
	global_load_dword v29, v[16:17], off
	v_lshl_add_u64 v[10:11], v[10:11], 2, v[4:5]
	v_lshl_add_u64 v[12:13], v[18:19], 2, v[4:5]
	v_ashrrev_i32_e32 v15, 31, v14
	v_ashrrev_i32_e32 v23, 31, v22
	v_add_u32_e32 v26, s58, v88
	v_add_u32_e32 v38, s59, v88
	global_load_dword v82, v[10:11], off
	global_load_dword v83, v[12:13], off
	v_lshl_add_u64 v[10:11], v[14:15], 2, v[4:5]
	v_lshl_add_u64 v[12:13], v[22:23], 2, v[4:5]
	v_ashrrev_i32_e32 v21, 31, v20
	v_ashrrev_i32_e32 v31, 31, v30
	v_add_u32_e32 v34, s60, v88
	v_add_u32_e32 v48, s61, v88
	;; [unrolled: 8-line block ×10, first 2 shown]
	global_load_dword v50, v[10:11], off
	global_load_dword v51, v[12:13], off
	v_lshl_add_u64 v[10:11], v[44:45], 2, v[4:5]
	v_lshl_add_u64 v[12:13], v[40:41], 2, v[4:5]
	v_ashrrev_i32_e32 v33, 31, v32
	v_ashrrev_i32_e32 v93, 31, v92
	v_add_u32_e32 v94, s76, v88
	global_load_dword v40, v[10:11], off
	global_load_dword v41, v[12:13], off
	v_lshl_add_u64 v[12:13], v[32:33], 2, v[4:5]
	v_lshl_add_u64 v[14:15], v[92:93], 2, v[4:5]
	v_ashrrev_i32_e32 v17, 31, v16
	v_ashrrev_i32_e32 v19, 31, v18
	v_add_u32_e32 v96, s26, v88
	v_add_u32_e32 v98, s27, v88
	global_load_dword v33, v[12:13], off
	global_load_dword v32, v[14:15], off
	v_lshl_add_u64 v[14:15], v[16:17], 2, v[4:5]
	v_lshl_add_u64 v[16:17], v[18:19], 2, v[4:5]
	v_ashrrev_i32_e32 v95, 31, v94
	v_add_u32_e32 v100, s77, v88
	v_add_u32_e32 v52, s78, v88
	global_load_dword v60, v[14:15], off
	global_load_dword v61, v[16:17], off
	v_ashrrev_i32_e32 v97, 31, v96
	v_lshl_add_u64 v[16:17], v[94:95], 2, v[4:5]
	v_ashrrev_i32_e32 v99, 31, v98
	v_add_u32_e32 v62, s79, v88
	v_add_u32_e32 v66, s80, v88
	v_lshl_add_u64 v[18:19], v[96:97], 2, v[4:5]
	global_load_dword v72, v[16:17], off
	global_load_dword v73, v[18:19], off
	v_lshl_add_u64 v[16:17], v[98:99], 2, v[4:5]
	v_ashrrev_i32_e32 v101, 31, v100
	v_ashrrev_i32_e32 v53, 31, v52
	v_add_u32_e32 v68, s81, v88
	global_load_dword v76, v[16:17], off
	global_load_dword v77, v[6:7], off
	v_lshl_add_u64 v[16:17], v[100:101], 2, v[4:5]
	v_lshl_add_u64 v[44:45], v[52:53], 2, v[4:5]
	v_ashrrev_i32_e32 v63, 31, v62
	v_ashrrev_i32_e32 v67, 31, v66
	v_add_u32_e32 v54, s82, v88
	global_load_dword v91, v[16:17], off
	global_load_dword v92, v[44:45], off
	s_nop 0
	global_load_dwordx2 v[16:17], v[8:9], off
	v_lshl_add_u64 v[44:45], v[62:63], 2, v[4:5]
	v_lshl_add_u64 v[52:53], v[66:67], 2, v[4:5]
	v_ashrrev_i32_e32 v69, 31, v68
	global_load_dword v62, v[44:45], off
	global_load_dword v63, v[52:53], off
	v_ashrrev_i32_e32 v55, 31, v54
	v_lshl_add_u64 v[52:53], v[68:69], 2, v[4:5]
	v_lshl_add_u64 v[44:45], v[8:9], 0, s[12:13]
	;; [unrolled: 1-line block ×3, first 2 shown]
	global_load_dword v66, v[52:53], off
	global_load_dword v67, v[54:55], off
	v_add_u32_e32 v52, s14, v88
	v_add_u32_e32 v10, s83, v88
	v_add_u32_e32 v12, s84, v88
	v_add_u32_e32 v14, s85, v88
	v_add_u32_e32 v18, s86, v88
	global_load_dwordx2 v[44:45], v[44:45], off
	v_ashrrev_i32_e32 v53, 31, v52
	v_ashrrev_i32_e32 v11, 31, v10
	v_ashrrev_i32_e32 v13, 31, v12
	v_ashrrev_i32_e32 v15, 31, v14
	v_ashrrev_i32_e32 v19, 31, v18
	v_lshl_add_u64 v[52:53], v[52:53], 3, s[0:1]
	v_lshl_add_u64 v[10:11], v[10:11], 2, v[4:5]
	;; [unrolled: 1-line block ×5, first 2 shown]
	global_load_dwordx2 v[52:53], v[52:53], off
	s_nop 0
	global_load_dword v68, v[10:11], off
	global_load_dword v69, v[12:13], off
	;; [unrolled: 1-line block ×4, first 2 shown]
	s_waitcnt vmcnt(62)
	ds_write_b32 v89, v1 offset:264
	v_accvgpr_read_b32 v97, a9
	v_accvgpr_read_b32 v96, a8
	;; [unrolled: 1-line block ×4, first 2 shown]
	v_accvgpr_mov_b32 a6, a12
	v_accvgpr_read_b32 v100, a4
	v_accvgpr_read_b32 v99, a11
	;; [unrolled: 1-line block ×3, first 2 shown]
	v_accvgpr_mov_b32 a7, a13
	v_accvgpr_mov_b32 a8, a14
	;; [unrolled: 1-line block ×3, first 2 shown]
	v_accvgpr_read_b32 v101, a5
	v_accvgpr_write_b32 a10, v96
	v_accvgpr_mov_b32 a17, a3
	v_accvgpr_mov_b32 a16, a2
	v_accvgpr_write_b32 a2, v100
	v_accvgpr_write_b32 a11, v97
	;; [unrolled: 1-line block ×7, first 2 shown]
	v_accvgpr_mov_b32 a15, a1
	v_accvgpr_mov_b32 a14, a0
	v_add_u32_e32 v88, 0xc0, v88
	v_cmp_le_i32_e32 vcc, s5, v88
	v_lshl_add_u64 v[6:7], v[6:7], 0, s[20:21]
	s_or_b64 s[16:17], vcc, s[16:17]
	v_lshl_add_u64 v[8:9], v[8:9], 0, s[22:23]
	s_waitcnt vmcnt(13)
	ds_write_b32 v89, v77
	ds_write_b32 v89, v2 offset:528
	ds_write_b32 v89, v80 offset:792
	;; [unrolled: 1-line block ×14, first 2 shown]
	s_waitcnt vmcnt(10)
	v_cvt_pk_f16_f32 v77, v16, v17
	s_waitcnt vmcnt(5)
	v_cvt_pk_f16_f32 v1, v44, v45
	;; [unrolled: 2-line block ×3, first 2 shown]
	ds_read_b64 v[10:11], v90
	ds_read_b64 v[12:13], v90 offset:32
	ds_read_b64 v[14:15], v90 offset:64
	;; [unrolled: 1-line block ×7, first 2 shown]
	ds_write_b32 v89, v56
	ds_write_b32 v89, v46 offset:264
	ds_write_b32 v89, v47 offset:528
	;; [unrolled: 1-line block ×15, first 2 shown]
	ds_read_b64 v[20:21], v90
	ds_read_b64 v[22:23], v90 offset:32
	ds_read_b64 v[24:25], v90 offset:64
	;; [unrolled: 1-line block ×7, first 2 shown]
	ds_write_b32 v89, v26
	ds_write_b32 v89, v30 offset:264
	ds_write_b32 v89, v31 offset:528
	;; [unrolled: 1-line block ×15, first 2 shown]
	ds_read_b64 v[26:27], v90
	ds_read_b64 v[30:31], v90 offset:32
	ds_read_b64 v[34:35], v90 offset:64
	;; [unrolled: 1-line block ×7, first 2 shown]
	ds_write_b32 v89, v32
	ds_write_b32 v89, v60 offset:264
	ds_write_b32 v89, v61 offset:528
	;; [unrolled: 1-line block ×11, first 2 shown]
	s_waitcnt vmcnt(3)
	ds_write_b32 v89, v68 offset:3168
	s_waitcnt vmcnt(2)
	ds_write_b32 v89, v69 offset:3432
	;; [unrolled: 2-line block ×4, first 2 shown]
	ds_read_b64 v[32:33], v90
	ds_read_b64 v[60:61], v90 offset:32
	ds_read_b64 v[62:63], v90 offset:64
	;; [unrolled: 1-line block ×7, first 2 shown]
	ds_write_b32 v89, v77
	ds_write_b32 v89, v1 offset:264
	ds_write_b32 v89, v2 offset:528
	;; [unrolled: 1-line block ×15, first 2 shown]
	ds_read_b64 v[74:75], v90
	s_waitcnt lgkmcnt(0)
	v_mfma_f32_16x16x16_f16 a[6:9], v[10:11], v[74:75], a[6:9]
	ds_read_b64 v[10:11], v90 offset:32
	v_mfma_f32_16x16x16_f16 a[10:13], v[20:21], v[74:75], a[10:13]
	v_mfma_f32_16x16x16_f16 a[2:5], v[26:27], v[74:75], a[2:5]
	;; [unrolled: 1-line block ×3, first 2 shown]
	s_waitcnt lgkmcnt(0)
	v_mfma_f32_16x16x16_f16 a[6:9], v[12:13], v[10:11], a[6:9]
	v_mfma_f32_16x16x16_f16 a[10:13], v[22:23], v[10:11], a[10:13]
	v_mfma_f32_16x16x16_f16 a[0:3], v[30:31], v[10:11], a[2:5]
	v_mfma_f32_16x16x16_f16 a[14:17], v[60:61], v[10:11], a[14:17]
	ds_read_b64 v[10:11], v90 offset:64
	s_waitcnt lgkmcnt(0)
	v_mfma_f32_16x16x16_f16 a[4:7], v[14:15], v[10:11], a[6:9]
	v_mfma_f32_16x16x16_f16 a[8:11], v[24:25], v[10:11], a[10:13]
	v_mfma_f32_16x16x16_f16 a[0:3], v[34:35], v[10:11], a[0:3]
	v_mfma_f32_16x16x16_f16 a[12:15], v[62:63], v[10:11], a[14:17]
	ds_read_b64 v[10:11], v90 offset:96
	;; [unrolled: 6-line block ×6, first 2 shown]
	s_waitcnt lgkmcnt(0)
	v_mfma_f32_16x16x16_f16 a[12:15], v[54:55], v[10:11], a[4:7]
	v_mfma_f32_16x16x16_f16 a[8:11], v[58:59], v[10:11], a[8:11]
	;; [unrolled: 1-line block ×4, first 2 shown]
	s_andn2_b64 exec, exec, s[16:17]
	s_cbranch_execnz .LBB107_4
; %bb.5:
	s_or_b64 exec, exec, s[16:17]
.LBB107_6:
	s_or_b64 exec, exec, s[24:25]
	v_lshl_add_u32 v1, v86, 2, 0
	v_mul_u32_u24_e32 v2, 0x308, v87
	v_and_b32_e32 v3, 0x3f0, v85
	v_add3_u32 v1, v1, v2, v3
	v_accvgpr_read_b32 v2, a13
	v_accvgpr_read_b32 v3, a12
	s_waitcnt lgkmcnt(0)
	s_barrier
	ds_write2_b32 v1, v3, v2 offset1:1
	v_accvgpr_read_b32 v2, a15
	v_accvgpr_read_b32 v3, a14
	ds_write2_b32 v1, v3, v2 offset0:2 offset1:3
	v_accvgpr_read_b32 v2, a9
	v_accvgpr_read_b32 v3, a8
	ds_write2_b32 v1, v3, v2 offset0:16 offset1:17
	;; [unrolled: 3-line block ×7, first 2 shown]
	v_mul_u32_u24_e32 v1, 0x308, v84
	v_add3_u32 v2, 0, v0, v1
	s_waitcnt lgkmcnt(0)
	s_barrier
	ds_read2st64_b32 v[0:1], v2 offset1:1
	s_mul_hi_i32 s1, s15, s4
	s_mul_i32 s0, s15, s4
	ds_read_b32 v2, v2 offset:512
	s_lshl_b64 s[0:1], s[0:1], 2
	s_add_u32 s4, s6, s0
	s_mul_i32 s0, s11, s3
	s_addc_u32 s5, s7, s1
	s_ashr_i32 s1, s0, 31
	s_waitcnt lgkmcnt(1)
	v_add_f32_e32 v0, 0, v0
	s_lshl_b64 s[0:1], s[0:1], 2
	v_add_f32_e32 v0, v0, v1
	s_add_u32 s0, s4, s0
	s_waitcnt lgkmcnt(0)
	v_add_f32_e32 v2, v0, v2
	v_mul_lo_u32 v0, v84, s18
	s_addc_u32 s1, s5, s1
	v_add3_u32 v0, s2, v85, v0
	v_mov_b32_e32 v1, 0
	v_lshl_add_u64 v[0:1], v[0:1], 2, s[0:1]
	global_store_dword v[0:1], v2, off
	s_endpgm
	.section	.rodata,"a",@progbits
	.p2align	6, 0x0
	.amdhsa_kernel _ZL9mul_mat_fI7__half2Li64ELi3ELi3ELb0EEvPKT_PKfPKiPfiiiiiiiiiiiiiiii
		.amdhsa_group_segment_fixed_size 0
		.amdhsa_private_segment_fixed_size 0
		.amdhsa_kernarg_size 96
		.amdhsa_user_sgpr_count 2
		.amdhsa_user_sgpr_dispatch_ptr 0
		.amdhsa_user_sgpr_queue_ptr 0
		.amdhsa_user_sgpr_kernarg_segment_ptr 1
		.amdhsa_user_sgpr_dispatch_id 0
		.amdhsa_user_sgpr_kernarg_preload_length 0
		.amdhsa_user_sgpr_kernarg_preload_offset 0
		.amdhsa_user_sgpr_private_segment_size 0
		.amdhsa_uses_dynamic_stack 0
		.amdhsa_enable_private_segment 0
		.amdhsa_system_sgpr_workgroup_id_x 1
		.amdhsa_system_sgpr_workgroup_id_y 1
		.amdhsa_system_sgpr_workgroup_id_z 1
		.amdhsa_system_sgpr_workgroup_info 0
		.amdhsa_system_vgpr_workitem_id 1
		.amdhsa_next_free_vgpr 124
		.amdhsa_next_free_sgpr 87
		.amdhsa_accum_offset 104
		.amdhsa_reserve_vcc 1
		.amdhsa_float_round_mode_32 0
		.amdhsa_float_round_mode_16_64 0
		.amdhsa_float_denorm_mode_32 3
		.amdhsa_float_denorm_mode_16_64 3
		.amdhsa_dx10_clamp 1
		.amdhsa_ieee_mode 1
		.amdhsa_fp16_overflow 0
		.amdhsa_tg_split 0
		.amdhsa_exception_fp_ieee_invalid_op 0
		.amdhsa_exception_fp_denorm_src 0
		.amdhsa_exception_fp_ieee_div_zero 0
		.amdhsa_exception_fp_ieee_overflow 0
		.amdhsa_exception_fp_ieee_underflow 0
		.amdhsa_exception_fp_ieee_inexact 0
		.amdhsa_exception_int_div_zero 0
	.end_amdhsa_kernel
	.section	.text._ZL9mul_mat_fI7__half2Li64ELi3ELi3ELb0EEvPKT_PKfPKiPfiiiiiiiiiiiiiiii,"axG",@progbits,_ZL9mul_mat_fI7__half2Li64ELi3ELi3ELb0EEvPKT_PKfPKiPfiiiiiiiiiiiiiiii,comdat
.Lfunc_end107:
	.size	_ZL9mul_mat_fI7__half2Li64ELi3ELi3ELb0EEvPKT_PKfPKiPfiiiiiiiiiiiiiiii, .Lfunc_end107-_ZL9mul_mat_fI7__half2Li64ELi3ELi3ELb0EEvPKT_PKfPKiPfiiiiiiiiiiiiiiii
                                        ; -- End function
	.set _ZL9mul_mat_fI7__half2Li64ELi3ELi3ELb0EEvPKT_PKfPKiPfiiiiiiiiiiiiiiii.num_vgpr, 104
	.set _ZL9mul_mat_fI7__half2Li64ELi3ELi3ELb0EEvPKT_PKfPKiPfiiiiiiiiiiiiiiii.num_agpr, 20
	.set _ZL9mul_mat_fI7__half2Li64ELi3ELi3ELb0EEvPKT_PKfPKiPfiiiiiiiiiiiiiiii.numbered_sgpr, 87
	.set _ZL9mul_mat_fI7__half2Li64ELi3ELi3ELb0EEvPKT_PKfPKiPfiiiiiiiiiiiiiiii.num_named_barrier, 0
	.set _ZL9mul_mat_fI7__half2Li64ELi3ELi3ELb0EEvPKT_PKfPKiPfiiiiiiiiiiiiiiii.private_seg_size, 0
	.set _ZL9mul_mat_fI7__half2Li64ELi3ELi3ELb0EEvPKT_PKfPKiPfiiiiiiiiiiiiiiii.uses_vcc, 1
	.set _ZL9mul_mat_fI7__half2Li64ELi3ELi3ELb0EEvPKT_PKfPKiPfiiiiiiiiiiiiiiii.uses_flat_scratch, 0
	.set _ZL9mul_mat_fI7__half2Li64ELi3ELi3ELb0EEvPKT_PKfPKiPfiiiiiiiiiiiiiiii.has_dyn_sized_stack, 0
	.set _ZL9mul_mat_fI7__half2Li64ELi3ELi3ELb0EEvPKT_PKfPKiPfiiiiiiiiiiiiiiii.has_recursion, 0
	.set _ZL9mul_mat_fI7__half2Li64ELi3ELi3ELb0EEvPKT_PKfPKiPfiiiiiiiiiiiiiiii.has_indirect_call, 0
	.section	.AMDGPU.csdata,"",@progbits
; Kernel info:
; codeLenInByte = 4636
; TotalNumSgprs: 93
; NumVgprs: 104
; NumAgprs: 20
; TotalNumVgprs: 124
; ScratchSize: 0
; MemoryBound: 0
; FloatMode: 240
; IeeeMode: 1
; LDSByteSize: 0 bytes/workgroup (compile time only)
; SGPRBlocks: 11
; VGPRBlocks: 15
; NumSGPRsForWavesPerEU: 93
; NumVGPRsForWavesPerEU: 124
; AccumOffset: 104
; Occupancy: 4
; WaveLimiterHint : 0
; COMPUTE_PGM_RSRC2:SCRATCH_EN: 0
; COMPUTE_PGM_RSRC2:USER_SGPR: 2
; COMPUTE_PGM_RSRC2:TRAP_HANDLER: 0
; COMPUTE_PGM_RSRC2:TGID_X_EN: 1
; COMPUTE_PGM_RSRC2:TGID_Y_EN: 1
; COMPUTE_PGM_RSRC2:TGID_Z_EN: 1
; COMPUTE_PGM_RSRC2:TIDIG_COMP_CNT: 1
; COMPUTE_PGM_RSRC3_GFX90A:ACCUM_OFFSET: 25
; COMPUTE_PGM_RSRC3_GFX90A:TG_SPLIT: 0
	.section	.text._ZL13mul_mat_f_idsI7__half2Li64ELi3ELi4EEvPKT_PKfPKiS7_S7_Pfiiiiiiiiiiiiii15HIP_vector_typeIjLj3EESA_,"axG",@progbits,_ZL13mul_mat_f_idsI7__half2Li64ELi3ELi4EEvPKT_PKfPKiS7_S7_Pfiiiiiiiiiiiiii15HIP_vector_typeIjLj3EESA_,comdat
	.globl	_ZL13mul_mat_f_idsI7__half2Li64ELi3ELi4EEvPKT_PKfPKiS7_S7_Pfiiiiiiiiiiiiii15HIP_vector_typeIjLj3EESA_ ; -- Begin function _ZL13mul_mat_f_idsI7__half2Li64ELi3ELi4EEvPKT_PKfPKiS7_S7_Pfiiiiiiiiiiiiii15HIP_vector_typeIjLj3EESA_
	.p2align	8
	.type	_ZL13mul_mat_f_idsI7__half2Li64ELi3ELi4EEvPKT_PKfPKiS7_S7_Pfiiiiiiiiiiiiii15HIP_vector_typeIjLj3EESA_,@function
_ZL13mul_mat_f_idsI7__half2Li64ELi3ELi4EEvPKT_PKfPKiS7_S7_Pfiiiiiiiiiiiiii15HIP_vector_typeIjLj3EESA_: ; @_ZL13mul_mat_f_idsI7__half2Li64ELi3ELi4EEvPKT_PKfPKiS7_S7_Pfiiiiiiiiiiiiii15HIP_vector_typeIjLj3EESA_
; %bb.0:
	s_load_dwordx2 s[6:7], s[0:1], 0x20
	s_mov_b32 s34, s3
	s_ashr_i32 s35, s3, 31
	s_lshl_b64 s[8:9], s[34:35], 2
	s_waitcnt lgkmcnt(0)
	s_add_u32 s6, s6, s8
	s_addc_u32 s7, s7, s9
	s_load_dwordx2 s[26:27], s[6:7], 0x0
	s_waitcnt lgkmcnt(0)
	s_sub_i32 s33, s27, s26
	s_add_i32 s3, s33, 2
	s_mul_hi_i32 s3, s3, 0x55555556
	s_lshr_b32 s5, s3, 31
	s_add_i32 s3, s3, s5
	s_cmp_ge_i32 s4, s3
	s_cbranch_scc1 .LBB108_20
; %bb.1:
	v_bfe_u32 v69, v0, 10, 10
	v_lshlrev_b32_e32 v70, 6, v69
	v_and_b32_e32 v68, 0x3ff, v0
	s_load_dwordx4 s[12:15], s[0:1], 0x30
	s_load_dwordx2 s[20:21], s[0:1], 0x40
	s_load_dwordx4 s[8:11], s[0:1], 0x4c
	s_load_dwordx4 s[16:19], s[0:1], 0x68
	s_load_dwordx2 s[24:25], s[0:1], 0x78
	v_add_u32_e32 v72, v70, v68
	s_ashr_i32 s27, s26, 31
	s_waitcnt lgkmcnt(0)
	v_cmp_le_i32_e32 vcc, s12, v72
	v_and_b32_e32 v71, 15, v68
	s_and_saveexec_b64 s[6:7], vcc
	s_xor_b64 s[6:7], exec, s[6:7]
; %bb.2:
	v_and_b32_e32 v71, 15, v68
                                        ; implicit-def: $vgpr72
; %bb.3:
	s_or_saveexec_b64 s[30:31], s[6:7]
	s_load_dwordx2 s[6:7], s[0:1], 0x18
                                        ; implicit-def: $vgpr82 : SGPR spill to VGPR lane
	s_lshl_b32 s11, s2, 6
	s_mul_i32 s2, s4, 3
	v_mov_b32_e32 v1, 0
	v_accvgpr_write_b32 a4, 0
	s_waitcnt lgkmcnt(0)
	v_writelane_b32 v82, s6, 0
	v_accvgpr_write_b32 a5, 0
	v_accvgpr_write_b32 a6, 0
	v_writelane_b32 v82, s7, 1
	s_load_dwordx2 s[6:7], s[0:1], 0x28
	v_accvgpr_write_b32 a7, 0
	v_accvgpr_write_b32 a0, 0
	;; [unrolled: 1-line block ×4, first 2 shown]
	s_waitcnt lgkmcnt(0)
	v_writelane_b32 v82, s6, 2
	v_accvgpr_write_b32 a3, 0
	v_accvgpr_write_b32 a8, 0
	;; [unrolled: 1-line block ×9, first 2 shown]
	v_writelane_b32 v82, s7, 3
	s_xor_b64 exec, exec, s[30:31]
	s_cbranch_execz .LBB108_16
; %bb.4:
	s_load_dwordx4 s[4:7], s[0:1], 0x0
	s_load_dwordx2 s[22:23], s[0:1], 0x10
	s_mul_i32 s0, s8, s34
	s_ashr_i32 s1, s0, 31
	v_writelane_b32 v82, s24, 4
	s_lshl_b64 s[44:45], s[0:1], 2
	s_waitcnt lgkmcnt(0)
	s_add_u32 s0, s4, s44
	v_writelane_b32 v82, s25, 5
	s_mul_i32 s24, s15, s11
	s_addc_u32 s1, s5, s45
	s_ashr_i32 s25, s24, 31
	s_lshl_b64 s[46:47], s[24:25], 2
	s_add_u32 s0, s0, s46
	s_addc_u32 s1, s1, s47
	s_lshl_b64 s[24:25], s[26:27], 2
	s_add_u32 s8, s22, s24
	s_addc_u32 s24, s23, s25
	s_movk_i32 s3, 0x1080
	s_cmp_lt_i32 s2, s33
	v_mad_u32_u24 v0, v69, s3, 0
	s_cselect_b64 s[34:35], -1, 0
	s_ashr_i32 s3, s2, 31
	s_lshl_b64 s[22:23], s[2:3], 2
	s_add_u32 s36, s8, s22
	s_addc_u32 s37, s24, s23
	s_add_i32 s3, s2, 1
	s_cmp_lt_i32 s3, s33
	s_cselect_b64 s[38:39], -1, 0
	s_add_i32 s3, s2, 2
	s_cmp_lt_i32 s3, s33
	s_cselect_b64 s[40:41], -1, 0
	s_ashr_i32 s23, s15, 31
	s_mov_b32 s22, s15
	v_lshrrev_b32_e32 v4, 1, v68
	s_add_i32 s3, s15, s15
	s_lshl_b32 s48, s15, 2
	s_lshl_b32 s52, s15, 3
	;; [unrolled: 1-line block ×4, first 2 shown]
	s_lshl_b64 s[42:43], s[22:23], 2
	v_lshlrev_b32_e32 v2, 2, v68
	v_mul_u32_u24_e32 v3, 0x108, v71
	v_and_b32_e32 v4, 0x1f8, v4
	s_add_u32 s22, s44, s46
	v_add_u32_e32 v73, v0, v2
	v_add3_u32 v74, v0, v3, v4
	s_addc_u32 s23, s45, s47
	v_lshlrev_b32_e32 v0, 8, v69
	v_lshl_add_u64 v[4:5], s[22:23], 0, v[0:1]
	v_mov_b32_e32 v3, v1
	v_lshl_add_u64 v[2:3], v[4:5], 0, v[2:3]
	s_mul_i32 s8, s15, 3
	s_mul_i32 s49, s15, 5
	;; [unrolled: 1-line block ×43, first 2 shown]
	v_accvgpr_write_b32 a15, 0
	v_accvgpr_write_b32 a14, 0
	;; [unrolled: 1-line block ×16, first 2 shown]
	v_lshl_add_u64 v[2:3], s[4:5], 0, v[2:3]
	s_mul_i32 s90, s15, 50
	s_mul_i32 s91, s15, 51
	;; [unrolled: 1-line block ×14, first 2 shown]
	s_mov_b32 s23, 0x5040100
	s_mov_b64 s[4:5], 0
	s_branch .LBB108_6
.LBB108_5:                              ;   in Loop: Header=BB108_6 Depth=1
	v_perm_b32 v0, v0, v75, s23
	v_perm_b32 v75, v77, v78, s23
	ds_write2_b32 v73, v0, v75 offset1:66
	v_perm_b32 v0, v79, v76, s23
	ds_write2_b32 v73, v0, v1 offset0:132 offset1:198
	v_add_u32_e32 v0, 0x400, v73
	ds_write2_b32 v0, v1, v1 offset0:8 offset1:74
	ds_write2_b32 v0, v1, v1 offset0:140 offset1:206
	v_add_u32_e32 v0, 0x800, v73
	ds_write2_b32 v0, v1, v1 offset0:16 offset1:82
	;; [unrolled: 3-line block ×3, first 2 shown]
	ds_write2_b32 v0, v1, v1 offset0:156 offset1:222
	ds_read2_b64 v[76:79], v74 offset1:4
	s_waitcnt lgkmcnt(0)
	v_mfma_f32_16x16x16_f16 a[4:7], v[10:11], v[76:77], a[4:7]
	v_add_u32_e32 v72, 0x100, v72
	s_mov_b64 vcc, 0x400
	v_lshl_add_u64 v[2:3], v[2:3], 0, vcc
	v_mfma_f32_16x16x16_f16 a[0:3], v[36:37], v[76:77], a[0:3]
	v_cmp_le_i32_e32 vcc, s12, v72
	s_or_b64 s[4:5], vcc, s[4:5]
	v_mfma_f32_16x16x16_f16 a[8:11], v[50:51], v[76:77], a[8:11]
	v_mfma_f32_16x16x16_f16 a[12:15], v[66:67], v[76:77], a[12:15]
	;; [unrolled: 1-line block ×3, first 2 shown]
	ds_read2_b64 v[8:11], v74 offset0:8 offset1:12
	v_mfma_f32_16x16x16_f16 a[0:3], v[34:35], v[78:79], a[0:3]
	v_mfma_f32_16x16x16_f16 a[8:11], v[48:49], v[78:79], a[8:11]
	;; [unrolled: 1-line block ×3, first 2 shown]
	s_waitcnt lgkmcnt(0)
	v_mfma_f32_16x16x16_f16 a[4:7], v[6:7], v[8:9], a[4:7]
	v_mfma_f32_16x16x16_f16 a[0:3], v[30:31], v[8:9], a[0:3]
	;; [unrolled: 1-line block ×5, first 2 shown]
	ds_read2_b64 v[4:7], v74 offset0:16 offset1:20
	v_mfma_f32_16x16x16_f16 a[0:3], v[28:29], v[10:11], a[0:3]
	v_mfma_f32_16x16x16_f16 a[8:11], v[44:45], v[10:11], a[8:11]
	;; [unrolled: 1-line block ×3, first 2 shown]
	s_waitcnt lgkmcnt(0)
	v_mfma_f32_16x16x16_f16 a[4:7], v[18:19], v[4:5], a[4:7]
	v_mfma_f32_16x16x16_f16 a[0:3], v[26:27], v[4:5], a[0:3]
	v_mfma_f32_16x16x16_f16 a[8:11], v[42:43], v[4:5], a[8:11]
	v_mfma_f32_16x16x16_f16 a[12:15], v[62:63], v[4:5], a[12:15]
	v_mfma_f32_16x16x16_f16 a[4:7], v[16:17], v[6:7], a[4:7]
	v_mfma_f32_16x16x16_f16 a[0:3], v[24:25], v[6:7], a[0:3]
	v_mfma_f32_16x16x16_f16 a[8:11], v[40:41], v[6:7], a[8:11]
	v_mfma_f32_16x16x16_f16 a[12:15], v[58:59], v[6:7], a[12:15]
	ds_read2_b64 v[4:7], v74 offset0:24 offset1:28
	s_waitcnt lgkmcnt(0)
	v_mfma_f32_16x16x16_f16 a[4:7], v[14:15], v[4:5], a[4:7]
	v_mfma_f32_16x16x16_f16 a[0:3], v[22:23], v[4:5], a[0:3]
	;; [unrolled: 1-line block ×8, first 2 shown]
	s_andn2_b64 exec, exec, s[4:5]
	s_cbranch_execz .LBB108_15
.LBB108_6:                              ; =>This Inner Loop Header: Depth=1
	v_lshl_add_u64 v[4:5], v[2:3], 0, s[42:43]
	global_load_dword v0, v[2:3], off
	global_load_dword v20, v[4:5], off
	v_add_u32_e32 v4, s3, v72
	v_add_u32_e32 v8, s48, v72
	;; [unrolled: 1-line block ×4, first 2 shown]
	v_ashrrev_i32_e32 v5, 31, v4
	v_add_u32_e32 v6, s8, v72
	v_ashrrev_i32_e32 v9, 31, v8
	v_ashrrev_i32_e32 v11, 31, v10
	v_add_u32_e32 v12, s50, v72
	v_add_u32_e32 v14, s51, v72
	v_ashrrev_i32_e32 v17, 31, v16
	v_add_u32_e32 v18, s53, v72
	v_lshl_add_u64 v[4:5], v[4:5], 2, s[0:1]
	v_ashrrev_i32_e32 v7, 31, v6
	v_lshl_add_u64 v[8:9], v[8:9], 2, s[0:1]
	v_lshl_add_u64 v[10:11], v[10:11], 2, s[0:1]
	v_ashrrev_i32_e32 v13, 31, v12
	v_ashrrev_i32_e32 v15, 31, v14
	v_lshl_add_u64 v[16:17], v[16:17], 2, s[0:1]
	v_ashrrev_i32_e32 v19, 31, v18
	v_lshl_add_u64 v[6:7], v[6:7], 2, s[0:1]
	v_lshl_add_u64 v[12:13], v[12:13], 2, s[0:1]
	;; [unrolled: 1-line block ×4, first 2 shown]
	global_load_dword v21, v[4:5], off
	global_load_dword v22, v[6:7], off
	;; [unrolled: 1-line block ×6, first 2 shown]
	s_nop 0
	global_load_dword v16, v[16:17], off
	s_nop 0
	global_load_dword v17, v[18:19], off
	v_add_u32_e32 v4, s54, v72
	v_add_u32_e32 v8, s56, v72
	;; [unrolled: 1-line block ×3, first 2 shown]
	v_ashrrev_i32_e32 v5, 31, v4
	v_add_u32_e32 v6, s55, v72
	v_ashrrev_i32_e32 v9, 31, v8
	v_ashrrev_i32_e32 v11, 31, v10
	v_add_u32_e32 v12, s58, v72
	v_add_u32_e32 v14, s59, v72
	v_lshl_add_u64 v[4:5], v[4:5], 2, s[0:1]
	v_ashrrev_i32_e32 v7, 31, v6
	v_lshl_add_u64 v[8:9], v[8:9], 2, s[0:1]
	v_lshl_add_u64 v[10:11], v[10:11], 2, s[0:1]
	v_ashrrev_i32_e32 v13, 31, v12
	v_ashrrev_i32_e32 v15, 31, v14
	v_lshl_add_u64 v[6:7], v[6:7], 2, s[0:1]
	v_lshl_add_u64 v[12:13], v[12:13], 2, s[0:1]
	;; [unrolled: 1-line block ×3, first 2 shown]
	global_load_dword v18, v[4:5], off
	global_load_dword v19, v[6:7], off
	s_nop 0
	global_load_dword v8, v[8:9], off
	s_nop 0
	;; [unrolled: 2-line block ×3, first 2 shown]
	global_load_dword v10, v[12:13], off
	global_load_dword v11, v[14:15], off
	v_add_u32_e32 v4, s60, v72
	v_add_u32_e32 v6, s61, v72
	v_ashrrev_i32_e32 v5, 31, v4
	v_ashrrev_i32_e32 v7, 31, v6
	v_lshl_add_u64 v[4:5], v[4:5], 2, s[0:1]
	v_add_u32_e32 v12, s62, v72
	v_lshl_add_u64 v[6:7], v[6:7], 2, s[0:1]
	global_load_dword v28, v[4:5], off
	global_load_dword v29, v[6:7], off
	v_ashrrev_i32_e32 v13, 31, v12
	v_add_u32_e32 v14, s63, v72
	v_lshl_add_u64 v[12:13], v[12:13], 2, s[0:1]
	v_ashrrev_i32_e32 v15, 31, v14
	v_lshl_add_u64 v[14:15], v[14:15], 2, s[0:1]
	s_andn2_b64 vcc, exec, s[34:35]
	s_waitcnt vmcnt(17)
	ds_write_b32 v73, v0
	s_waitcnt vmcnt(16)
	ds_write_b32 v73, v20 offset:264
	s_waitcnt vmcnt(15)
	ds_write_b32 v73, v21 offset:528
	;; [unrolled: 2-line block ×15, first 2 shown]
	v_add_u32_e32 v16, s64, v72
	v_add_u32_e32 v18, s65, v72
	;; [unrolled: 1-line block ×6, first 2 shown]
	v_ashrrev_i32_e32 v17, 31, v16
	v_ashrrev_i32_e32 v19, 31, v18
	;; [unrolled: 1-line block ×6, first 2 shown]
	ds_read_b64 v[10:11], v74
	ds_read_b64 v[8:9], v74 offset:32
	ds_read_b64 v[6:7], v74 offset:64
	;; [unrolled: 1-line block ×3, first 2 shown]
	v_lshl_add_u64 v[16:17], v[16:17], 2, s[0:1]
	v_lshl_add_u64 v[18:19], v[18:19], 2, s[0:1]
	v_lshl_add_u64 v[20:21], v[20:21], 2, s[0:1]
	v_lshl_add_u64 v[22:23], v[22:23], 2, s[0:1]
	v_lshl_add_u64 v[24:25], v[24:25], 2, s[0:1]
	v_lshl_add_u64 v[26:27], v[26:27], 2, s[0:1]
	global_load_dword v0, v[12:13], off
	global_load_dword v30, v[14:15], off
	global_load_dword v31, v[16:17], off
	global_load_dword v32, v[18:19], off
	global_load_dword v33, v[20:21], off
	global_load_dword v34, v[22:23], off
	global_load_dword v35, v[24:25], off
	global_load_dword v36, v[26:27], off
	v_add_u32_e32 v12, s70, v72
	v_ashrrev_i32_e32 v13, 31, v12
	v_add_u32_e32 v14, s71, v72
	v_add_u32_e32 v16, s72, v72
	v_add_u32_e32 v18, s73, v72
	v_add_u32_e32 v20, s74, v72
	v_add_u32_e32 v22, s75, v72
	v_add_u32_e32 v24, s76, v72
	v_add_u32_e32 v26, s77, v72
	v_lshl_add_u64 v[12:13], v[12:13], 2, s[0:1]
	v_ashrrev_i32_e32 v15, 31, v14
	v_ashrrev_i32_e32 v17, 31, v16
	v_ashrrev_i32_e32 v19, 31, v18
	v_ashrrev_i32_e32 v21, 31, v20
	v_ashrrev_i32_e32 v23, 31, v22
	v_ashrrev_i32_e32 v25, 31, v24
	v_ashrrev_i32_e32 v27, 31, v26
	v_lshl_add_u64 v[14:15], v[14:15], 2, s[0:1]
	v_lshl_add_u64 v[16:17], v[16:17], 2, s[0:1]
	v_lshl_add_u64 v[18:19], v[18:19], 2, s[0:1]
	v_lshl_add_u64 v[20:21], v[20:21], 2, s[0:1]
	v_lshl_add_u64 v[22:23], v[22:23], 2, s[0:1]
	v_lshl_add_u64 v[24:25], v[24:25], 2, s[0:1]
	v_lshl_add_u64 v[26:27], v[26:27], 2, s[0:1]
	global_load_dword v37, v[12:13], off
	global_load_dword v38, v[14:15], off
	global_load_dword v39, v[16:17], off
	global_load_dword v40, v[18:19], off
	global_load_dword v41, v[20:21], off
	global_load_dword v42, v[22:23], off
	global_load_dword v43, v[24:25], off
	global_load_dword v44, v[26:27], off
	v_add_u32_e32 v12, s78, v72
	v_ashrrev_i32_e32 v13, 31, v12
	v_add_u32_e32 v14, s79, v72
	v_add_u32_e32 v16, s80, v72
	v_add_u32_e32 v18, s81, v72
	v_add_u32_e32 v20, s82, v72
	v_add_u32_e32 v22, s83, v72
	v_add_u32_e32 v24, s84, v72
	v_add_u32_e32 v26, s85, v72
	v_lshl_add_u64 v[12:13], v[12:13], 2, s[0:1]
	v_ashrrev_i32_e32 v15, 31, v14
	v_ashrrev_i32_e32 v17, 31, v16
	v_ashrrev_i32_e32 v19, 31, v18
	v_ashrrev_i32_e32 v21, 31, v20
	v_ashrrev_i32_e32 v23, 31, v22
	v_ashrrev_i32_e32 v25, 31, v24
	v_ashrrev_i32_e32 v27, 31, v26
	v_lshl_add_u64 v[14:15], v[14:15], 2, s[0:1]
	;; [unrolled: 32-line block ×4, first 2 shown]
	v_lshl_add_u64 v[16:17], v[16:17], 2, s[0:1]
	v_lshl_add_u64 v[18:19], v[18:19], 2, s[0:1]
	;; [unrolled: 1-line block ×6, first 2 shown]
	global_load_dword v61, v[12:13], off
	global_load_dword v62, v[14:15], off
	;; [unrolled: 1-line block ×8, first 2 shown]
	v_add_u32_e32 v12, s98, v72
	v_ashrrev_i32_e32 v13, 31, v12
	v_add_u32_e32 v14, s99, v72
	v_add_u32_e32 v16, s24, v72
	;; [unrolled: 1-line block ×5, first 2 shown]
	v_lshl_add_u64 v[12:13], v[12:13], 2, s[0:1]
	v_ashrrev_i32_e32 v15, 31, v14
	v_ashrrev_i32_e32 v17, 31, v16
	;; [unrolled: 1-line block ×5, first 2 shown]
	v_lshl_add_u64 v[14:15], v[14:15], 2, s[0:1]
	v_lshl_add_u64 v[16:17], v[16:17], 2, s[0:1]
	;; [unrolled: 1-line block ×5, first 2 shown]
	global_load_dword v76, v[12:13], off
	global_load_dword v77, v[14:15], off
	;; [unrolled: 1-line block ×6, first 2 shown]
	ds_read_b64 v[18:19], v74 offset:128
	ds_read_b64 v[16:17], v74 offset:160
	ds_read_b64 v[14:15], v74 offset:192
	ds_read_b64 v[12:13], v74 offset:224
	s_waitcnt vmcnt(47)
	ds_write_b32 v73, v28
	s_waitcnt vmcnt(46)
	ds_write_b32 v73, v29 offset:264
	s_waitcnt vmcnt(45)
	ds_write_b32 v73, v0 offset:528
	s_waitcnt vmcnt(44)
	ds_write_b32 v73, v30 offset:792
	s_waitcnt vmcnt(43)
	ds_write_b32 v73, v31 offset:1056
	s_waitcnt vmcnt(42)
	ds_write_b32 v73, v32 offset:1320
	s_waitcnt vmcnt(41)
	ds_write_b32 v73, v33 offset:1584
	s_waitcnt vmcnt(40)
	ds_write_b32 v73, v34 offset:1848
	s_waitcnt vmcnt(39)
	ds_write_b32 v73, v35 offset:2112
	s_waitcnt vmcnt(38)
	ds_write_b32 v73, v36 offset:2376
	s_waitcnt vmcnt(37)
	ds_write_b32 v73, v37 offset:2640
	s_waitcnt vmcnt(36)
	ds_write_b32 v73, v38 offset:2904
	s_waitcnt vmcnt(35)
	ds_write_b32 v73, v39 offset:3168
	s_waitcnt vmcnt(34)
	ds_write_b32 v73, v40 offset:3432
	s_waitcnt vmcnt(33)
	ds_write_b32 v73, v41 offset:3696
	s_waitcnt vmcnt(32)
	ds_write_b32 v73, v42 offset:3960
	ds_read_b64 v[36:37], v74
	ds_read_b64 v[34:35], v74 offset:32
	ds_read_b64 v[30:31], v74 offset:64
	ds_read_b64 v[28:29], v74 offset:96
	ds_read_b64 v[26:27], v74 offset:128
	ds_read_b64 v[24:25], v74 offset:160
	ds_read_b64 v[22:23], v74 offset:192
	ds_read_b64 v[20:21], v74 offset:224
	s_waitcnt vmcnt(31)
	ds_write_b32 v73, v43
	s_waitcnt vmcnt(30)
	ds_write_b32 v73, v44 offset:264
	s_waitcnt vmcnt(29)
	ds_write_b32 v73, v45 offset:528
	s_waitcnt vmcnt(28)
	ds_write_b32 v73, v46 offset:792
	s_waitcnt vmcnt(27)
	ds_write_b32 v73, v47 offset:1056
	s_waitcnt vmcnt(26)
	ds_write_b32 v73, v48 offset:1320
	s_waitcnt vmcnt(25)
	ds_write_b32 v73, v49 offset:1584
	s_waitcnt vmcnt(24)
	ds_write_b32 v73, v50 offset:1848
	s_waitcnt vmcnt(23)
	ds_write_b32 v73, v51 offset:2112
	s_waitcnt vmcnt(22)
	ds_write_b32 v73, v52 offset:2376
	s_waitcnt vmcnt(21)
	ds_write_b32 v73, v53 offset:2640
	s_waitcnt vmcnt(20)
	ds_write_b32 v73, v54 offset:2904
	s_waitcnt vmcnt(19)
	ds_write_b32 v73, v55 offset:3168
	s_waitcnt vmcnt(18)
	ds_write_b32 v73, v56 offset:3432
	s_waitcnt vmcnt(17)
	ds_write_b32 v73, v57 offset:3696
	s_waitcnt vmcnt(16)
	ds_write_b32 v73, v58 offset:3960
	ds_read_b64 v[50:51], v74
	ds_read_b64 v[48:49], v74 offset:32
	ds_read_b64 v[46:47], v74 offset:64
	ds_read_b64 v[44:45], v74 offset:96
	;; [unrolled: 40-line block ×3, first 2 shown]
	ds_read_b64 v[62:63], v74 offset:128
	ds_read_b64 v[58:59], v74 offset:160
	;; [unrolled: 1-line block ×4, first 2 shown]
	v_mov_b32_e32 v75, 0
	v_mov_b32_e32 v0, 0
	s_cbranch_vccnz .LBB108_9
; %bb.7:                                ;   in Loop: Header=BB108_6 Depth=1
	s_load_dword vcc_lo, s[36:37], 0x0
	v_mov_b32_e32 v0, 0
	v_mov_b32_e32 v75, 0
	s_waitcnt lgkmcnt(0)
	s_mul_hi_u32 vcc_hi, vcc_lo, s16
	s_add_i32 vcc_hi, vcc_lo, vcc_hi
	s_lshr_b32 s28, vcc_hi, s17
	s_cmp_ge_i32 s28, s13
	s_cbranch_scc1 .LBB108_9
; %bb.8:                                ;   in Loop: Header=BB108_6 Depth=1
	s_mul_i32 vcc_hi, s28, s18
	s_sub_i32 s29, vcc_lo, vcc_hi
	s_mul_i32 s28, s28, s20
	s_mul_i32 s29, s29, s9
	v_add_u32_e32 v0, s28, v72
	v_lshl_add_u32 v76, v0, 1, s29
	v_ashrrev_i32_e32 v77, 31, v76
	v_lshl_add_u64 v[76:77], v[76:77], 2, s[6:7]
	global_load_dwordx2 v[76:77], v[76:77], off
	s_waitcnt vmcnt(0)
	v_cvt_f16_f32_e32 v75, v76
	v_cvt_f16_f32_e32 v0, v77
.LBB108_9:                              ;   in Loop: Header=BB108_6 Depth=1
	v_mov_b32_e32 v76, 0
	s_andn2_b64 vcc, exec, s[38:39]
	v_mov_b32_e32 v78, 0
	v_mov_b32_e32 v77, 0
	s_cbranch_vccnz .LBB108_12
; %bb.10:                               ;   in Loop: Header=BB108_6 Depth=1
	s_load_dword vcc_lo, s[36:37], 0x4
	v_mov_b32_e32 v77, 0
	v_mov_b32_e32 v78, 0
	s_waitcnt lgkmcnt(0)
	s_mul_hi_u32 s28, vcc_lo, s16
	s_add_i32 s28, vcc_lo, s28
	s_lshr_b32 vcc_hi, s28, s17
	s_cmp_ge_i32 vcc_hi, s13
	s_cbranch_scc1 .LBB108_12
; %bb.11:                               ;   in Loop: Header=BB108_6 Depth=1
	s_mul_i32 s28, vcc_hi, s18
	s_sub_i32 s28, vcc_lo, s28
	s_mul_i32 vcc_hi, vcc_hi, s20
	s_mul_i32 s28, s28, s9
	v_add_u32_e32 v77, vcc_hi, v72
	v_lshl_add_u32 v78, v77, 1, s28
	v_ashrrev_i32_e32 v79, 31, v78
	v_lshl_add_u64 v[78:79], v[78:79], 2, s[6:7]
	global_load_dwordx2 v[78:79], v[78:79], off
	s_waitcnt vmcnt(0)
	v_cvt_f16_f32_e32 v78, v78
	v_cvt_f16_f32_e32 v77, v79
.LBB108_12:                             ;   in Loop: Header=BB108_6 Depth=1
	s_andn2_b64 vcc, exec, s[40:41]
	v_mov_b32_e32 v79, 0
	s_cbranch_vccnz .LBB108_5
; %bb.13:                               ;   in Loop: Header=BB108_6 Depth=1
	s_load_dword vcc_lo, s[36:37], 0x8
	v_mov_b32_e32 v79, 0
	v_mov_b32_e32 v76, 0
	s_waitcnt lgkmcnt(0)
	s_mul_hi_u32 s28, vcc_lo, s16
	s_add_i32 s28, vcc_lo, s28
	s_lshr_b32 vcc_hi, s28, s17
	s_cmp_ge_i32 vcc_hi, s13
	s_cbranch_scc1 .LBB108_5
; %bb.14:                               ;   in Loop: Header=BB108_6 Depth=1
	s_mul_i32 s28, vcc_hi, s18
	s_sub_i32 s28, vcc_lo, s28
	s_mul_i32 vcc_hi, vcc_hi, s20
	s_mul_i32 s28, s28, s9
	v_add_u32_e32 v76, vcc_hi, v72
	v_lshl_add_u32 v80, v76, 1, s28
	v_ashrrev_i32_e32 v81, 31, v80
	v_lshl_add_u64 v[80:81], v[80:81], 2, s[6:7]
	global_load_dwordx2 v[80:81], v[80:81], off
	s_waitcnt vmcnt(0)
	v_cvt_f16_f32_e32 v76, v80
	v_cvt_f16_f32_e32 v79, v81
	s_branch .LBB108_5
.LBB108_15:
	s_or_b64 exec, exec, s[4:5]
	v_readlane_b32 s24, v82, 4
	v_readlane_b32 s25, v82, 5
.LBB108_16:
	s_or_b64 exec, exec, s[30:31]
	v_lshl_add_u32 v0, v70, 2, 0
	v_mul_u32_u24_e32 v1, 0x408, v71
	v_and_b32_e32 v2, 0x3f0, v68
	v_add3_u32 v0, v0, v1, v2
	v_accvgpr_read_b32 v1, a5
	v_accvgpr_read_b32 v2, a4
	s_barrier
	ds_write2_b32 v0, v2, v1 offset1:1
	v_accvgpr_read_b32 v1, a7
	v_accvgpr_read_b32 v2, a6
	ds_write2_b32 v0, v2, v1 offset0:2 offset1:3
	v_accvgpr_read_b32 v1, a1
	v_accvgpr_read_b32 v2, a0
	ds_write2_b32 v0, v2, v1 offset0:16 offset1:17
	v_accvgpr_read_b32 v1, a3
	v_accvgpr_read_b32 v2, a2
	ds_write2_b32 v0, v2, v1 offset0:18 offset1:19
	v_accvgpr_read_b32 v1, a9
	v_accvgpr_read_b32 v2, a8
	ds_write2_b32 v0, v2, v1 offset0:32 offset1:33
	v_accvgpr_read_b32 v1, a11
	v_accvgpr_read_b32 v2, a10
	ds_write2_b32 v0, v2, v1 offset0:34 offset1:35
	v_accvgpr_read_b32 v1, a13
	v_accvgpr_read_b32 v2, a12
	ds_write2_b32 v0, v2, v1 offset0:48 offset1:49
	v_accvgpr_read_b32 v1, a15
	v_accvgpr_read_b32 v2, a14
	v_cmp_gt_u32_e32 vcc, 3, v69
	ds_write2_b32 v0, v2, v1 offset0:50 offset1:51
	s_waitcnt lgkmcnt(0)
	s_barrier
	s_and_saveexec_b64 s[0:1], vcc
	s_cbranch_execz .LBB108_20
; %bb.17:
	v_add_u32_e32 v0, s2, v69
	s_cmp_gt_i32 s14, 0
	v_cmp_gt_i32_e32 vcc, s33, v0
	s_cselect_b64 s[0:1], -1, 0
	s_and_b64 s[0:1], s[0:1], vcc
	s_and_b64 exec, exec, s[0:1]
	s_cbranch_execz .LBB108_20
; %bb.18:
	s_lshl_b64 s[0:1], s[26:27], 2
	v_readlane_b32 s2, v82, 0
	v_readlane_b32 s3, v82, 1
	s_add_u32 s0, s2, s0
	s_addc_u32 s1, s3, s1
	v_ashrrev_i32_e32 v1, 31, v0
	v_lshl_add_u64 v[0:1], v[0:1], 2, s[0:1]
	global_load_dword v0, v[0:1], off
	s_waitcnt vmcnt(0)
	v_mul_hi_u32 v1, v0, s19
	v_add_u32_e32 v1, v0, v1
	v_lshrrev_b32_e32 v1, s24, v1
	v_cmp_gt_i32_e32 vcc, s13, v1
	s_and_b64 exec, exec, vcc
	s_cbranch_execz .LBB108_20
; %bb.19:
	v_lshlrev_b32_e32 v2, 2, v68
	v_mul_u32_u24_e32 v3, 0x408, v69
	v_add3_u32 v4, 0, v2, v3
	ds_read2st64_b32 v[2:3], v4 offset1:1
	ds_read2st64_b32 v[4:5], v4 offset0:2 offset1:3
	v_mul_lo_u32 v7, v1, s25
	v_sub_u32_e32 v0, v0, v7
	v_add_u32_e32 v6, s11, v68
	s_waitcnt lgkmcnt(1)
	v_add_f32_e32 v2, 0, v2
	v_add_f32_e32 v2, v2, v3
	v_mul_lo_u32 v0, v0, s10
	v_mul_lo_u32 v1, v1, s21
	v_readlane_b32 s0, v82, 2
	s_waitcnt lgkmcnt(0)
	v_add_f32_e32 v2, v2, v4
	v_add3_u32 v0, v6, v1, v0
	v_mov_b32_e32 v1, 0
	v_readlane_b32 s1, v82, 3
	v_add_f32_e32 v2, v2, v5
	s_nop 0
	v_lshl_add_u64 v[0:1], v[0:1], 2, s[0:1]
	global_store_dword v[0:1], v2, off
.LBB108_20:
	s_endpgm
	.section	.rodata,"a",@progbits
	.p2align	6, 0x0
	.amdhsa_kernel _ZL13mul_mat_f_idsI7__half2Li64ELi3ELi4EEvPKT_PKfPKiS7_S7_Pfiiiiiiiiiiiiii15HIP_vector_typeIjLj3EESA_
		.amdhsa_group_segment_fixed_size 0
		.amdhsa_private_segment_fixed_size 0
		.amdhsa_kernarg_size 128
		.amdhsa_user_sgpr_count 2
		.amdhsa_user_sgpr_dispatch_ptr 0
		.amdhsa_user_sgpr_queue_ptr 0
		.amdhsa_user_sgpr_kernarg_segment_ptr 1
		.amdhsa_user_sgpr_dispatch_id 0
		.amdhsa_user_sgpr_kernarg_preload_length 0
		.amdhsa_user_sgpr_kernarg_preload_offset 0
		.amdhsa_user_sgpr_private_segment_size 0
		.amdhsa_uses_dynamic_stack 0
		.amdhsa_enable_private_segment 0
		.amdhsa_system_sgpr_workgroup_id_x 1
		.amdhsa_system_sgpr_workgroup_id_y 1
		.amdhsa_system_sgpr_workgroup_id_z 1
		.amdhsa_system_sgpr_workgroup_info 0
		.amdhsa_system_vgpr_workitem_id 1
		.amdhsa_next_free_vgpr 100
		.amdhsa_next_free_sgpr 100
		.amdhsa_accum_offset 84
		.amdhsa_reserve_vcc 1
		.amdhsa_float_round_mode_32 0
		.amdhsa_float_round_mode_16_64 0
		.amdhsa_float_denorm_mode_32 3
		.amdhsa_float_denorm_mode_16_64 3
		.amdhsa_dx10_clamp 1
		.amdhsa_ieee_mode 1
		.amdhsa_fp16_overflow 0
		.amdhsa_tg_split 0
		.amdhsa_exception_fp_ieee_invalid_op 0
		.amdhsa_exception_fp_denorm_src 0
		.amdhsa_exception_fp_ieee_div_zero 0
		.amdhsa_exception_fp_ieee_overflow 0
		.amdhsa_exception_fp_ieee_underflow 0
		.amdhsa_exception_fp_ieee_inexact 0
		.amdhsa_exception_int_div_zero 0
	.end_amdhsa_kernel
	.section	.text._ZL13mul_mat_f_idsI7__half2Li64ELi3ELi4EEvPKT_PKfPKiS7_S7_Pfiiiiiiiiiiiiii15HIP_vector_typeIjLj3EESA_,"axG",@progbits,_ZL13mul_mat_f_idsI7__half2Li64ELi3ELi4EEvPKT_PKfPKiS7_S7_Pfiiiiiiiiiiiiii15HIP_vector_typeIjLj3EESA_,comdat
.Lfunc_end108:
	.size	_ZL13mul_mat_f_idsI7__half2Li64ELi3ELi4EEvPKT_PKfPKiS7_S7_Pfiiiiiiiiiiiiii15HIP_vector_typeIjLj3EESA_, .Lfunc_end108-_ZL13mul_mat_f_idsI7__half2Li64ELi3ELi4EEvPKT_PKfPKiS7_S7_Pfiiiiiiiiiiiiii15HIP_vector_typeIjLj3EESA_
                                        ; -- End function
	.set _ZL13mul_mat_f_idsI7__half2Li64ELi3ELi4EEvPKT_PKfPKiS7_S7_Pfiiiiiiiiiiiiii15HIP_vector_typeIjLj3EESA_.num_vgpr, 83
	.set _ZL13mul_mat_f_idsI7__half2Li64ELi3ELi4EEvPKT_PKfPKiS7_S7_Pfiiiiiiiiiiiiii15HIP_vector_typeIjLj3EESA_.num_agpr, 16
	.set _ZL13mul_mat_f_idsI7__half2Li64ELi3ELi4EEvPKT_PKfPKiS7_S7_Pfiiiiiiiiiiiiii15HIP_vector_typeIjLj3EESA_.numbered_sgpr, 100
	.set _ZL13mul_mat_f_idsI7__half2Li64ELi3ELi4EEvPKT_PKfPKiS7_S7_Pfiiiiiiiiiiiiii15HIP_vector_typeIjLj3EESA_.num_named_barrier, 0
	.set _ZL13mul_mat_f_idsI7__half2Li64ELi3ELi4EEvPKT_PKfPKiS7_S7_Pfiiiiiiiiiiiiii15HIP_vector_typeIjLj3EESA_.private_seg_size, 0
	.set _ZL13mul_mat_f_idsI7__half2Li64ELi3ELi4EEvPKT_PKfPKiS7_S7_Pfiiiiiiiiiiiiii15HIP_vector_typeIjLj3EESA_.uses_vcc, 1
	.set _ZL13mul_mat_f_idsI7__half2Li64ELi3ELi4EEvPKT_PKfPKiS7_S7_Pfiiiiiiiiiiiiii15HIP_vector_typeIjLj3EESA_.uses_flat_scratch, 0
	.set _ZL13mul_mat_f_idsI7__half2Li64ELi3ELi4EEvPKT_PKfPKiS7_S7_Pfiiiiiiiiiiiiii15HIP_vector_typeIjLj3EESA_.has_dyn_sized_stack, 0
	.set _ZL13mul_mat_f_idsI7__half2Li64ELi3ELi4EEvPKT_PKfPKiS7_S7_Pfiiiiiiiiiiiiii15HIP_vector_typeIjLj3EESA_.has_recursion, 0
	.set _ZL13mul_mat_f_idsI7__half2Li64ELi3ELi4EEvPKT_PKfPKiS7_S7_Pfiiiiiiiiiiiiii15HIP_vector_typeIjLj3EESA_.has_indirect_call, 0
	.section	.AMDGPU.csdata,"",@progbits
; Kernel info:
; codeLenInByte = 4892
; TotalNumSgprs: 106
; NumVgprs: 83
; NumAgprs: 16
; TotalNumVgprs: 100
; ScratchSize: 0
; MemoryBound: 0
; FloatMode: 240
; IeeeMode: 1
; LDSByteSize: 0 bytes/workgroup (compile time only)
; SGPRBlocks: 13
; VGPRBlocks: 12
; NumSGPRsForWavesPerEU: 106
; NumVGPRsForWavesPerEU: 100
; AccumOffset: 84
; Occupancy: 4
; WaveLimiterHint : 1
; COMPUTE_PGM_RSRC2:SCRATCH_EN: 0
; COMPUTE_PGM_RSRC2:USER_SGPR: 2
; COMPUTE_PGM_RSRC2:TRAP_HANDLER: 0
; COMPUTE_PGM_RSRC2:TGID_X_EN: 1
; COMPUTE_PGM_RSRC2:TGID_Y_EN: 1
; COMPUTE_PGM_RSRC2:TGID_Z_EN: 1
; COMPUTE_PGM_RSRC2:TIDIG_COMP_CNT: 1
; COMPUTE_PGM_RSRC3_GFX90A:ACCUM_OFFSET: 20
; COMPUTE_PGM_RSRC3_GFX90A:TG_SPLIT: 0
	.section	.text._ZL9mul_mat_fI7__half2Li64ELi3ELi4ELb1EEvPKT_PKfPKiPfiiiiiiiiiiiiiiii,"axG",@progbits,_ZL9mul_mat_fI7__half2Li64ELi3ELi4ELb1EEvPKT_PKfPKiPfiiiiiiiiiiiiiiii,comdat
	.globl	_ZL9mul_mat_fI7__half2Li64ELi3ELi4ELb1EEvPKT_PKfPKiPfiiiiiiiiiiiiiiii ; -- Begin function _ZL9mul_mat_fI7__half2Li64ELi3ELi4ELb1EEvPKT_PKfPKiPfiiiiiiiiiiiiiiii
	.p2align	8
	.type	_ZL9mul_mat_fI7__half2Li64ELi3ELi4ELb1EEvPKT_PKfPKiPfiiiiiiiiiiiiiiii,@function
_ZL9mul_mat_fI7__half2Li64ELi3ELi4ELb1EEvPKT_PKfPKiPfiiiiiiiiiiiiiiii: ; @_ZL9mul_mat_fI7__half2Li64ELi3ELi4ELb1EEvPKT_PKfPKiPfiiiiiiiiiiiiiiii
; %bb.0:
	s_load_dwordx8 s[8:15], s[0:1], 0x20
	s_waitcnt lgkmcnt(0)
	s_add_i32 s5, s9, 2
	s_mul_hi_i32 s5, s5, 0x55555556
	s_lshr_b32 s6, s5, 31
	s_add_i32 s5, s5, s6
	v_cvt_f32_u32_e32 v1, s5
	s_load_dwordx8 s[16:23], s[0:1], 0x44
	s_load_dword s6, s[0:1], 0x64
	s_add_u32 s28, s0, 0x60
	s_addc_u32 s29, s1, 0
	v_rcp_iflag_f32_e32 v1, v1
	s_sub_i32 s7, 0, s5
	s_waitcnt lgkmcnt(0)
	s_abs_i32 s23, s19
	s_abs_i32 s33, s4
	v_mul_f32_e32 v1, 0x4f7ffffe, v1
	v_cvt_u32_f32_e32 v1, v1
	v_mul_lo_u32 v2, s7, v1
	v_mul_hi_u32 v2, v1, v2
	v_add_u32_e32 v1, v1, v2
	v_mul_hi_u32 v1, s6, v1
	v_mul_lo_u32 v2, v1, s5
	v_sub_u32_e32 v2, s6, v2
	v_add_u32_e32 v3, 1, v1
	v_subrev_u32_e32 v4, s5, v2
	v_cmp_le_u32_e32 vcc, s5, v2
	s_nop 1
	v_cndmask_b32_e32 v1, v1, v3, vcc
	v_cndmask_b32_e32 v2, v2, v4, vcc
	v_add_u32_e32 v3, 1, v1
	v_cmp_le_u32_e32 vcc, s5, v2
	s_sub_i32 s5, 0, s23
	s_nop 0
	v_cndmask_b32_e32 v1, v1, v3, vcc
	v_cvt_f32_u32_e32 v2, v1
	v_cvt_f32_u32_e32 v3, s23
	v_sub_u32_e32 v4, 0, v1
	v_rcp_iflag_f32_e32 v2, v2
	v_rcp_iflag_f32_e32 v3, v3
	v_mul_f32_e32 v2, 0x4f7ffffe, v2
	v_cvt_u32_f32_e32 v2, v2
	v_mul_f32_e32 v3, 0x4f7ffffe, v3
	v_cvt_u32_f32_e32 v3, v3
	v_mul_lo_u32 v4, v4, v2
	v_mul_hi_u32 v4, v2, v4
	v_add_u32_e32 v2, v2, v4
	v_mul_hi_u32 v4, s3, v2
	v_mul_lo_u32 v2, s5, v3
	v_mul_hi_u32 v2, v3, v2
	v_add_u32_e32 v5, v3, v2
	v_bfe_u32 v3, v0, 10, 10
	s_movk_i32 s5, 0x1080
	v_mov_b32_e32 v2, 0x100
	v_mad_u32_u24 v78, v3, s5, v2
	v_and_b32_e32 v2, 0x3ff, v0
	v_cmp_eq_u32_e32 vcc, 0, v2
	v_mul_i32_i24_e32 v79, 0xffffef84, v3
	s_and_saveexec_b64 s[6:7], vcc
; %bb.1:
	v_add_u32_e32 v6, v78, v79
	v_mov_b32_e32 v7, -1
	ds_write_b32 v6, v7
; %bb.2:
	s_or_b64 exec, exec, s[6:7]
	v_mul_hi_u32 v8, s33, v5
	v_mul_lo_u32 v5, v4, v1
	v_sub_u32_e32 v5, s3, v5
	v_add_u32_e32 v6, 1, v4
	v_sub_u32_e32 v7, v5, v1
	v_cmp_ge_u32_e32 vcc, v5, v1
	s_load_dwordx2 s[26:27], s[0:1], 0x8
	s_load_dwordx2 s[24:25], s[0:1], 0x18
	v_cndmask_b32_e32 v4, v4, v6, vcc
	v_cndmask_b32_e32 v5, v5, v7, vcc
	v_add_u32_e32 v6, 1, v4
	v_cmp_ge_u32_e32 vcc, v5, v1
	v_cmp_gt_i32_e64 s[6:7], s10, v2
	s_nop 0
	v_cndmask_b32_e32 v4, v4, v6, vcc
	v_mul_lo_u32 v80, v4, 3
	v_add_u32_e32 v81, v80, v3
	v_mul_lo_u32 v1, v4, v1
	v_cmp_gt_i32_e32 vcc, s9, v81
	v_sub_u32_e32 v9, s3, v1
	s_and_b64 s[6:7], vcc, s[6:7]
	v_mov_b32_e32 v1, 0
	s_and_saveexec_b64 s[30:31], s[6:7]
	s_cbranch_execz .LBB109_8
; %bb.3:
	s_load_dwordx2 s[6:7], s[0:1], 0x10
	v_mul_hi_i32 v5, v80, s15
	v_mul_lo_u32 v4, v80, s15
	v_mul_lo_u32 v6, s15, v3
	v_lshlrev_b64 v[4:5], 2, v[4:5]
	s_waitcnt lgkmcnt(0)
	v_lshl_add_u64 v[4:5], s[6:7], 0, v[4:5]
	v_ashrrev_i32_e32 v7, 31, v6
	v_lshl_add_u64 v[4:5], v[6:7], 2, v[4:5]
	v_mul_lo_u32 v6, v2, s14
	s_lshl_b32 s3, s14, 6
	v_mov_b32_e32 v1, 0
	s_mov_b64 s[14:15], 0
	v_add_u32_e32 v10, v78, v79
	v_mov_b32_e32 v11, v2
	s_branch .LBB109_5
.LBB109_4:                              ;   in Loop: Header=BB109_5 Depth=1
	s_or_b64 exec, exec, s[34:35]
	v_add_u32_e32 v11, 64, v11
	v_cmp_le_i32_e64 s[6:7], s10, v11
	s_xor_b64 s[34:35], vcc, -1
	s_or_b64 s[6:7], s[34:35], s[6:7]
	s_and_b64 s[6:7], exec, s[6:7]
	s_or_b64 s[14:15], s[6:7], s[14:15]
	v_add_u32_e32 v6, s3, v6
	s_andn2_b64 exec, exec, s[14:15]
	s_cbranch_execz .LBB109_7
.LBB109_5:                              ; =>This Inner Loop Header: Depth=1
	v_ashrrev_i32_e32 v7, 31, v6
	v_lshl_add_u64 v[12:13], v[6:7], 2, v[4:5]
	global_load_dword v7, v[12:13], off
	s_waitcnt vmcnt(0)
	v_cmp_ne_u32_e32 vcc, v7, v9
	v_cmp_eq_u32_e64 s[6:7], v7, v9
	s_and_saveexec_b64 s[34:35], s[6:7]
	s_cbranch_execz .LBB109_4
; %bb.6:                                ;   in Loop: Header=BB109_5 Depth=1
	v_mov_b32_e32 v1, 1
	ds_write_b32 v10, v11
	s_branch .LBB109_4
.LBB109_7:
	s_or_b64 exec, exec, s[14:15]
.LBB109_8:
	s_or_b64 exec, exec, s[30:31]
	s_load_dwordx2 s[6:7], s[0:1], 0x0
	v_or_b32_dpp v1, v1, v1 row_shl:1 row_mask:0xf bank_mask:0xf bound_ctrl:1
	s_load_dwordx2 s[0:1], s[28:29], 0xc
	s_ashr_i32 s3, s4, 31
	v_or_b32_dpp v1, v1, v1 row_shl:2 row_mask:0xf bank_mask:0xf bound_ctrl:1
	s_ashr_i32 s10, s19, 31
	s_waitcnt lgkmcnt(0)
	s_and_b32 s5, s1, 0xffff
	s_lshr_b32 s1, s0, 16
	s_and_b32 s0, s0, 0xffff
	s_mul_i32 s14, s1, s0
	v_or_b32_dpp v1, v1, v1 row_shl:4 row_mask:0xf bank_mask:0xf bound_ctrl:1
	s_bfe_i32 s14, s14, 0x180000
	s_mul_i32 s5, s14, s5
	v_or_b32_dpp v1, v1, v1 row_shl:8 row_mask:0xf bank_mask:0xf bound_ctrl:1
	s_add_i32 s14, s5, 63
	s_bitcmp1_b32 exec_hi, 0
	v_mov_b32_dpp v4, v1 wave_shl:1 row_mask:0xf bank_mask:0xf bound_ctrl:1
	s_nop 1
	v_or_b32_dpp v1, v4, v1 row_mirror row_mask:0xf bank_mask:0xf bound_ctrl:1
	s_nop 0
	v_readlane_b32 s5, v1, 32
	s_cselect_b32 s5, s5, 0
	v_readlane_b32 s15, v1, 0
	s_or_b32 s5, s5, s15
	s_andn2_b32 s14, s14, 63
	s_cmp_lg_u32 s14, 64
	v_mov_b32_e32 v1, s5
	s_cbranch_scc0 .LBB109_15
; %bb.9:
	v_bfe_u32 v0, v0, 20, 10
	v_mbcnt_lo_u32_b32 v1, -1, 0
	v_mad_u32_u24 v0, v0, s1, v3
	v_mbcnt_hi_u32_b32 v4, -1, v1
	v_mad_u64_u32 v[0:1], s[0:1], v0, s0, v[2:3]
	v_lshrrev_b32_e32 v1, 6, v0
	v_or_b32_e32 v1, v4, v1
	v_cmp_eq_u32_e32 vcc, 0, v1
	s_and_saveexec_b64 s[0:1], vcc
; %bb.10:
	v_mov_b32_e32 v1, 0
	v_mov_b32_e32 v5, s5
	ds_write_b32 v1, v5
; %bb.11:
	s_or_b64 exec, exec, s[0:1]
	v_cmp_eq_u32_e32 vcc, 0, v4
	v_cmp_lt_u32_e64 s[0:1], 63, v0
	s_and_b64 s[14:15], s[0:1], vcc
	s_waitcnt lgkmcnt(0)
	s_barrier
	s_and_saveexec_b64 s[0:1], s[14:15]
	s_cbranch_execz .LBB109_14
; %bb.12:
	v_mbcnt_lo_u32_b32 v0, exec_lo, 0
	v_mbcnt_hi_u32_b32 v0, exec_hi, v0
	v_cmp_eq_u32_e32 vcc, 0, v0
	s_and_b64 exec, exec, vcc
; %bb.13:
	v_mov_b32_e32 v0, 0
	v_mov_b32_e32 v1, s5
	ds_or_b32 v0, v1
.LBB109_14:
	s_or_b64 exec, exec, s[0:1]
	v_mov_b32_e32 v0, 0
	s_waitcnt lgkmcnt(0)
	s_barrier
	ds_read_b32 v1, v0
	s_waitcnt lgkmcnt(0)
	s_barrier
.LBB109_15:
	v_cmp_ne_u32_e32 vcc, 0, v1
	s_cbranch_vccz .LBB109_37
; %bb.16:
	v_lshlrev_b32_e32 v82, 6, v3
	v_add_u32_e32 v84, v82, v2
	v_cmp_le_i32_e32 vcc, s8, v84
	v_and_b32_e32 v83, 15, v2
	s_and_saveexec_b64 s[0:1], vcc
	s_xor_b64 s[0:1], exec, s[0:1]
; %bb.17:
	v_and_b32_e32 v83, 15, v2
                                        ; implicit-def: $vgpr84
                                        ; implicit-def: $vgpr8
                                        ; implicit-def: $vgpr9
; %bb.18:
	s_or_saveexec_b64 s[14:15], s[0:1]
	s_lshl_b32 s5, s2, 6
	v_mov_b32_e32 v1, 0
	v_accvgpr_write_b32 a0, 0
	v_accvgpr_write_b32 a1, 0
	v_accvgpr_write_b32 a2, 0
	v_accvgpr_write_b32 a3, 0
	v_accvgpr_write_b32 a4, 0
	v_accvgpr_write_b32 a5, 0
	v_accvgpr_write_b32 a6, 0
	v_accvgpr_write_b32 a7, 0
	v_accvgpr_write_b32 a8, 0
	v_accvgpr_write_b32 a9, 0
	v_accvgpr_write_b32 a10, 0
	v_accvgpr_write_b32 a11, 0
	v_accvgpr_write_b32 a12, 0
	v_accvgpr_write_b32 a13, 0
	v_accvgpr_write_b32 a14, 0
	v_accvgpr_write_b32 a15, 0
	s_xor_b64 exec, exec, s[14:15]
	s_cbranch_execz .LBB109_34
; %bb.19:
	v_mul_lo_u32 v0, v8, s23
	v_sub_u32_e32 v0, s33, v0
	v_add_u32_e32 v4, 1, v8
	v_subrev_u32_e32 v5, s23, v0
	v_cmp_le_u32_e32 vcc, s23, v0
	s_xor_b32 s0, s3, s10
	v_mul_lo_u32 v6, v9, s16
	v_cndmask_b32_e32 v4, v8, v4, vcc
	v_cndmask_b32_e32 v0, v0, v5, vcc
	v_add_u32_e32 v5, 1, v4
	v_cmp_le_u32_e32 vcc, s23, v0
	s_mul_hi_i32 s3, s21, s4
	s_mul_i32 s2, s21, s4
	v_cndmask_b32_e32 v0, v4, v5, vcc
	v_xor_b32_e32 v0, s0, v0
	v_subrev_u32_e32 v0, s0, v0
	s_mul_i32 s0, s11, s5
	v_mul_hi_i32 v5, v0, s20
	v_mul_lo_u32 v4, v0, s20
	s_ashr_i32 s1, s0, 31
	v_ashrrev_i32_e32 v7, 31, v6
	v_lshlrev_b64 v[8:9], 2, v[4:5]
	s_lshl_b64 s[0:1], s[0:1], 2
	s_lshl_b64 s[2:3], s[2:3], 2
	v_lshrrev_b32_e32 v12, 1, v2
	v_lshl_add_u64 v[4:5], s[6:7], 0, v[8:9]
	v_lshlrev_b64 v[10:11], 2, v[6:7]
	v_mul_hi_i32 v7, s12, v80
	v_mul_lo_u32 v6, s12, v80
	s_add_u32 s2, s26, s2
	v_mul_u32_u24_e32 v0, 0x108, v83
	v_and_b32_e32 v12, 0x1f8, v12
	v_lshl_add_u64 v[8:9], v[8:9], 0, s[0:1]
	v_lshlrev_b64 v[6:7], 3, v[6:7]
	s_addc_u32 s3, s27, s3
	v_add3_u32 v86, v78, v0, v12
	v_lshl_add_u64 v[8:9], v[8:9], 0, v[10:11]
	v_lshlrev_b32_e32 v0, 1, v2
	v_lshl_add_u64 v[4:5], v[4:5], 0, v[10:11]
	v_lshl_add_u64 v[6:7], s[2:3], 0, v[6:7]
	v_add_u32_e32 v12, 1, v80
	v_add_u32_e32 v13, 2, v80
	s_ashr_i32 s3, s11, 31
	s_mov_b32 s2, s11
	v_lshl_add_u64 v[8:9], s[6:7], 0, v[8:9]
	v_lshl_add_u32 v87, v3, 7, v0
	v_lshlrev_b32_e32 v0, 2, v84
	v_lshl_add_u64 v[4:5], v[4:5], 0, s[0:1]
	v_lshl_add_u32 v85, v2, 2, v78
	s_lshl_b32 s16, s12, 2
	s_add_i32 s19, s11, s11
	s_mul_i32 s23, s11, 3
	s_lshl_b32 s28, s11, 2
	s_mul_i32 s29, s11, 5
	s_mul_i32 s30, s11, 6
	;; [unrolled: 1-line block ×3, first 2 shown]
	s_lshl_b32 s33, s11, 3
	s_mul_i32 s34, s11, 9
	s_mul_i32 s35, s11, 10
	;; [unrolled: 1-line block ×7, first 2 shown]
	s_lshl_b32 s41, s11, 4
	s_mul_i32 s42, s11, 17
	s_mul_i32 s43, s11, 18
	;; [unrolled: 1-line block ×15, first 2 shown]
	s_lshl_b32 s57, s11, 5
	s_mul_i32 s58, s11, 33
	s_mul_i32 s59, s11, 34
	;; [unrolled: 1-line block ×22, first 2 shown]
	v_cmp_gt_i32_e64 s[0:1], s9, v80
	s_mul_i32 s80, s11, 55
	s_mul_i32 s81, s11, 56
	s_lshl_b64 s[20:21], s[2:3], 2
	v_accvgpr_write_b32 a15, 0
	v_accvgpr_write_b32 a14, 0
	;; [unrolled: 1-line block ×16, first 2 shown]
	v_lshl_add_u64 v[8:9], v[8:9], 0, v[0:1]
	v_mov_b32_e32 v0, 0x100
	s_mul_i32 s82, s11, 57
	s_mul_i32 s83, s11, 58
	;; [unrolled: 1-line block ×7, first 2 shown]
	s_lshl_b32 s12, s12, 1
	v_cmp_gt_i32_e64 s[2:3], s9, v12
	v_cmp_gt_i32_e64 s[6:7], s9, v13
	s_mov_b64 s[10:11], 0
	s_mov_b64 s[26:27], 0x400
	s_branch .LBB109_22
.LBB109_20:                             ;   in Loop: Header=BB109_22 Depth=1
	v_mul_lo_u32 v74, v74, s17
	v_add_u32_e32 v74, s16, v74
	v_add_u32_e32 v74, v74, v87
	v_ashrrev_i32_e32 v75, 31, v74
	v_lshl_add_u64 v[74:75], v[74:75], 2, v[6:7]
	global_load_dwordx2 v[74:75], v[74:75], off
.LBB109_21:                             ;   in Loop: Header=BB109_22 Depth=1
	s_waitcnt vmcnt(0)
	v_cvt_pk_f16_f32 v74, v74, v75
	ds_write2_b32 v85, v74, v1 offset0:148 offset1:214
	v_add_u32_e32 v74, 0x400, v85
	ds_write2_b32 v74, v1, v1 offset0:24 offset1:90
	ds_write2_b32 v74, v1, v1 offset0:156 offset1:222
	v_add_u32_e32 v74, 0x800, v85
	ds_write2_b32 v74, v1, v1 offset0:32 offset1:98
	;; [unrolled: 3-line block ×3, first 2 shown]
	ds_write2_b32 v74, v1, v1 offset0:172 offset1:238
	ds_read2_b64 v[74:77], v86 offset0:8 offset1:12
	v_add_u32_e32 v84, 0x100, v84
	s_waitcnt lgkmcnt(0)
	v_mfma_f32_16x16x16_f16 a[8:11], v[42:43], v[74:75], a[8:11]
	v_cmp_le_i32_e32 vcc, s8, v84
	v_add_u32_e32 v87, 0x200, v87
	v_lshl_add_u64 v[8:9], v[8:9], 0, s[26:27]
	v_mfma_f32_16x16x16_f16 a[12:15], v[28:29], v[74:75], a[12:15]
	s_or_b64 s[10:11], vcc, s[10:11]
	v_mfma_f32_16x16x16_f16 a[4:7], v[56:57], v[74:75], a[4:7]
	v_mfma_f32_16x16x16_f16 a[0:3], v[72:73], v[74:75], a[0:3]
	v_mfma_f32_16x16x16_f16 a[8:11], v[40:41], v[76:77], a[8:11]
	ds_read2_b64 v[40:43], v86 offset0:16 offset1:20
	v_mfma_f32_16x16x16_f16 a[12:15], v[22:23], v[76:77], a[12:15]
	v_mfma_f32_16x16x16_f16 a[4:7], v[54:55], v[76:77], a[4:7]
	v_mfma_f32_16x16x16_f16 a[0:3], v[70:71], v[76:77], a[0:3]
	s_waitcnt lgkmcnt(0)
	v_mfma_f32_16x16x16_f16 a[12:15], v[20:21], v[40:41], a[12:15]
	v_mfma_f32_16x16x16_f16 a[8:11], v[36:37], v[40:41], a[8:11]
	v_mfma_f32_16x16x16_f16 a[4:7], v[52:53], v[40:41], a[4:7]
	v_mfma_f32_16x16x16_f16 a[0:3], v[68:69], v[40:41], a[0:3]
	v_mfma_f32_16x16x16_f16 a[12:15], v[18:19], v[42:43], a[12:15]
	ds_read2_b64 v[18:21], v86 offset0:24 offset1:28
	v_mfma_f32_16x16x16_f16 a[8:11], v[34:35], v[42:43], a[8:11]
	v_mfma_f32_16x16x16_f16 a[4:7], v[50:51], v[42:43], a[4:7]
	v_mfma_f32_16x16x16_f16 a[0:3], v[66:67], v[42:43], a[0:3]
	s_waitcnt lgkmcnt(0)
	v_mfma_f32_16x16x16_f16 a[12:15], v[16:17], v[18:19], a[12:15]
	v_mfma_f32_16x16x16_f16 a[8:11], v[32:33], v[18:19], a[8:11]
	;; [unrolled: 10-line block ×3, first 2 shown]
	v_mfma_f32_16x16x16_f16 a[4:7], v[44:45], v[14:15], a[4:7]
	v_mfma_f32_16x16x16_f16 a[0:3], v[60:61], v[14:15], a[0:3]
	;; [unrolled: 1-line block ×6, first 2 shown]
	s_andn2_b64 exec, exec, s[10:11]
	s_cbranch_execz .LBB109_33
.LBB109_22:                             ; =>This Inner Loop Header: Depth=1
	v_lshl_add_u64 v[10:11], v[8:9], 0, s[20:21]
	global_load_dword v26, v[8:9], off
	global_load_dword v27, v[10:11], off
	v_add_u32_e32 v10, s19, v84
	v_add_u32_e32 v14, s28, v84
	;; [unrolled: 1-line block ×5, first 2 shown]
	v_ashrrev_i32_e32 v11, 31, v10
	v_add_u32_e32 v12, s23, v84
	v_ashrrev_i32_e32 v15, 31, v14
	v_ashrrev_i32_e32 v17, 31, v16
	;; [unrolled: 1-line block ×3, first 2 shown]
	v_add_u32_e32 v20, s31, v84
	v_ashrrev_i32_e32 v23, 31, v22
	v_add_u32_e32 v24, s34, v84
	v_lshl_add_u64 v[10:11], v[10:11], 2, v[4:5]
	v_ashrrev_i32_e32 v13, 31, v12
	v_lshl_add_u64 v[14:15], v[14:15], 2, v[4:5]
	v_lshl_add_u64 v[16:17], v[16:17], 2, v[4:5]
	;; [unrolled: 1-line block ×3, first 2 shown]
	v_ashrrev_i32_e32 v21, 31, v20
	v_lshl_add_u64 v[22:23], v[22:23], 2, v[4:5]
	v_ashrrev_i32_e32 v25, 31, v24
	v_lshl_add_u64 v[12:13], v[12:13], 2, v[4:5]
	v_lshl_add_u64 v[20:21], v[20:21], 2, v[4:5]
	;; [unrolled: 1-line block ×3, first 2 shown]
	global_load_dword v28, v[10:11], off
	global_load_dword v29, v[12:13], off
	;; [unrolled: 1-line block ×6, first 2 shown]
	s_nop 0
	global_load_dword v22, v[22:23], off
	s_nop 0
	global_load_dword v23, v[24:25], off
	v_add_u32_e32 v10, s35, v84
	v_add_u32_e32 v14, s37, v84
	;; [unrolled: 1-line block ×4, first 2 shown]
	v_ashrrev_i32_e32 v11, 31, v10
	v_add_u32_e32 v12, s36, v84
	v_ashrrev_i32_e32 v15, 31, v14
	v_ashrrev_i32_e32 v17, 31, v16
	v_ashrrev_i32_e32 v19, 31, v18
	v_add_u32_e32 v20, s40, v84
	v_lshl_add_u64 v[10:11], v[10:11], 2, v[4:5]
	v_ashrrev_i32_e32 v13, 31, v12
	v_lshl_add_u64 v[14:15], v[14:15], 2, v[4:5]
	v_lshl_add_u64 v[16:17], v[16:17], 2, v[4:5]
	;; [unrolled: 1-line block ×3, first 2 shown]
	v_ashrrev_i32_e32 v21, 31, v20
	v_lshl_add_u64 v[12:13], v[12:13], 2, v[4:5]
	v_lshl_add_u64 v[20:21], v[20:21], 2, v[4:5]
	global_load_dword v24, v[10:11], off
	global_load_dword v25, v[12:13], off
	s_nop 0
	global_load_dword v15, v[14:15], off
	s_nop 0
	;; [unrolled: 2-line block ×4, first 2 shown]
	global_load_dword v18, v[20:21], off
	v_add_u32_e32 v10, s41, v84
	v_add_u32_e32 v12, s42, v84
	v_ashrrev_i32_e32 v11, 31, v10
	v_add_u32_e32 v14, s43, v84
	v_ashrrev_i32_e32 v13, 31, v12
	v_lshl_add_u64 v[10:11], v[10:11], 2, v[4:5]
	v_lshl_add_u64 v[12:13], v[12:13], 2, v[4:5]
	global_load_dword v34, v[10:11], off
	global_load_dword v35, v[12:13], off
	v_add_u32_e32 v12, s44, v84
	v_add_u32_e32 v20, s48, v84
	v_ashrrev_i32_e32 v13, 31, v12
	v_ashrrev_i32_e32 v21, 31, v20
	v_lshl_add_u64 v[12:13], v[12:13], 2, v[4:5]
	v_lshl_add_u64 v[20:21], v[20:21], 2, v[4:5]
	s_andn2_b64 vcc, exec, s[0:1]
	v_mov_b32_e32 v76, 0
	v_mov_b32_e32 v77, 0
	s_waitcnt vmcnt(17)
	ds_write_b32 v85, v26 offset:64
	s_waitcnt vmcnt(16)
	ds_write_b32 v85, v27 offset:328
	;; [unrolled: 2-line block ×16, first 2 shown]
	v_ashrrev_i32_e32 v15, 31, v14
	v_lshl_add_u64 v[10:11], v[14:15], 2, v[4:5]
	v_add_u32_e32 v14, s45, v84
	v_add_u32_e32 v16, s46, v84
	;; [unrolled: 1-line block ×5, first 2 shown]
	v_ashrrev_i32_e32 v15, 31, v14
	v_ashrrev_i32_e32 v17, 31, v16
	;; [unrolled: 1-line block ×5, first 2 shown]
	v_lshl_add_u64 v[14:15], v[14:15], 2, v[4:5]
	v_lshl_add_u64 v[16:17], v[16:17], 2, v[4:5]
	v_lshl_add_u64 v[18:19], v[18:19], 2, v[4:5]
	v_lshl_add_u64 v[22:23], v[22:23], 2, v[4:5]
	v_lshl_add_u64 v[24:25], v[24:25], 2, v[4:5]
	global_load_dword v26, v[10:11], off
	global_load_dword v27, v[12:13], off
	global_load_dword v30, v[14:15], off
	global_load_dword v31, v[16:17], off
	global_load_dword v32, v[18:19], off
	global_load_dword v33, v[20:21], off
	global_load_dword v36, v[22:23], off
	global_load_dword v37, v[24:25], off
	v_add_u32_e32 v10, s51, v84
	v_ashrrev_i32_e32 v11, 31, v10
	v_add_u32_e32 v12, s52, v84
	v_add_u32_e32 v14, s53, v84
	v_add_u32_e32 v16, s54, v84
	v_add_u32_e32 v18, s55, v84
	v_add_u32_e32 v20, s56, v84
	v_add_u32_e32 v22, s57, v84
	v_add_u32_e32 v24, s58, v84
	v_lshl_add_u64 v[10:11], v[10:11], 2, v[4:5]
	v_ashrrev_i32_e32 v13, 31, v12
	v_ashrrev_i32_e32 v15, 31, v14
	v_ashrrev_i32_e32 v17, 31, v16
	v_ashrrev_i32_e32 v19, 31, v18
	v_ashrrev_i32_e32 v21, 31, v20
	v_ashrrev_i32_e32 v23, 31, v22
	v_ashrrev_i32_e32 v25, 31, v24
	v_lshl_add_u64 v[12:13], v[12:13], 2, v[4:5]
	v_lshl_add_u64 v[14:15], v[14:15], 2, v[4:5]
	v_lshl_add_u64 v[16:17], v[16:17], 2, v[4:5]
	v_lshl_add_u64 v[18:19], v[18:19], 2, v[4:5]
	v_lshl_add_u64 v[20:21], v[20:21], 2, v[4:5]
	v_lshl_add_u64 v[22:23], v[22:23], 2, v[4:5]
	v_lshl_add_u64 v[24:25], v[24:25], 2, v[4:5]
	global_load_dword v38, v[10:11], off
	global_load_dword v39, v[12:13], off
	global_load_dword v40, v[14:15], off
	global_load_dword v41, v[16:17], off
	global_load_dword v42, v[18:19], off
	global_load_dword v43, v[20:21], off
	global_load_dword v44, v[22:23], off
	global_load_dword v45, v[24:25], off
	v_add_u32_e32 v10, s59, v84
	v_ashrrev_i32_e32 v11, 31, v10
	v_add_u32_e32 v12, s60, v84
	v_add_u32_e32 v14, s61, v84
	v_add_u32_e32 v16, s62, v84
	v_add_u32_e32 v18, s63, v84
	v_add_u32_e32 v20, s64, v84
	v_add_u32_e32 v22, s65, v84
	v_add_u32_e32 v24, s66, v84
	v_lshl_add_u64 v[10:11], v[10:11], 2, v[4:5]
	v_ashrrev_i32_e32 v13, 31, v12
	v_ashrrev_i32_e32 v15, 31, v14
	v_ashrrev_i32_e32 v17, 31, v16
	v_ashrrev_i32_e32 v19, 31, v18
	v_ashrrev_i32_e32 v21, 31, v20
	v_ashrrev_i32_e32 v23, 31, v22
	v_ashrrev_i32_e32 v25, 31, v24
	v_lshl_add_u64 v[12:13], v[12:13], 2, v[4:5]
	v_lshl_add_u64 v[14:15], v[14:15], 2, v[4:5]
	;; [unrolled: 32-line block ×4, first 2 shown]
	v_lshl_add_u64 v[16:17], v[16:17], 2, v[4:5]
	v_lshl_add_u64 v[18:19], v[18:19], 2, v[4:5]
	v_lshl_add_u64 v[20:21], v[20:21], 2, v[4:5]
	v_lshl_add_u64 v[22:23], v[22:23], 2, v[4:5]
	v_lshl_add_u64 v[24:25], v[24:25], 2, v[4:5]
	global_load_dword v62, v[10:11], off
	global_load_dword v63, v[12:13], off
	;; [unrolled: 1-line block ×8, first 2 shown]
	v_add_u32_e32 v10, s83, v84
	v_ashrrev_i32_e32 v11, 31, v10
	v_add_u32_e32 v12, s84, v84
	v_lshl_add_u64 v[10:11], v[10:11], 2, v[4:5]
	v_ashrrev_i32_e32 v13, 31, v12
	v_lshl_add_u64 v[12:13], v[12:13], 2, v[4:5]
	global_load_dword v70, v[10:11], off
	global_load_dword v71, v[12:13], off
	v_add_u32_e32 v10, s85, v84
	v_ashrrev_i32_e32 v11, 31, v10
	v_add_u32_e32 v12, s86, v84
	v_add_u32_e32 v14, s87, v84
	v_add_u32_e32 v16, s88, v84
	v_lshl_add_u64 v[10:11], v[10:11], 2, v[4:5]
	v_ashrrev_i32_e32 v13, 31, v12
	v_ashrrev_i32_e32 v15, 31, v14
	;; [unrolled: 1-line block ×3, first 2 shown]
	v_lshl_add_u64 v[12:13], v[12:13], 2, v[4:5]
	v_lshl_add_u64 v[14:15], v[14:15], 2, v[4:5]
	;; [unrolled: 1-line block ×3, first 2 shown]
	global_load_dword v72, v[10:11], off
	global_load_dword v73, v[12:13], off
	;; [unrolled: 1-line block ×4, first 2 shown]
	ds_read_b64 v[28:29], v86 offset:64
	ds_read_b64 v[22:23], v86 offset:96
	ds_read_b64 v[20:21], v86 offset:128
	ds_read_b64 v[18:19], v86 offset:160
	ds_read_b64 v[16:17], v86 offset:192
	ds_read_b64 v[14:15], v86 offset:224
	ds_read_b64 v[12:13], v86 offset:256
	ds_read_b64 v[10:11], v86 offset:288
	s_waitcnt vmcnt(47)
	ds_write_b32 v85, v34 offset:64
	s_waitcnt vmcnt(46)
	ds_write_b32 v85, v35 offset:328
	s_waitcnt vmcnt(45)
	ds_write_b32 v85, v26 offset:592
	s_waitcnt vmcnt(44)
	ds_write_b32 v85, v27 offset:856
	s_waitcnt vmcnt(43)
	ds_write_b32 v85, v30 offset:1120
	s_waitcnt vmcnt(42)
	ds_write_b32 v85, v31 offset:1384
	s_waitcnt vmcnt(41)
	ds_write_b32 v85, v32 offset:1648
	s_waitcnt vmcnt(40)
	ds_write_b32 v85, v33 offset:1912
	s_waitcnt vmcnt(39)
	ds_write_b32 v85, v36 offset:2176
	s_waitcnt vmcnt(38)
	ds_write_b32 v85, v37 offset:2440
	s_waitcnt vmcnt(37)
	ds_write_b32 v85, v38 offset:2704
	s_waitcnt vmcnt(36)
	ds_write_b32 v85, v39 offset:2968
	s_waitcnt vmcnt(35)
	ds_write_b32 v85, v40 offset:3232
	s_waitcnt vmcnt(34)
	ds_write_b32 v85, v41 offset:3496
	s_waitcnt vmcnt(33)
	ds_write_b32 v85, v42 offset:3760
	s_waitcnt vmcnt(32)
	ds_write_b32 v85, v43 offset:4024
	ds_read_b64 v[42:43], v86 offset:64
	ds_read_b64 v[40:41], v86 offset:96
	ds_read_b64 v[36:37], v86 offset:128
	ds_read_b64 v[34:35], v86 offset:160
	ds_read_b64 v[32:33], v86 offset:192
	ds_read_b64 v[30:31], v86 offset:224
	ds_read_b64 v[26:27], v86 offset:256
	ds_read_b64 v[24:25], v86 offset:288
	s_waitcnt vmcnt(31)
	ds_write_b32 v85, v44 offset:64
	s_waitcnt vmcnt(30)
	ds_write_b32 v85, v45 offset:328
	s_waitcnt vmcnt(29)
	ds_write_b32 v85, v46 offset:592
	s_waitcnt vmcnt(28)
	ds_write_b32 v85, v47 offset:856
	s_waitcnt vmcnt(27)
	ds_write_b32 v85, v48 offset:1120
	s_waitcnt vmcnt(26)
	ds_write_b32 v85, v49 offset:1384
	s_waitcnt vmcnt(25)
	ds_write_b32 v85, v50 offset:1648
	s_waitcnt vmcnt(24)
	ds_write_b32 v85, v51 offset:1912
	s_waitcnt vmcnt(23)
	ds_write_b32 v85, v52 offset:2176
	s_waitcnt vmcnt(22)
	ds_write_b32 v85, v53 offset:2440
	s_waitcnt vmcnt(21)
	ds_write_b32 v85, v54 offset:2704
	s_waitcnt vmcnt(20)
	ds_write_b32 v85, v55 offset:2968
	s_waitcnt vmcnt(19)
	ds_write_b32 v85, v56 offset:3232
	s_waitcnt vmcnt(18)
	ds_write_b32 v85, v57 offset:3496
	s_waitcnt vmcnt(17)
	ds_write_b32 v85, v58 offset:3760
	s_waitcnt vmcnt(16)
	ds_write_b32 v85, v59 offset:4024
	;; [unrolled: 40-line block ×3, first 2 shown]
	ds_read_b64 v[72:73], v86 offset:64
	ds_read_b64 v[70:71], v86 offset:96
	;; [unrolled: 1-line block ×8, first 2 shown]
	v_mov_b32_e32 v74, 0
	s_cbranch_vccnz .LBB109_26
; %bb.23:                               ;   in Loop: Header=BB109_22 Depth=1
	ds_read_b32 v75, v0
	s_waitcnt lgkmcnt(0)
	v_cmp_gt_i32_e32 vcc, 0, v75
	s_cbranch_vccnz .LBB109_25
; %bb.24:                               ;   in Loop: Header=BB109_22 Depth=1
	v_mul_lo_u32 v75, v75, s17
	v_add_u32_e32 v76, v87, v75
	v_ashrrev_i32_e32 v77, 31, v76
	v_lshl_add_u64 v[76:77], v[76:77], 2, v[6:7]
	global_load_dwordx2 v[76:77], v[76:77], off
	s_branch .LBB109_26
.LBB109_25:                             ;   in Loop: Header=BB109_22 Depth=1
	v_mov_b32_e32 v76, 0
	v_mov_b32_e32 v77, 0
.LBB109_26:                             ;   in Loop: Header=BB109_22 Depth=1
	s_waitcnt vmcnt(0)
	v_cvt_pk_f16_f32 v75, v76, v77
	s_andn2_b64 vcc, exec, s[2:3]
	v_mov_b32_e32 v76, 0
	v_mov_b32_e32 v77, 0
	ds_write_b32 v85, v75 offset:64
	s_cbranch_vccnz .LBB109_30
; %bb.27:                               ;   in Loop: Header=BB109_22 Depth=1
	ds_read_b32 v75, v0 offset:4
	s_waitcnt lgkmcnt(0)
	v_cmp_gt_i32_e32 vcc, 0, v75
	s_cbranch_vccnz .LBB109_29
; %bb.28:                               ;   in Loop: Header=BB109_22 Depth=1
	v_mul_lo_u32 v75, v75, s17
	v_add_u32_e32 v75, s12, v75
	v_add_u32_e32 v76, v75, v87
	v_ashrrev_i32_e32 v77, 31, v76
	v_lshl_add_u64 v[76:77], v[76:77], 2, v[6:7]
	global_load_dwordx2 v[76:77], v[76:77], off
	s_branch .LBB109_30
.LBB109_29:                             ;   in Loop: Header=BB109_22 Depth=1
	v_mov_b32_e32 v76, 0
	v_mov_b32_e32 v77, 0
.LBB109_30:                             ;   in Loop: Header=BB109_22 Depth=1
	s_waitcnt vmcnt(0)
	v_cvt_pk_f16_f32 v75, v76, v77
	ds_write_b32 v85, v75 offset:328
	s_andn2_b64 vcc, exec, s[6:7]
	v_mov_b32_e32 v75, 0
	s_cbranch_vccnz .LBB109_21
; %bb.31:                               ;   in Loop: Header=BB109_22 Depth=1
	ds_read_b32 v74, v0 offset:8
	s_waitcnt lgkmcnt(0)
	v_cmp_gt_i32_e32 vcc, 0, v74
	s_cbranch_vccz .LBB109_20
; %bb.32:                               ;   in Loop: Header=BB109_22 Depth=1
	v_mov_b32_e32 v74, 0
	v_mov_b32_e32 v75, 0
	s_branch .LBB109_21
.LBB109_33:
	s_or_b64 exec, exec, s[10:11]
.LBB109_34:
	s_or_b64 exec, exec, s[14:15]
	v_mov_b32_e32 v0, 0x100
	v_lshl_add_u32 v0, v82, 2, v0
	v_mul_u32_u24_e32 v1, 0x408, v83
	v_and_b32_e32 v4, 0x3f0, v2
	v_add3_u32 v0, v0, v1, v4
	v_accvgpr_read_b32 v1, a13
	v_accvgpr_read_b32 v4, a12
	s_barrier
	ds_write2_b32 v0, v4, v1 offset0:16 offset1:17
	v_accvgpr_read_b32 v1, a15
	v_accvgpr_read_b32 v4, a14
	ds_write2_b32 v0, v4, v1 offset0:18 offset1:19
	v_accvgpr_read_b32 v1, a9
	v_accvgpr_read_b32 v4, a8
	;; [unrolled: 3-line block ×7, first 2 shown]
	v_cmp_gt_u32_e32 vcc, 3, v3
	ds_write2_b32 v0, v4, v1 offset0:66 offset1:67
	s_waitcnt lgkmcnt(0)
	s_barrier
	s_and_saveexec_b64 s[0:1], vcc
	s_cbranch_execz .LBB109_37
; %bb.35:
	v_add_u32_e32 v0, v78, v79
	ds_read_b32 v0, v0
	v_cmp_gt_i32_e64 s[0:1], s9, v81
	s_waitcnt lgkmcnt(0)
	v_cmp_lt_i32_e32 vcc, -1, v0
	s_and_b64 s[0:1], vcc, s[0:1]
	s_and_b64 exec, exec, s[0:1]
	s_cbranch_execz .LBB109_37
; %bb.36:
	v_lshlrev_b32_e32 v1, 2, v2
	s_movk_i32 s2, 0x100
	v_mul_u32_u24_e32 v6, 0x408, v3
	v_add3_u32 v1, s2, v1, v6
	ds_read2_b32 v[6:7], v1 offset0:16 offset1:80
	ds_read2_b32 v[8:9], v1 offset0:144 offset1:208
	s_mul_hi_i32 s1, s22, s4
	s_mul_i32 s0, s22, s4
	s_lshl_b64 s[0:1], s[0:1], 2
	s_waitcnt lgkmcnt(1)
	v_add_f32_e32 v1, 0, v6
	v_add_f32_e32 v1, v1, v7
	v_mul_hi_i32 v5, v80, s13
	v_mul_lo_u32 v4, v80, s13
	s_add_u32 s0, s24, s0
	s_waitcnt lgkmcnt(0)
	v_add_f32_e32 v1, v1, v8
	s_addc_u32 s1, s25, s1
	v_lshlrev_b64 v[4:5], 2, v[4:5]
	v_add_f32_e32 v6, v1, v9
	v_add_u32_e32 v1, s5, v2
	v_mul_lo_u32 v2, s13, v3
	v_mul_lo_u32 v0, v0, s18
	v_lshl_add_u64 v[4:5], s[0:1], 0, v[4:5]
	v_add3_u32 v0, v1, v2, v0
	v_mov_b32_e32 v1, 0
	v_lshl_add_u64 v[0:1], v[0:1], 2, v[4:5]
	global_store_dword v[0:1], v6, off
.LBB109_37:
	s_endpgm
	.section	.rodata,"a",@progbits
	.p2align	6, 0x0
	.amdhsa_kernel _ZL9mul_mat_fI7__half2Li64ELi3ELi4ELb1EEvPKT_PKfPKiPfiiiiiiiiiiiiiiii
		.amdhsa_group_segment_fixed_size 256
		.amdhsa_private_segment_fixed_size 0
		.amdhsa_kernarg_size 352
		.amdhsa_user_sgpr_count 2
		.amdhsa_user_sgpr_dispatch_ptr 0
		.amdhsa_user_sgpr_queue_ptr 0
		.amdhsa_user_sgpr_kernarg_segment_ptr 1
		.amdhsa_user_sgpr_dispatch_id 0
		.amdhsa_user_sgpr_kernarg_preload_length 0
		.amdhsa_user_sgpr_kernarg_preload_offset 0
		.amdhsa_user_sgpr_private_segment_size 0
		.amdhsa_uses_dynamic_stack 0
		.amdhsa_enable_private_segment 0
		.amdhsa_system_sgpr_workgroup_id_x 1
		.amdhsa_system_sgpr_workgroup_id_y 1
		.amdhsa_system_sgpr_workgroup_id_z 1
		.amdhsa_system_sgpr_workgroup_info 0
		.amdhsa_system_vgpr_workitem_id 2
		.amdhsa_next_free_vgpr 104
		.amdhsa_next_free_sgpr 89
		.amdhsa_accum_offset 88
		.amdhsa_reserve_vcc 1
		.amdhsa_float_round_mode_32 0
		.amdhsa_float_round_mode_16_64 0
		.amdhsa_float_denorm_mode_32 3
		.amdhsa_float_denorm_mode_16_64 3
		.amdhsa_dx10_clamp 1
		.amdhsa_ieee_mode 1
		.amdhsa_fp16_overflow 0
		.amdhsa_tg_split 0
		.amdhsa_exception_fp_ieee_invalid_op 0
		.amdhsa_exception_fp_denorm_src 0
		.amdhsa_exception_fp_ieee_div_zero 0
		.amdhsa_exception_fp_ieee_overflow 0
		.amdhsa_exception_fp_ieee_underflow 0
		.amdhsa_exception_fp_ieee_inexact 0
		.amdhsa_exception_int_div_zero 0
	.end_amdhsa_kernel
	.section	.text._ZL9mul_mat_fI7__half2Li64ELi3ELi4ELb1EEvPKT_PKfPKiPfiiiiiiiiiiiiiiii,"axG",@progbits,_ZL9mul_mat_fI7__half2Li64ELi3ELi4ELb1EEvPKT_PKfPKiPfiiiiiiiiiiiiiiii,comdat
.Lfunc_end109:
	.size	_ZL9mul_mat_fI7__half2Li64ELi3ELi4ELb1EEvPKT_PKfPKiPfiiiiiiiiiiiiiiii, .Lfunc_end109-_ZL9mul_mat_fI7__half2Li64ELi3ELi4ELb1EEvPKT_PKfPKiPfiiiiiiiiiiiiiiii
                                        ; -- End function
	.set _ZL9mul_mat_fI7__half2Li64ELi3ELi4ELb1EEvPKT_PKfPKiPfiiiiiiiiiiiiiiii.num_vgpr, 88
	.set _ZL9mul_mat_fI7__half2Li64ELi3ELi4ELb1EEvPKT_PKfPKiPfiiiiiiiiiiiiiiii.num_agpr, 16
	.set _ZL9mul_mat_fI7__half2Li64ELi3ELi4ELb1EEvPKT_PKfPKiPfiiiiiiiiiiiiiiii.numbered_sgpr, 89
	.set _ZL9mul_mat_fI7__half2Li64ELi3ELi4ELb1EEvPKT_PKfPKiPfiiiiiiiiiiiiiiii.num_named_barrier, 0
	.set _ZL9mul_mat_fI7__half2Li64ELi3ELi4ELb1EEvPKT_PKfPKiPfiiiiiiiiiiiiiiii.private_seg_size, 0
	.set _ZL9mul_mat_fI7__half2Li64ELi3ELi4ELb1EEvPKT_PKfPKiPfiiiiiiiiiiiiiiii.uses_vcc, 1
	.set _ZL9mul_mat_fI7__half2Li64ELi3ELi4ELb1EEvPKT_PKfPKiPfiiiiiiiiiiiiiiii.uses_flat_scratch, 0
	.set _ZL9mul_mat_fI7__half2Li64ELi3ELi4ELb1EEvPKT_PKfPKiPfiiiiiiiiiiiiiiii.has_dyn_sized_stack, 0
	.set _ZL9mul_mat_fI7__half2Li64ELi3ELi4ELb1EEvPKT_PKfPKiPfiiiiiiiiiiiiiiii.has_recursion, 0
	.set _ZL9mul_mat_fI7__half2Li64ELi3ELi4ELb1EEvPKT_PKfPKiPfiiiiiiiiiiiiiiii.has_indirect_call, 0
	.section	.AMDGPU.csdata,"",@progbits
; Kernel info:
; codeLenInByte = 5688
; TotalNumSgprs: 95
; NumVgprs: 88
; NumAgprs: 16
; TotalNumVgprs: 104
; ScratchSize: 0
; MemoryBound: 0
; FloatMode: 240
; IeeeMode: 1
; LDSByteSize: 256 bytes/workgroup (compile time only)
; SGPRBlocks: 11
; VGPRBlocks: 12
; NumSGPRsForWavesPerEU: 95
; NumVGPRsForWavesPerEU: 104
; AccumOffset: 88
; Occupancy: 4
; WaveLimiterHint : 0
; COMPUTE_PGM_RSRC2:SCRATCH_EN: 0
; COMPUTE_PGM_RSRC2:USER_SGPR: 2
; COMPUTE_PGM_RSRC2:TRAP_HANDLER: 0
; COMPUTE_PGM_RSRC2:TGID_X_EN: 1
; COMPUTE_PGM_RSRC2:TGID_Y_EN: 1
; COMPUTE_PGM_RSRC2:TGID_Z_EN: 1
; COMPUTE_PGM_RSRC2:TIDIG_COMP_CNT: 2
; COMPUTE_PGM_RSRC3_GFX90A:ACCUM_OFFSET: 21
; COMPUTE_PGM_RSRC3_GFX90A:TG_SPLIT: 0
	.section	.text._ZL9mul_mat_fI7__half2Li64ELi3ELi4ELb0EEvPKT_PKfPKiPfiiiiiiiiiiiiiiii,"axG",@progbits,_ZL9mul_mat_fI7__half2Li64ELi3ELi4ELb0EEvPKT_PKfPKiPfiiiiiiiiiiiiiiii,comdat
	.globl	_ZL9mul_mat_fI7__half2Li64ELi3ELi4ELb0EEvPKT_PKfPKiPfiiiiiiiiiiiiiiii ; -- Begin function _ZL9mul_mat_fI7__half2Li64ELi3ELi4ELb0EEvPKT_PKfPKiPfiiiiiiiiiiiiiiii
	.p2align	8
	.type	_ZL9mul_mat_fI7__half2Li64ELi3ELi4ELb0EEvPKT_PKfPKiPfiiiiiiiiiiiiiiii,@function
_ZL9mul_mat_fI7__half2Li64ELi3ELi4ELb0EEvPKT_PKfPKiPfiiiiiiiiiiiiiiii: ; @_ZL9mul_mat_fI7__half2Li64ELi3ELi4ELb0EEvPKT_PKfPKiPfiiiiiiiiiiiiiiii
; %bb.0:
	s_load_dword s5, s[0:1], 0x20
	s_load_dwordx4 s[16:19], s[0:1], 0x2c
	v_bfe_u32 v85, v0, 10, 10
	v_lshlrev_b32_e32 v86, 6, v85
	v_and_b32_e32 v84, 0x3ff, v0
	v_add_u32_e32 v88, v86, v84
	s_waitcnt lgkmcnt(0)
	s_ashr_i32 s19, s4, 31
	v_cmp_le_i32_e32 vcc, s5, v88
	v_and_b32_e32 v87, 15, v84
	s_and_saveexec_b64 s[6:7], vcc
	s_xor_b64 s[6:7], exec, s[6:7]
; %bb.1:
	v_and_b32_e32 v87, 15, v84
                                        ; implicit-def: $vgpr88
; %bb.2:
	s_or_saveexec_b64 s[24:25], s[6:7]
	s_load_dwordx8 s[8:15], s[0:1], 0x40
	s_load_dwordx2 s[6:7], s[0:1], 0x18
	s_lshl_b32 s2, s2, 6
	v_mov_b32_e32 v3, 0
	v_accvgpr_write_b32 a0, 0
	v_accvgpr_write_b32 a1, 0
	;; [unrolled: 1-line block ×16, first 2 shown]
	v_lshlrev_b32_e32 v0, 2, v84
	s_xor_b64 exec, exec, s[24:25]
	s_cbranch_execz .LBB110_6
; %bb.3:
	s_waitcnt lgkmcnt(0)
	s_abs_i32 s26, s8
	v_cvt_f32_u32_e32 v1, s26
	s_abs_i32 s27, s12
	v_cvt_f32_u32_e32 v2, s27
	s_sub_i32 s20, 0, s26
	v_rcp_iflag_f32_e32 v1, v1
	s_abs_i32 s28, s3
	v_rcp_iflag_f32_e32 v2, v2
	s_sub_i32 s21, 0, s27
	v_mul_f32_e32 v1, 0x4f7ffffe, v1
	v_cvt_u32_f32_e32 v1, v1
	v_mul_f32_e32 v2, 0x4f7ffffe, v2
	v_cvt_u32_f32_e32 v2, v2
	s_abs_i32 s29, s4
	v_mul_lo_u32 v4, s20, v1
	v_mul_hi_u32 v4, v1, v4
	v_add_u32_e32 v1, v1, v4
	v_mul_hi_u32 v1, s28, v1
	v_mul_lo_u32 v5, s21, v2
	v_mul_lo_u32 v4, v1, s26
	v_mul_hi_u32 v5, v2, v5
	v_sub_u32_e32 v4, s28, v4
	v_add_u32_e32 v2, v2, v5
	v_subrev_u32_e32 v6, s26, v4
	v_cmp_le_u32_e32 vcc, s26, v4
	v_mul_hi_u32 v2, s29, v2
	v_add_u32_e32 v5, 1, v1
	v_cndmask_b32_e32 v4, v4, v6, vcc
	v_cndmask_b32_e32 v1, v1, v5, vcc
	v_cmp_le_u32_e32 vcc, s26, v4
	v_mul_lo_u32 v4, v2, s27
	s_load_dwordx4 s[20:23], s[0:1], 0x0
	s_ashr_i32 s0, s3, 31
	s_ashr_i32 s1, s8, 31
	v_add_u32_e32 v5, 1, v1
	v_sub_u32_e32 v4, s29, v4
	s_xor_b32 s0, s0, s1
	v_cndmask_b32_e32 v1, v1, v5, vcc
	v_add_u32_e32 v5, 1, v2
	v_subrev_u32_e32 v6, s27, v4
	v_cmp_le_u32_e32 vcc, s27, v4
	v_xor_b32_e32 v1, s0, v1
	s_ashr_i32 s8, s12, 31
	v_cndmask_b32_e32 v2, v2, v5, vcc
	v_cndmask_b32_e32 v4, v4, v6, vcc
	v_subrev_u32_e32 v1, s0, v1
	v_add_u32_e32 v5, 1, v2
	v_cmp_le_u32_e32 vcc, s27, v4
	s_xor_b32 s0, s19, s8
	v_mul_lo_u32 v6, v1, s9
	v_cndmask_b32_e32 v2, v2, v5, vcc
	s_mul_hi_i32 s9, s14, s4
	s_mul_i32 s8, s14, s4
	v_xor_b32_e32 v2, s0, v2
	s_lshl_b64 s[26:27], s[8:9], 2
	v_subrev_u32_e32 v2, s0, v2
	s_mul_i32 s0, s16, s2
	s_mul_i32 s28, s10, s3
	s_waitcnt lgkmcnt(0)
	s_add_u32 s8, s22, s26
	v_mul_hi_i32 v5, v2, s13
	v_mul_lo_u32 v4, v2, s13
	s_addc_u32 s9, s23, s27
	s_ashr_i32 s1, s0, 31
	s_ashr_i32 s29, s28, 31
	v_ashrrev_i32_e32 v7, 31, v6
	v_lshlrev_b64 v[8:9], 2, v[4:5]
	s_lshl_b64 s[12:13], s[0:1], 2
	s_lshl_b64 s[28:29], s[28:29], 2
	v_lshl_add_u64 v[4:5], s[20:21], 0, v[8:9]
	v_lshlrev_b64 v[6:7], 2, v[6:7]
	s_add_u32 s0, s8, s28
	s_movk_i32 s8, 0x1080
	v_lshrrev_b32_e32 v10, 1, v84
	v_lshl_add_u64 v[4:5], v[4:5], 0, v[6:7]
	v_mad_u32_u24 v1, v85, s8, 0
	v_mul_u32_u24_e32 v2, 0x108, v87
	v_and_b32_e32 v10, 0x1f8, v10
	v_lshl_add_u64 v[6:7], v[6:7], 0, s[12:13]
	s_addc_u32 s1, s9, s29
	v_add3_u32 v90, v1, v2, v10
	s_ashr_i32 s9, s16, 31
	s_mov_b32 s8, s16
	s_ashr_i32 s75, s17, 31
	s_mov_b32 s74, s17
	v_lshlrev_b32_e32 v2, 8, v85
	v_lshl_add_u64 v[6:7], v[6:7], 0, v[8:9]
	v_lshl_add_u64 v[4:5], v[4:5], 0, s[12:13]
	s_add_i32 s10, s16, s16
	s_add_i32 s14, s17, s17
	s_lshl_b32 s30, s16, 2
	s_lshl_b32 s35, s16, 3
	;; [unrolled: 1-line block ×4, first 2 shown]
	s_lshl_b64 s[8:9], s[8:9], 2
	s_lshl_b64 s[12:13], s[74:75], 3
	v_lshl_add_u64 v[6:7], v[6:7], 0, v[2:3]
	v_lshlrev_b32_e32 v2, 9, v85
	v_add_u32_e32 v89, v1, v0
	s_add_u32 s22, s22, s28
	v_mov_b32_e32 v1, v3
	v_lshl_add_u64 v[8:9], s[26:27], 0, v[2:3]
	v_lshlrev_b32_e32 v2, 3, v84
	s_addc_u32 s23, s23, s29
	v_lshl_add_u64 v[6:7], v[6:7], 0, v[0:1]
	v_lshl_add_u64 v[8:9], v[8:9], 0, v[2:3]
	s_mul_i32 s19, s16, 3
	s_mul_i32 s31, s16, 5
	;; [unrolled: 1-line block ×41, first 2 shown]
	v_lshl_add_u64 v[6:7], s[20:21], 0, v[6:7]
	s_mul_i32 s73, s16, 48
	s_mul_i32 s74, s16, 49
	;; [unrolled: 1-line block ×6, first 2 shown]
	v_lshl_add_u64 v[8:9], s[22:23], 0, v[8:9]
	s_mul_i32 s77, s16, 54
	s_mul_i32 s78, s16, 55
	v_accvgpr_write_b32 a15, 0
	v_accvgpr_write_b32 a14, 0
	;; [unrolled: 1-line block ×16, first 2 shown]
	s_mul_i32 s79, s16, 56
	s_mul_i32 s80, s16, 57
	s_mul_i32 s81, s16, 58
	s_mul_i32 s82, s16, 59
	s_mul_i32 s83, s16, 60
	s_mul_i32 s84, s16, 61
	s_mul_i32 s85, s16, 62
	s_mul_i32 s86, s16, 63
	s_mov_b64 s[16:17], 0
	s_mov_b64 s[20:21], 0x400
	s_mov_b64 s[22:23], 0x800
.LBB110_4:                              ; =>This Inner Loop Header: Depth=1
	v_add_u32_e32 v82, s10, v88
	v_add_u32_e32 v66, s19, v88
	;; [unrolled: 1-line block ×3, first 2 shown]
	v_lshl_add_u64 v[62:63], v[6:7], 0, s[8:9]
	v_add_u32_e32 v76, s31, v88
	v_add_u32_e32 v78, s33, v88
	v_ashrrev_i32_e32 v83, 31, v82
	v_ashrrev_i32_e32 v67, 31, v66
	;; [unrolled: 1-line block ×3, first 2 shown]
	v_add_u32_e32 v72, s34, v88
	v_add_u32_e32 v74, s35, v88
	global_load_dword v1, v[62:63], off
	v_lshl_add_u64 v[62:63], v[82:83], 2, v[4:5]
	v_lshl_add_u64 v[66:67], v[66:67], 2, v[4:5]
	;; [unrolled: 1-line block ×3, first 2 shown]
	v_ashrrev_i32_e32 v77, 31, v76
	v_ashrrev_i32_e32 v79, 31, v78
	v_add_u32_e32 v68, s36, v88
	v_add_u32_e32 v70, s37, v88
	global_load_dword v2, v[62:63], off
	global_load_dword v80, v[66:67], off
	global_load_dword v81, v[82:83], off
	v_lshl_add_u64 v[76:77], v[76:77], 2, v[4:5]
	v_lshl_add_u64 v[82:83], v[78:79], 2, v[4:5]
	v_ashrrev_i32_e32 v73, 31, v72
	v_ashrrev_i32_e32 v75, 31, v74
	v_add_u32_e32 v60, s38, v88
	v_add_u32_e32 v64, s39, v88
	global_load_dword v78, v[76:77], off
	global_load_dword v79, v[82:83], off
	v_lshl_add_u64 v[72:73], v[72:73], 2, v[4:5]
	v_lshl_add_u64 v[82:83], v[74:75], 2, v[4:5]
	v_ashrrev_i32_e32 v69, 31, v68
	v_ashrrev_i32_e32 v71, 31, v70
	v_add_u32_e32 v54, s40, v88
	v_add_u32_e32 v58, s41, v88
	global_load_dword v74, v[72:73], off
	global_load_dword v75, v[82:83], off
	;; [unrolled: 8-line block ×3, first 2 shown]
	v_lshl_add_u64 v[60:61], v[60:61], 2, v[4:5]
	v_lshl_add_u64 v[82:83], v[64:65], 2, v[4:5]
	v_ashrrev_i32_e32 v55, 31, v54
	v_ashrrev_i32_e32 v59, 31, v58
	v_add_u32_e32 v40, s44, v88
	v_add_u32_e32 v46, s45, v88
	;; [unrolled: 1-line block ×6, first 2 shown]
	global_load_dword v64, v[60:61], off
	global_load_dword v65, v[82:83], off
	v_lshl_add_u64 v[54:55], v[54:55], 2, v[4:5]
	v_lshl_add_u64 v[82:83], v[58:59], 2, v[4:5]
	v_ashrrev_i32_e32 v45, 31, v44
	v_ashrrev_i32_e32 v57, 31, v56
	v_add_u32_e32 v36, s47, v88
	v_add_u32_e32 v16, s51, v88
	;; [unrolled: 1-line block ×4, first 2 shown]
	global_load_dword v58, v[54:55], off
	global_load_dword v59, v[82:83], off
	v_lshl_add_u64 v[44:45], v[44:45], 2, v[4:5]
	v_lshl_add_u64 v[82:83], v[56:57], 2, v[4:5]
	v_ashrrev_i32_e32 v41, 31, v40
	v_ashrrev_i32_e32 v47, 31, v46
	;; [unrolled: 1-line block ×6, first 2 shown]
	v_add_u32_e32 v14, s54, v88
	v_add_u32_e32 v22, s55, v88
	global_load_dword v57, v[44:45], off
	global_load_dword v56, v[82:83], off
	v_lshl_add_u64 v[40:41], v[40:41], 2, v[4:5]
	v_lshl_add_u64 v[82:83], v[46:47], 2, v[4:5]
	v_ashrrev_i32_e32 v37, 31, v36
	v_lshl_add_u64 v[32:33], v[32:33], 2, v[4:5]
	v_lshl_add_u64 v[24:25], v[24:25], 2, v[4:5]
	;; [unrolled: 1-line block ×3, first 2 shown]
	v_ashrrev_i32_e32 v17, 31, v16
	v_lshl_add_u64 v[12:13], v[12:13], 2, v[4:5]
	v_ashrrev_i32_e32 v11, 31, v10
	v_ashrrev_i32_e32 v19, 31, v18
	v_add_u32_e32 v20, s56, v88
	v_add_u32_e32 v30, s57, v88
	global_load_dword v46, v[40:41], off
	global_load_dword v47, v[82:83], off
	v_lshl_add_u64 v[82:83], v[36:37], 2, v[4:5]
	global_load_dword v36, v[32:33], off
	global_load_dword v37, v[82:83], off
	s_nop 0
	global_load_dword v24, v[24:25], off
	s_nop 0
	global_load_dword v25, v[28:29], off
	v_lshl_add_u64 v[16:17], v[16:17], 2, v[4:5]
	global_load_dword v28, v[12:13], off
	global_load_dword v29, v[16:17], off
	v_lshl_add_u64 v[10:11], v[10:11], 2, v[4:5]
	v_lshl_add_u64 v[12:13], v[18:19], 2, v[4:5]
	v_ashrrev_i32_e32 v15, 31, v14
	v_ashrrev_i32_e32 v23, 31, v22
	v_add_u32_e32 v26, s58, v88
	v_add_u32_e32 v38, s59, v88
	global_load_dword v82, v[10:11], off
	global_load_dword v83, v[12:13], off
	v_lshl_add_u64 v[10:11], v[14:15], 2, v[4:5]
	v_lshl_add_u64 v[12:13], v[22:23], 2, v[4:5]
	v_ashrrev_i32_e32 v21, 31, v20
	v_ashrrev_i32_e32 v31, 31, v30
	v_add_u32_e32 v34, s60, v88
	v_add_u32_e32 v48, s61, v88
	;; [unrolled: 8-line block ×10, first 2 shown]
	global_load_dword v50, v[10:11], off
	global_load_dword v51, v[12:13], off
	v_lshl_add_u64 v[10:11], v[44:45], 2, v[4:5]
	v_lshl_add_u64 v[12:13], v[40:41], 2, v[4:5]
	v_ashrrev_i32_e32 v33, 31, v32
	v_ashrrev_i32_e32 v93, 31, v92
	v_add_u32_e32 v94, s76, v88
	global_load_dword v40, v[10:11], off
	global_load_dword v41, v[12:13], off
	v_lshl_add_u64 v[12:13], v[32:33], 2, v[4:5]
	v_lshl_add_u64 v[14:15], v[92:93], 2, v[4:5]
	v_ashrrev_i32_e32 v17, 31, v16
	v_ashrrev_i32_e32 v19, 31, v18
	v_add_u32_e32 v96, s26, v88
	v_add_u32_e32 v98, s27, v88
	global_load_dword v33, v[12:13], off
	global_load_dword v32, v[14:15], off
	v_lshl_add_u64 v[14:15], v[16:17], 2, v[4:5]
	v_lshl_add_u64 v[16:17], v[18:19], 2, v[4:5]
	v_ashrrev_i32_e32 v95, 31, v94
	v_add_u32_e32 v100, s77, v88
	v_add_u32_e32 v52, s78, v88
	global_load_dword v60, v[14:15], off
	global_load_dword v61, v[16:17], off
	v_ashrrev_i32_e32 v97, 31, v96
	v_lshl_add_u64 v[16:17], v[94:95], 2, v[4:5]
	v_ashrrev_i32_e32 v99, 31, v98
	v_add_u32_e32 v62, s79, v88
	v_add_u32_e32 v66, s80, v88
	v_lshl_add_u64 v[18:19], v[96:97], 2, v[4:5]
	global_load_dword v72, v[16:17], off
	global_load_dword v73, v[18:19], off
	v_lshl_add_u64 v[16:17], v[98:99], 2, v[4:5]
	v_ashrrev_i32_e32 v101, 31, v100
	v_ashrrev_i32_e32 v53, 31, v52
	v_add_u32_e32 v68, s81, v88
	global_load_dword v76, v[16:17], off
	global_load_dword v77, v[6:7], off
	v_lshl_add_u64 v[16:17], v[100:101], 2, v[4:5]
	v_lshl_add_u64 v[44:45], v[52:53], 2, v[4:5]
	v_ashrrev_i32_e32 v63, 31, v62
	v_ashrrev_i32_e32 v67, 31, v66
	v_add_u32_e32 v54, s82, v88
	global_load_dword v91, v[16:17], off
	global_load_dword v92, v[44:45], off
	s_nop 0
	global_load_dwordx2 v[16:17], v[8:9], off
	v_lshl_add_u64 v[44:45], v[62:63], 2, v[4:5]
	v_lshl_add_u64 v[52:53], v[66:67], 2, v[4:5]
	v_ashrrev_i32_e32 v69, 31, v68
	global_load_dword v62, v[44:45], off
	global_load_dword v63, v[52:53], off
	v_ashrrev_i32_e32 v55, 31, v54
	v_lshl_add_u64 v[52:53], v[68:69], 2, v[4:5]
	v_lshl_add_u64 v[44:45], v[8:9], 0, s[12:13]
	;; [unrolled: 1-line block ×3, first 2 shown]
	global_load_dword v66, v[52:53], off
	global_load_dword v67, v[54:55], off
	v_add_u32_e32 v52, s14, v88
	v_add_u32_e32 v10, s83, v88
	v_add_u32_e32 v12, s84, v88
	v_add_u32_e32 v14, s85, v88
	v_add_u32_e32 v18, s86, v88
	global_load_dwordx2 v[44:45], v[44:45], off
	v_ashrrev_i32_e32 v53, 31, v52
	v_ashrrev_i32_e32 v11, 31, v10
	v_ashrrev_i32_e32 v13, 31, v12
	v_ashrrev_i32_e32 v15, 31, v14
	v_ashrrev_i32_e32 v19, 31, v18
	v_lshl_add_u64 v[52:53], v[52:53], 3, s[0:1]
	v_lshl_add_u64 v[10:11], v[10:11], 2, v[4:5]
	;; [unrolled: 1-line block ×5, first 2 shown]
	global_load_dwordx2 v[52:53], v[52:53], off
	s_nop 0
	global_load_dword v68, v[10:11], off
	global_load_dword v69, v[12:13], off
	;; [unrolled: 1-line block ×4, first 2 shown]
	s_waitcnt vmcnt(62)
	ds_write_b32 v89, v1 offset:264
	v_accvgpr_read_b32 v97, a9
	v_accvgpr_read_b32 v96, a8
	;; [unrolled: 1-line block ×4, first 2 shown]
	v_accvgpr_mov_b32 a6, a12
	v_accvgpr_read_b32 v100, a4
	v_accvgpr_read_b32 v99, a11
	;; [unrolled: 1-line block ×3, first 2 shown]
	v_accvgpr_mov_b32 a7, a13
	v_accvgpr_mov_b32 a8, a14
	;; [unrolled: 1-line block ×3, first 2 shown]
	v_accvgpr_read_b32 v101, a5
	v_accvgpr_write_b32 a10, v96
	v_accvgpr_mov_b32 a17, a3
	v_accvgpr_mov_b32 a16, a2
	v_accvgpr_write_b32 a2, v100
	v_accvgpr_write_b32 a11, v97
	;; [unrolled: 1-line block ×7, first 2 shown]
	v_accvgpr_mov_b32 a15, a1
	v_accvgpr_mov_b32 a14, a0
	v_add_u32_e32 v88, 0x100, v88
	v_cmp_le_i32_e32 vcc, s5, v88
	v_lshl_add_u64 v[6:7], v[6:7], 0, s[20:21]
	s_or_b64 s[16:17], vcc, s[16:17]
	v_lshl_add_u64 v[8:9], v[8:9], 0, s[22:23]
	s_waitcnt vmcnt(13)
	ds_write_b32 v89, v77
	ds_write_b32 v89, v2 offset:528
	ds_write_b32 v89, v80 offset:792
	;; [unrolled: 1-line block ×14, first 2 shown]
	s_waitcnt vmcnt(10)
	v_cvt_pk_f16_f32 v77, v16, v17
	s_waitcnt vmcnt(5)
	v_cvt_pk_f16_f32 v1, v44, v45
	;; [unrolled: 2-line block ×3, first 2 shown]
	ds_read_b64 v[10:11], v90
	ds_read_b64 v[12:13], v90 offset:32
	ds_read_b64 v[14:15], v90 offset:64
	;; [unrolled: 1-line block ×7, first 2 shown]
	ds_write_b32 v89, v56
	ds_write_b32 v89, v46 offset:264
	ds_write_b32 v89, v47 offset:528
	;; [unrolled: 1-line block ×15, first 2 shown]
	ds_read_b64 v[20:21], v90
	ds_read_b64 v[22:23], v90 offset:32
	ds_read_b64 v[24:25], v90 offset:64
	;; [unrolled: 1-line block ×7, first 2 shown]
	ds_write_b32 v89, v26
	ds_write_b32 v89, v30 offset:264
	ds_write_b32 v89, v31 offset:528
	ds_write_b32 v89, v34 offset:792
	ds_write_b32 v89, v35 offset:1056
	ds_write_b32 v89, v38 offset:1320
	ds_write_b32 v89, v39 offset:1584
	ds_write_b32 v89, v42 offset:1848
	ds_write_b32 v89, v43 offset:2112
	ds_write_b32 v89, v48 offset:2376
	ds_write_b32 v89, v49 offset:2640
	ds_write_b32 v89, v50 offset:2904
	ds_write_b32 v89, v51 offset:3168
	ds_write_b32 v89, v40 offset:3432
	ds_write_b32 v89, v41 offset:3696
	ds_write_b32 v89, v33 offset:3960
	ds_read_b64 v[26:27], v90
	ds_read_b64 v[30:31], v90 offset:32
	ds_read_b64 v[34:35], v90 offset:64
	;; [unrolled: 1-line block ×7, first 2 shown]
	ds_write_b32 v89, v32
	ds_write_b32 v89, v60 offset:264
	ds_write_b32 v89, v61 offset:528
	;; [unrolled: 1-line block ×11, first 2 shown]
	s_waitcnt vmcnt(3)
	ds_write_b32 v89, v68 offset:3168
	s_waitcnt vmcnt(2)
	ds_write_b32 v89, v69 offset:3432
	;; [unrolled: 2-line block ×4, first 2 shown]
	ds_read_b64 v[32:33], v90
	ds_read_b64 v[60:61], v90 offset:32
	ds_read_b64 v[62:63], v90 offset:64
	;; [unrolled: 1-line block ×7, first 2 shown]
	ds_write_b32 v89, v77
	ds_write_b32 v89, v1 offset:264
	ds_write_b32 v89, v2 offset:528
	;; [unrolled: 1-line block ×15, first 2 shown]
	ds_read_b64 v[74:75], v90
	s_waitcnt lgkmcnt(0)
	v_mfma_f32_16x16x16_f16 a[6:9], v[10:11], v[74:75], a[6:9]
	ds_read_b64 v[10:11], v90 offset:32
	v_mfma_f32_16x16x16_f16 a[10:13], v[20:21], v[74:75], a[10:13]
	v_mfma_f32_16x16x16_f16 a[2:5], v[26:27], v[74:75], a[2:5]
	;; [unrolled: 1-line block ×3, first 2 shown]
	s_waitcnt lgkmcnt(0)
	v_mfma_f32_16x16x16_f16 a[6:9], v[12:13], v[10:11], a[6:9]
	v_mfma_f32_16x16x16_f16 a[10:13], v[22:23], v[10:11], a[10:13]
	v_mfma_f32_16x16x16_f16 a[0:3], v[30:31], v[10:11], a[2:5]
	v_mfma_f32_16x16x16_f16 a[14:17], v[60:61], v[10:11], a[14:17]
	ds_read_b64 v[10:11], v90 offset:64
	s_waitcnt lgkmcnt(0)
	v_mfma_f32_16x16x16_f16 a[4:7], v[14:15], v[10:11], a[6:9]
	v_mfma_f32_16x16x16_f16 a[8:11], v[24:25], v[10:11], a[10:13]
	v_mfma_f32_16x16x16_f16 a[0:3], v[34:35], v[10:11], a[0:3]
	v_mfma_f32_16x16x16_f16 a[12:15], v[62:63], v[10:11], a[14:17]
	ds_read_b64 v[10:11], v90 offset:96
	;; [unrolled: 6-line block ×6, first 2 shown]
	s_waitcnt lgkmcnt(0)
	v_mfma_f32_16x16x16_f16 a[12:15], v[54:55], v[10:11], a[4:7]
	v_mfma_f32_16x16x16_f16 a[8:11], v[58:59], v[10:11], a[8:11]
	;; [unrolled: 1-line block ×4, first 2 shown]
	s_andn2_b64 exec, exec, s[16:17]
	s_cbranch_execnz .LBB110_4
; %bb.5:
	s_or_b64 exec, exec, s[16:17]
.LBB110_6:
	s_or_b64 exec, exec, s[24:25]
	v_lshl_add_u32 v1, v86, 2, 0
	v_mul_u32_u24_e32 v2, 0x408, v87
	v_and_b32_e32 v3, 0x3f0, v84
	v_add3_u32 v1, v1, v2, v3
	v_accvgpr_read_b32 v2, a13
	v_accvgpr_read_b32 v3, a12
	s_waitcnt lgkmcnt(0)
	s_barrier
	ds_write2_b32 v1, v3, v2 offset1:1
	v_accvgpr_read_b32 v2, a15
	v_accvgpr_read_b32 v3, a14
	ds_write2_b32 v1, v3, v2 offset0:2 offset1:3
	v_accvgpr_read_b32 v2, a9
	v_accvgpr_read_b32 v3, a8
	ds_write2_b32 v1, v3, v2 offset0:16 offset1:17
	;; [unrolled: 3-line block ×6, first 2 shown]
	v_accvgpr_read_b32 v2, a3
	v_accvgpr_read_b32 v3, a2
	v_cmp_gt_u32_e32 vcc, 3, v85
	ds_write2_b32 v1, v3, v2 offset0:50 offset1:51
	s_waitcnt lgkmcnt(0)
	s_barrier
	s_and_saveexec_b64 s[0:1], vcc
	s_cbranch_execz .LBB110_8
; %bb.7:
	v_mul_u32_u24_e32 v1, 0x408, v85
	v_add3_u32 v2, 0, v0, v1
	ds_read2st64_b32 v[0:1], v2 offset1:1
	s_mul_hi_i32 s1, s15, s4
	s_mul_i32 s0, s15, s4
	s_lshl_b64 s[0:1], s[0:1], 2
	ds_read2st64_b32 v[2:3], v2 offset0:2 offset1:3
	s_mul_i32 s4, s11, s3
	s_add_u32 s3, s6, s0
	s_addc_u32 s6, s7, s1
	s_ashr_i32 s5, s4, 31
	s_lshl_b64 s[0:1], s[4:5], 2
	s_waitcnt lgkmcnt(1)
	v_add_f32_e32 v0, 0, v0
	s_add_u32 s0, s3, s0
	v_mul_lo_u32 v4, s18, v85
	v_add_f32_e32 v0, v0, v1
	s_addc_u32 s1, s6, s1
	v_add3_u32 v4, s2, v84, v4
	v_mov_b32_e32 v5, 0
	s_waitcnt lgkmcnt(0)
	v_add_f32_e32 v0, v0, v2
	v_add_f32_e32 v2, v0, v3
	v_lshl_add_u64 v[0:1], v[4:5], 2, s[0:1]
	global_store_dword v[0:1], v2, off
.LBB110_8:
	s_endpgm
	.section	.rodata,"a",@progbits
	.p2align	6, 0x0
	.amdhsa_kernel _ZL9mul_mat_fI7__half2Li64ELi3ELi4ELb0EEvPKT_PKfPKiPfiiiiiiiiiiiiiiii
		.amdhsa_group_segment_fixed_size 0
		.amdhsa_private_segment_fixed_size 0
		.amdhsa_kernarg_size 96
		.amdhsa_user_sgpr_count 2
		.amdhsa_user_sgpr_dispatch_ptr 0
		.amdhsa_user_sgpr_queue_ptr 0
		.amdhsa_user_sgpr_kernarg_segment_ptr 1
		.amdhsa_user_sgpr_dispatch_id 0
		.amdhsa_user_sgpr_kernarg_preload_length 0
		.amdhsa_user_sgpr_kernarg_preload_offset 0
		.amdhsa_user_sgpr_private_segment_size 0
		.amdhsa_uses_dynamic_stack 0
		.amdhsa_enable_private_segment 0
		.amdhsa_system_sgpr_workgroup_id_x 1
		.amdhsa_system_sgpr_workgroup_id_y 1
		.amdhsa_system_sgpr_workgroup_id_z 1
		.amdhsa_system_sgpr_workgroup_info 0
		.amdhsa_system_vgpr_workitem_id 1
		.amdhsa_next_free_vgpr 124
		.amdhsa_next_free_sgpr 87
		.amdhsa_accum_offset 104
		.amdhsa_reserve_vcc 1
		.amdhsa_float_round_mode_32 0
		.amdhsa_float_round_mode_16_64 0
		.amdhsa_float_denorm_mode_32 3
		.amdhsa_float_denorm_mode_16_64 3
		.amdhsa_dx10_clamp 1
		.amdhsa_ieee_mode 1
		.amdhsa_fp16_overflow 0
		.amdhsa_tg_split 0
		.amdhsa_exception_fp_ieee_invalid_op 0
		.amdhsa_exception_fp_denorm_src 0
		.amdhsa_exception_fp_ieee_div_zero 0
		.amdhsa_exception_fp_ieee_overflow 0
		.amdhsa_exception_fp_ieee_underflow 0
		.amdhsa_exception_fp_ieee_inexact 0
		.amdhsa_exception_int_div_zero 0
	.end_amdhsa_kernel
	.section	.text._ZL9mul_mat_fI7__half2Li64ELi3ELi4ELb0EEvPKT_PKfPKiPfiiiiiiiiiiiiiiii,"axG",@progbits,_ZL9mul_mat_fI7__half2Li64ELi3ELi4ELb0EEvPKT_PKfPKiPfiiiiiiiiiiiiiiii,comdat
.Lfunc_end110:
	.size	_ZL9mul_mat_fI7__half2Li64ELi3ELi4ELb0EEvPKT_PKfPKiPfiiiiiiiiiiiiiiii, .Lfunc_end110-_ZL9mul_mat_fI7__half2Li64ELi3ELi4ELb0EEvPKT_PKfPKiPfiiiiiiiiiiiiiiii
                                        ; -- End function
	.set _ZL9mul_mat_fI7__half2Li64ELi3ELi4ELb0EEvPKT_PKfPKiPfiiiiiiiiiiiiiiii.num_vgpr, 104
	.set _ZL9mul_mat_fI7__half2Li64ELi3ELi4ELb0EEvPKT_PKfPKiPfiiiiiiiiiiiiiiii.num_agpr, 20
	.set _ZL9mul_mat_fI7__half2Li64ELi3ELi4ELb0EEvPKT_PKfPKiPfiiiiiiiiiiiiiiii.numbered_sgpr, 87
	.set _ZL9mul_mat_fI7__half2Li64ELi3ELi4ELb0EEvPKT_PKfPKiPfiiiiiiiiiiiiiiii.num_named_barrier, 0
	.set _ZL9mul_mat_fI7__half2Li64ELi3ELi4ELb0EEvPKT_PKfPKiPfiiiiiiiiiiiiiiii.private_seg_size, 0
	.set _ZL9mul_mat_fI7__half2Li64ELi3ELi4ELb0EEvPKT_PKfPKiPfiiiiiiiiiiiiiiii.uses_vcc, 1
	.set _ZL9mul_mat_fI7__half2Li64ELi3ELi4ELb0EEvPKT_PKfPKiPfiiiiiiiiiiiiiiii.uses_flat_scratch, 0
	.set _ZL9mul_mat_fI7__half2Li64ELi3ELi4ELb0EEvPKT_PKfPKiPfiiiiiiiiiiiiiiii.has_dyn_sized_stack, 0
	.set _ZL9mul_mat_fI7__half2Li64ELi3ELi4ELb0EEvPKT_PKfPKiPfiiiiiiiiiiiiiiii.has_recursion, 0
	.set _ZL9mul_mat_fI7__half2Li64ELi3ELi4ELb0EEvPKT_PKfPKiPfiiiiiiiiiiiiiiii.has_indirect_call, 0
	.section	.AMDGPU.csdata,"",@progbits
; Kernel info:
; codeLenInByte = 4652
; TotalNumSgprs: 93
; NumVgprs: 104
; NumAgprs: 20
; TotalNumVgprs: 124
; ScratchSize: 0
; MemoryBound: 0
; FloatMode: 240
; IeeeMode: 1
; LDSByteSize: 0 bytes/workgroup (compile time only)
; SGPRBlocks: 11
; VGPRBlocks: 15
; NumSGPRsForWavesPerEU: 93
; NumVGPRsForWavesPerEU: 124
; AccumOffset: 104
; Occupancy: 4
; WaveLimiterHint : 0
; COMPUTE_PGM_RSRC2:SCRATCH_EN: 0
; COMPUTE_PGM_RSRC2:USER_SGPR: 2
; COMPUTE_PGM_RSRC2:TRAP_HANDLER: 0
; COMPUTE_PGM_RSRC2:TGID_X_EN: 1
; COMPUTE_PGM_RSRC2:TGID_Y_EN: 1
; COMPUTE_PGM_RSRC2:TGID_Z_EN: 1
; COMPUTE_PGM_RSRC2:TIDIG_COMP_CNT: 1
; COMPUTE_PGM_RSRC3_GFX90A:ACCUM_OFFSET: 25
; COMPUTE_PGM_RSRC3_GFX90A:TG_SPLIT: 0
	.section	.text._ZL13mul_mat_f_idsI7__half2Li64ELi3ELi5EEvPKT_PKfPKiS7_S7_Pfiiiiiiiiiiiiii15HIP_vector_typeIjLj3EESA_,"axG",@progbits,_ZL13mul_mat_f_idsI7__half2Li64ELi3ELi5EEvPKT_PKfPKiS7_S7_Pfiiiiiiiiiiiiii15HIP_vector_typeIjLj3EESA_,comdat
	.globl	_ZL13mul_mat_f_idsI7__half2Li64ELi3ELi5EEvPKT_PKfPKiS7_S7_Pfiiiiiiiiiiiiii15HIP_vector_typeIjLj3EESA_ ; -- Begin function _ZL13mul_mat_f_idsI7__half2Li64ELi3ELi5EEvPKT_PKfPKiS7_S7_Pfiiiiiiiiiiiiii15HIP_vector_typeIjLj3EESA_
	.p2align	8
	.type	_ZL13mul_mat_f_idsI7__half2Li64ELi3ELi5EEvPKT_PKfPKiS7_S7_Pfiiiiiiiiiiiiii15HIP_vector_typeIjLj3EESA_,@function
_ZL13mul_mat_f_idsI7__half2Li64ELi3ELi5EEvPKT_PKfPKiS7_S7_Pfiiiiiiiiiiiiii15HIP_vector_typeIjLj3EESA_: ; @_ZL13mul_mat_f_idsI7__half2Li64ELi3ELi5EEvPKT_PKfPKiS7_S7_Pfiiiiiiiiiiiiii15HIP_vector_typeIjLj3EESA_
; %bb.0:
	s_load_dwordx2 s[6:7], s[0:1], 0x20
	s_mov_b32 s34, s3
	s_ashr_i32 s35, s3, 31
	s_lshl_b64 s[8:9], s[34:35], 2
	s_waitcnt lgkmcnt(0)
	s_add_u32 s6, s6, s8
	s_addc_u32 s7, s7, s9
	s_load_dwordx2 s[26:27], s[6:7], 0x0
	s_waitcnt lgkmcnt(0)
	s_sub_i32 s33, s27, s26
	s_add_i32 s3, s33, 2
	s_mul_hi_i32 s3, s3, 0x55555556
	s_lshr_b32 s5, s3, 31
	s_add_i32 s3, s3, s5
	s_cmp_ge_i32 s4, s3
	s_cbranch_scc1 .LBB111_20
; %bb.1:
	v_bfe_u32 v85, v0, 10, 10
	v_lshlrev_b32_e32 v86, 6, v85
	v_and_b32_e32 v84, 0x3ff, v0
	s_load_dwordx4 s[12:15], s[0:1], 0x30
	s_load_dwordx2 s[20:21], s[0:1], 0x40
	s_load_dwordx4 s[8:11], s[0:1], 0x4c
	s_load_dwordx4 s[16:19], s[0:1], 0x68
	s_load_dwordx2 s[24:25], s[0:1], 0x78
	v_add_u32_e32 v88, v86, v84
	s_ashr_i32 s27, s26, 31
	s_waitcnt lgkmcnt(0)
	v_cmp_le_i32_e32 vcc, s12, v88
	v_and_b32_e32 v87, 15, v84
	s_and_saveexec_b64 s[6:7], vcc
	s_xor_b64 s[6:7], exec, s[6:7]
; %bb.2:
	v_and_b32_e32 v87, 15, v84
                                        ; implicit-def: $vgpr88
; %bb.3:
	s_or_saveexec_b64 s[30:31], s[6:7]
	s_load_dwordx2 s[6:7], s[0:1], 0x18
                                        ; implicit-def: $vgpr101 : SGPR spill to VGPR lane
	v_mov_b32_e32 v15, 0
	s_lshl_b32 s11, s2, 6
	s_mul_i32 s2, s4, 3
	v_mov_b32_e32 v14, v15
	s_waitcnt lgkmcnt(0)
	v_writelane_b32 v101, s6, 0
	v_mov_b32_e32 v13, v15
	v_mov_b32_e32 v12, v15
	v_writelane_b32 v101, s7, 1
	s_load_dwordx2 s[6:7], s[0:1], 0x28
	v_mov_b32_e32 v7, v15
	v_mov_b32_e32 v6, v15
	;; [unrolled: 1-line block ×4, first 2 shown]
	s_waitcnt lgkmcnt(0)
	v_writelane_b32 v101, s6, 2
	v_mov_b32_e32 v3, v15
	v_mov_b32_e32 v2, v15
	v_mov_b32_e32 v1, v15
	v_mov_b32_e32 v0, v15
	v_mov_b32_e32 v11, v15
	v_mov_b32_e32 v10, v15
	v_mov_b32_e32 v9, v15
	v_mov_b32_e32 v8, v15
	v_writelane_b32 v101, s7, 3
	s_xor_b64 exec, exec, s[30:31]
	s_cbranch_execz .LBB111_16
; %bb.4:
	s_load_dwordx4 s[4:7], s[0:1], 0x0
	s_load_dwordx2 s[22:23], s[0:1], 0x10
	s_mul_i32 s0, s8, s34
	s_ashr_i32 s1, s0, 31
	v_writelane_b32 v101, s24, 4
	s_lshl_b64 s[44:45], s[0:1], 2
	s_waitcnt lgkmcnt(0)
	s_add_u32 s0, s4, s44
	v_writelane_b32 v101, s25, 5
	s_mul_i32 s24, s15, s11
	s_addc_u32 s1, s5, s45
	s_ashr_i32 s25, s24, 31
	s_lshl_b64 s[46:47], s[24:25], 2
	s_add_u32 s0, s0, s46
	s_addc_u32 s1, s1, s47
	s_lshl_b64 s[24:25], s[26:27], 2
	s_add_u32 s8, s22, s24
	s_addc_u32 s24, s23, s25
	s_movk_i32 s3, 0x1080
	s_cmp_lt_i32 s2, s33
	v_mad_u32_u24 v1, v85, s3, 0
	s_cselect_b64 s[34:35], -1, 0
	s_ashr_i32 s3, s2, 31
	s_lshl_b64 s[22:23], s[2:3], 2
	s_add_u32 s36, s8, s22
	s_addc_u32 s37, s24, s23
	s_add_i32 s3, s2, 1
	s_cmp_lt_i32 s3, s33
	s_cselect_b64 s[38:39], -1, 0
	s_add_i32 s3, s2, 2
	s_cmp_lt_i32 s3, s33
	s_cselect_b64 s[40:41], -1, 0
	s_ashr_i32 s23, s15, 31
	s_mov_b32 s22, s15
	s_add_i32 s3, s15, s15
	s_lshl_b32 s48, s15, 2
	s_lshl_b32 s52, s15, 3
	;; [unrolled: 1-line block ×4, first 2 shown]
	s_lshl_b64 s[42:43], s[22:23], 2
	v_lshrrev_b32_e32 v3, 1, v84
	s_add_u32 s22, s44, s46
	v_mov_b32_e32 v17, 0
	v_lshlrev_b32_e32 v0, 2, v84
	v_mul_u32_u24_e32 v2, 0x108, v87
	v_and_b32_e32 v3, 0x1f8, v3
	s_addc_u32 s23, s45, s47
	v_lshlrev_b32_e32 v16, 8, v85
	v_add_u32_e32 v89, v1, v0
	v_add3_u32 v90, v1, v2, v3
	v_lshl_add_u64 v[2:3], s[22:23], 0, v[16:17]
	v_mov_b32_e32 v1, v17
	v_lshl_add_u64 v[0:1], v[2:3], 0, v[0:1]
	s_mul_i32 s8, s15, 3
	s_mul_i32 s49, s15, 5
	;; [unrolled: 1-line block ×43, first 2 shown]
	v_lshl_add_u64 v[18:19], s[4:5], 0, v[0:1]
	v_mov_b32_e32 v8, 0
	v_mov_b32_e32 v9, v17
	;; [unrolled: 1-line block ×16, first 2 shown]
	s_mul_i32 s90, s15, 50
	s_mul_i32 s91, s15, 51
	;; [unrolled: 1-line block ×14, first 2 shown]
	s_mov_b32 s23, 0x5040100
	s_mov_b64 s[4:5], 0
	s_branch .LBB111_6
.LBB111_5:                              ;   in Loop: Header=BB111_6 Depth=1
	v_perm_b32 v16, v16, v91, s23
	v_perm_b32 v91, v93, v94, s23
	ds_write2_b32 v89, v16, v91 offset1:66
	v_perm_b32 v16, v95, v92, s23
	ds_write2_b32 v89, v16, v17 offset0:132 offset1:198
	v_add_u32_e32 v16, 0x400, v89
	ds_write2_b32 v16, v17, v17 offset0:8 offset1:74
	ds_write2_b32 v16, v17, v17 offset0:140 offset1:206
	v_add_u32_e32 v16, 0x800, v89
	ds_write2_b32 v16, v17, v17 offset0:16 offset1:82
	;; [unrolled: 3-line block ×3, first 2 shown]
	ds_write2_b32 v16, v17, v17 offset0:156 offset1:222
	ds_read2_b64 v[92:95], v90 offset1:4
	s_waitcnt lgkmcnt(0)
	v_mfma_f32_16x16x16_f16 v[0:3], v[52:53], v[92:93], v[0:3]
	v_add_u32_e32 v88, 0x140, v88
	s_mov_b64 vcc, 0x500
	v_lshl_add_u64 v[18:19], v[18:19], 0, vcc
	v_mfma_f32_16x16x16_f16 v[8:11], v[36:37], v[92:93], v[8:11]
	v_cmp_le_i32_e32 vcc, s12, v88
	s_or_b64 s[4:5], vcc, s[4:5]
	v_mfma_f32_16x16x16_f16 v[4:7], v[68:69], v[92:93], v[4:7]
	v_mfma_f32_16x16x16_f16 v[12:15], v[82:83], v[92:93], v[12:15]
	v_mfma_f32_16x16x16_f16 v[0:3], v[50:51], v[94:95], v[0:3]
	ds_read2_b64 v[50:53], v90 offset0:8 offset1:12
	v_mfma_f32_16x16x16_f16 v[8:11], v[32:33], v[94:95], v[8:11]
	v_mfma_f32_16x16x16_f16 v[4:7], v[66:67], v[94:95], v[4:7]
	v_mfma_f32_16x16x16_f16 v[12:15], v[80:81], v[94:95], v[12:15]
	s_waitcnt lgkmcnt(0)
	v_mfma_f32_16x16x16_f16 v[8:11], v[30:31], v[50:51], v[8:11]
	v_mfma_f32_16x16x16_f16 v[0:3], v[46:47], v[50:51], v[0:3]
	v_mfma_f32_16x16x16_f16 v[4:7], v[64:65], v[50:51], v[4:7]
	v_mfma_f32_16x16x16_f16 v[12:15], v[76:77], v[50:51], v[12:15]
	v_mfma_f32_16x16x16_f16 v[8:11], v[28:29], v[52:53], v[8:11]
	ds_read2_b64 v[28:31], v90 offset0:16 offset1:20
	v_mfma_f32_16x16x16_f16 v[0:3], v[44:45], v[52:53], v[0:3]
	v_mfma_f32_16x16x16_f16 v[4:7], v[62:63], v[52:53], v[4:7]
	v_mfma_f32_16x16x16_f16 v[12:15], v[72:73], v[52:53], v[12:15]
	s_waitcnt lgkmcnt(0)
	v_mfma_f32_16x16x16_f16 v[8:11], v[26:27], v[28:29], v[8:11]
	v_mfma_f32_16x16x16_f16 v[0:3], v[42:43], v[28:29], v[0:3]
	;; [unrolled: 10-line block ×3, first 2 shown]
	v_mfma_f32_16x16x16_f16 v[4:7], v[54:55], v[24:25], v[4:7]
	v_mfma_f32_16x16x16_f16 v[12:15], v[70:71], v[24:25], v[12:15]
	;; [unrolled: 1-line block ×6, first 2 shown]
	s_andn2_b64 exec, exec, s[4:5]
	s_cbranch_execz .LBB111_15
.LBB111_6:                              ; =>This Inner Loop Header: Depth=1
	v_lshl_add_u64 v[20:21], v[18:19], 0, s[42:43]
	global_load_dword v16, v[18:19], off
	global_load_dword v46, v[20:21], off
	v_add_u32_e32 v20, s3, v88
	v_ashrrev_i32_e32 v21, 31, v20
	v_add_u32_e32 v22, s8, v88
	v_add_u32_e32 v24, s48, v88
	;; [unrolled: 1-line block ×5, first 2 shown]
	v_lshl_add_u64 v[20:21], v[20:21], 2, s[0:1]
	v_ashrrev_i32_e32 v23, 31, v22
	v_ashrrev_i32_e32 v25, 31, v24
	;; [unrolled: 1-line block ×5, first 2 shown]
	v_lshl_add_u64 v[22:23], v[22:23], 2, s[0:1]
	v_lshl_add_u64 v[24:25], v[24:25], 2, s[0:1]
	;; [unrolled: 1-line block ×5, first 2 shown]
	global_load_dword v47, v[20:21], off
	global_load_dword v48, v[22:23], off
	;; [unrolled: 1-line block ×6, first 2 shown]
	v_add_u32_e32 v20, s52, v88
	v_add_u32_e32 v38, s61, v88
	;; [unrolled: 1-line block ×10, first 2 shown]
	v_ashrrev_i32_e32 v21, 31, v20
	v_ashrrev_i32_e32 v39, 31, v38
	v_ashrrev_i32_e32 v23, 31, v22
	v_ashrrev_i32_e32 v25, 31, v24
	v_ashrrev_i32_e32 v27, 31, v26
	v_ashrrev_i32_e32 v29, 31, v28
	v_ashrrev_i32_e32 v31, 31, v30
	v_ashrrev_i32_e32 v33, 31, v32
	v_ashrrev_i32_e32 v35, 31, v34
	v_ashrrev_i32_e32 v37, 31, v36
	v_lshl_add_u64 v[20:21], v[20:21], 2, s[0:1]
	v_lshl_add_u64 v[38:39], v[38:39], 2, s[0:1]
	v_add_u32_e32 v40, s62, v88
	v_add_u32_e32 v42, s63, v88
	;; [unrolled: 1-line block ×3, first 2 shown]
	v_lshl_add_u64 v[22:23], v[22:23], 2, s[0:1]
	v_lshl_add_u64 v[24:25], v[24:25], 2, s[0:1]
	;; [unrolled: 1-line block ×8, first 2 shown]
	global_load_dword v53, v[20:21], off
	global_load_dword v54, v[22:23], off
	global_load_dword v55, v[24:25], off
	global_load_dword v56, v[26:27], off
	global_load_dword v57, v[28:29], off
	global_load_dword v58, v[30:31], off
	global_load_dword v59, v[32:33], off
	global_load_dword v60, v[34:35], off
	global_load_dword v61, v[36:37], off
	s_nop 0
	global_load_dword v38, v[38:39], off
	v_add_u32_e32 v20, s65, v88
	v_ashrrev_i32_e32 v41, 31, v40
	v_ashrrev_i32_e32 v43, 31, v42
	;; [unrolled: 1-line block ×4, first 2 shown]
	v_add_u32_e32 v22, s66, v88
	v_add_u32_e32 v24, s67, v88
	;; [unrolled: 1-line block ×4, first 2 shown]
	v_lshl_add_u64 v[40:41], v[40:41], 2, s[0:1]
	v_lshl_add_u64 v[42:43], v[42:43], 2, s[0:1]
	;; [unrolled: 1-line block ×4, first 2 shown]
	v_ashrrev_i32_e32 v23, 31, v22
	v_ashrrev_i32_e32 v25, 31, v24
	;; [unrolled: 1-line block ×4, first 2 shown]
	v_lshl_add_u64 v[22:23], v[22:23], 2, s[0:1]
	v_lshl_add_u64 v[24:25], v[24:25], 2, s[0:1]
	;; [unrolled: 1-line block ×4, first 2 shown]
	v_add_u32_e32 v30, s75, v88
	v_add_u32_e32 v32, s76, v88
	;; [unrolled: 1-line block ×3, first 2 shown]
	v_ashrrev_i32_e32 v31, 31, v30
	v_ashrrev_i32_e32 v33, 31, v32
	;; [unrolled: 1-line block ×3, first 2 shown]
	v_lshl_add_u64 v[30:31], v[30:31], 2, s[0:1]
	s_waitcnt vmcnt(17)
	ds_write_b32 v89, v16
	s_waitcnt vmcnt(16)
	ds_write_b32 v89, v46 offset:264
	s_waitcnt vmcnt(15)
	ds_write_b32 v89, v47 offset:528
	;; [unrolled: 2-line block ×7, first 2 shown]
	global_load_dword v16, v[40:41], off
	global_load_dword v39, v[42:43], off
	s_nop 0
	global_load_dword v40, v[44:45], off
	global_load_dword v41, v[20:21], off
	;; [unrolled: 1-line block ×4, first 2 shown]
	s_nop 0
	global_load_dword v44, v[26:27], off
	global_load_dword v45, v[28:29], off
	v_add_u32_e32 v20, s70, v88
	v_ashrrev_i32_e32 v21, 31, v20
	v_add_u32_e32 v22, s71, v88
	v_add_u32_e32 v24, s72, v88
	;; [unrolled: 1-line block ×4, first 2 shown]
	v_lshl_add_u64 v[20:21], v[20:21], 2, s[0:1]
	v_ashrrev_i32_e32 v23, 31, v22
	v_ashrrev_i32_e32 v25, 31, v24
	;; [unrolled: 1-line block ×4, first 2 shown]
	v_lshl_add_u64 v[22:23], v[22:23], 2, s[0:1]
	v_lshl_add_u64 v[24:25], v[24:25], 2, s[0:1]
	v_lshl_add_u64 v[26:27], v[26:27], 2, s[0:1]
	v_lshl_add_u64 v[28:29], v[28:29], 2, s[0:1]
	v_lshl_add_u64 v[32:33], v[32:33], 2, s[0:1]
	v_lshl_add_u64 v[34:35], v[34:35], 2, s[0:1]
	global_load_dword v46, v[20:21], off
	global_load_dword v47, v[22:23], off
	global_load_dword v48, v[24:25], off
	global_load_dword v49, v[26:27], off
	global_load_dword v50, v[28:29], off
	global_load_dword v51, v[30:31], off
	global_load_dword v62, v[32:33], off
	global_load_dword v63, v[34:35], off
	v_add_u32_e32 v20, s78, v88
	v_ashrrev_i32_e32 v21, 31, v20
	v_add_u32_e32 v22, s79, v88
	v_add_u32_e32 v24, s80, v88
	v_add_u32_e32 v26, s81, v88
	v_add_u32_e32 v28, s82, v88
	v_add_u32_e32 v30, s83, v88
	v_add_u32_e32 v32, s84, v88
	v_add_u32_e32 v34, s85, v88
	v_lshl_add_u64 v[20:21], v[20:21], 2, s[0:1]
	v_ashrrev_i32_e32 v23, 31, v22
	v_ashrrev_i32_e32 v25, 31, v24
	v_ashrrev_i32_e32 v27, 31, v26
	v_ashrrev_i32_e32 v29, 31, v28
	v_ashrrev_i32_e32 v31, 31, v30
	v_ashrrev_i32_e32 v33, 31, v32
	v_ashrrev_i32_e32 v35, 31, v34
	v_lshl_add_u64 v[22:23], v[22:23], 2, s[0:1]
	v_lshl_add_u64 v[24:25], v[24:25], 2, s[0:1]
	v_lshl_add_u64 v[26:27], v[26:27], 2, s[0:1]
	v_lshl_add_u64 v[28:29], v[28:29], 2, s[0:1]
	v_lshl_add_u64 v[30:31], v[30:31], 2, s[0:1]
	v_lshl_add_u64 v[32:33], v[32:33], 2, s[0:1]
	v_lshl_add_u64 v[34:35], v[34:35], 2, s[0:1]
	global_load_dword v64, v[20:21], off
	global_load_dword v65, v[22:23], off
	global_load_dword v66, v[24:25], off
	global_load_dword v67, v[26:27], off
	global_load_dword v68, v[28:29], off
	global_load_dword v69, v[30:31], off
	global_load_dword v70, v[32:33], off
	global_load_dword v71, v[34:35], off
	v_add_u32_e32 v20, s44, v88
	v_ashrrev_i32_e32 v21, 31, v20
	v_add_u32_e32 v22, s45, v88
	v_add_u32_e32 v24, s46, v88
	v_add_u32_e32 v26, s47, v88
	v_add_u32_e32 v28, s86, v88
	v_add_u32_e32 v30, s87, v88
	v_add_u32_e32 v32, s88, v88
	v_add_u32_e32 v34, s89, v88
	v_lshl_add_u64 v[20:21], v[20:21], 2, s[0:1]
	v_ashrrev_i32_e32 v23, 31, v22
	v_ashrrev_i32_e32 v25, 31, v24
	v_ashrrev_i32_e32 v27, 31, v26
	v_ashrrev_i32_e32 v29, 31, v28
	v_ashrrev_i32_e32 v31, 31, v30
	v_ashrrev_i32_e32 v33, 31, v32
	v_ashrrev_i32_e32 v35, 31, v34
	v_lshl_add_u64 v[22:23], v[22:23], 2, s[0:1]
	;; [unrolled: 32-line block ×3, first 2 shown]
	v_lshl_add_u64 v[24:25], v[24:25], 2, s[0:1]
	v_lshl_add_u64 v[26:27], v[26:27], 2, s[0:1]
	;; [unrolled: 1-line block ×6, first 2 shown]
	global_load_dword v80, v[20:21], off
	global_load_dword v81, v[22:23], off
	;; [unrolled: 1-line block ×8, first 2 shown]
	v_add_u32_e32 v20, s98, v88
	v_ashrrev_i32_e32 v21, 31, v20
	v_add_u32_e32 v22, s99, v88
	v_add_u32_e32 v24, s24, v88
	;; [unrolled: 1-line block ×5, first 2 shown]
	v_lshl_add_u64 v[20:21], v[20:21], 2, s[0:1]
	v_ashrrev_i32_e32 v23, 31, v22
	v_ashrrev_i32_e32 v25, 31, v24
	;; [unrolled: 1-line block ×5, first 2 shown]
	v_lshl_add_u64 v[22:23], v[22:23], 2, s[0:1]
	v_lshl_add_u64 v[24:25], v[24:25], 2, s[0:1]
	;; [unrolled: 1-line block ×5, first 2 shown]
	global_load_dword v95, v[20:21], off
	global_load_dword v96, v[22:23], off
	;; [unrolled: 1-line block ×6, first 2 shown]
	s_waitcnt vmcnt(55)
	ds_write_b32 v89, v53 offset:2112
	s_waitcnt vmcnt(54)
	ds_write_b32 v89, v54 offset:2376
	s_waitcnt vmcnt(53)
	ds_write_b32 v89, v55 offset:2640
	s_waitcnt vmcnt(52)
	ds_write_b32 v89, v56 offset:2904
	s_waitcnt vmcnt(51)
	ds_write_b32 v89, v57 offset:3168
	s_waitcnt vmcnt(50)
	ds_write_b32 v89, v58 offset:3432
	s_waitcnt vmcnt(49)
	ds_write_b32 v89, v59 offset:3696
	s_waitcnt vmcnt(48)
	ds_write_b32 v89, v60 offset:3960
	ds_read_b64 v[36:37], v90
	ds_read_b64 v[32:33], v90 offset:32
	ds_read_b64 v[30:31], v90 offset:64
	ds_read_b64 v[28:29], v90 offset:96
	ds_read_b64 v[26:27], v90 offset:128
	ds_read_b64 v[24:25], v90 offset:160
	ds_read_b64 v[22:23], v90 offset:192
	ds_read_b64 v[20:21], v90 offset:224
	s_waitcnt vmcnt(47)
	ds_write_b32 v89, v61
	s_waitcnt vmcnt(46)
	ds_write_b32 v89, v38 offset:264
	s_waitcnt vmcnt(45)
	ds_write_b32 v89, v16 offset:528
	s_waitcnt vmcnt(44)
	ds_write_b32 v89, v39 offset:792
	s_waitcnt vmcnt(43)
	ds_write_b32 v89, v40 offset:1056
	s_waitcnt vmcnt(42)
	ds_write_b32 v89, v41 offset:1320
	s_waitcnt vmcnt(41)
	ds_write_b32 v89, v42 offset:1584
	s_waitcnt vmcnt(40)
	ds_write_b32 v89, v43 offset:1848
	s_waitcnt vmcnt(39)
	ds_write_b32 v89, v44 offset:2112
	s_waitcnt vmcnt(38)
	ds_write_b32 v89, v45 offset:2376
	s_waitcnt vmcnt(37)
	ds_write_b32 v89, v46 offset:2640
	s_waitcnt vmcnt(36)
	ds_write_b32 v89, v47 offset:2904
	s_waitcnt vmcnt(35)
	ds_write_b32 v89, v48 offset:3168
	s_waitcnt vmcnt(34)
	ds_write_b32 v89, v49 offset:3432
	s_waitcnt vmcnt(33)
	ds_write_b32 v89, v50 offset:3696
	s_waitcnt vmcnt(32)
	ds_write_b32 v89, v51 offset:3960
	ds_read_b64 v[52:53], v90
	ds_read_b64 v[50:51], v90 offset:32
	ds_read_b64 v[46:47], v90 offset:64
	ds_read_b64 v[44:45], v90 offset:96
	ds_read_b64 v[42:43], v90 offset:128
	ds_read_b64 v[40:41], v90 offset:160
	ds_read_b64 v[38:39], v90 offset:192
	ds_read_b64 v[34:35], v90 offset:224
	s_waitcnt vmcnt(31)
	ds_write_b32 v89, v62
	s_waitcnt vmcnt(30)
	ds_write_b32 v89, v63 offset:264
	s_waitcnt vmcnt(29)
	ds_write_b32 v89, v64 offset:528
	s_waitcnt vmcnt(28)
	ds_write_b32 v89, v65 offset:792
	s_waitcnt vmcnt(27)
	ds_write_b32 v89, v66 offset:1056
	s_waitcnt vmcnt(26)
	ds_write_b32 v89, v67 offset:1320
	s_waitcnt vmcnt(25)
	ds_write_b32 v89, v68 offset:1584
	s_waitcnt vmcnt(24)
	ds_write_b32 v89, v69 offset:1848
	;; [unrolled: 40-line block ×3, first 2 shown]
	s_waitcnt vmcnt(7)
	ds_write_b32 v89, v93 offset:2112
	s_waitcnt vmcnt(6)
	ds_write_b32 v89, v94 offset:2376
	;; [unrolled: 2-line block ×8, first 2 shown]
	ds_read_b64 v[82:83], v90
	ds_read_b64 v[80:81], v90 offset:32
	ds_read_b64 v[76:77], v90 offset:64
	ds_read_b64 v[72:73], v90 offset:96
	ds_read_b64 v[78:79], v90 offset:128
	ds_read_b64 v[74:75], v90 offset:160
	ds_read_b64 v[70:71], v90 offset:192
	ds_read_b64 v[58:59], v90 offset:224
	s_andn2_b64 vcc, exec, s[34:35]
	v_mov_b32_e32 v91, 0
	v_mov_b32_e32 v16, 0
	s_cbranch_vccnz .LBB111_9
; %bb.7:                                ;   in Loop: Header=BB111_6 Depth=1
	s_load_dword vcc_lo, s[36:37], 0x0
	v_mov_b32_e32 v16, 0
	v_mov_b32_e32 v91, 0
	s_waitcnt lgkmcnt(0)
	s_mul_hi_u32 vcc_hi, vcc_lo, s16
	s_add_i32 vcc_hi, vcc_lo, vcc_hi
	s_lshr_b32 s28, vcc_hi, s17
	s_cmp_ge_i32 s28, s13
	s_cbranch_scc1 .LBB111_9
; %bb.8:                                ;   in Loop: Header=BB111_6 Depth=1
	s_mul_i32 vcc_hi, s28, s18
	s_sub_i32 s29, vcc_lo, vcc_hi
	s_mul_i32 s28, s28, s20
	s_mul_i32 s29, s29, s9
	v_add_u32_e32 v16, s28, v88
	v_lshl_add_u32 v92, v16, 1, s29
	v_ashrrev_i32_e32 v93, 31, v92
	v_lshl_add_u64 v[92:93], v[92:93], 2, s[6:7]
	global_load_dwordx2 v[92:93], v[92:93], off
	s_waitcnt vmcnt(0)
	v_cvt_f16_f32_e32 v91, v92
	v_cvt_f16_f32_e32 v16, v93
.LBB111_9:                              ;   in Loop: Header=BB111_6 Depth=1
	v_mov_b32_e32 v92, 0
	s_andn2_b64 vcc, exec, s[38:39]
	v_mov_b32_e32 v94, 0
	v_mov_b32_e32 v93, 0
	s_cbranch_vccnz .LBB111_12
; %bb.10:                               ;   in Loop: Header=BB111_6 Depth=1
	s_load_dword vcc_lo, s[36:37], 0x4
	v_mov_b32_e32 v93, 0
	v_mov_b32_e32 v94, 0
	s_waitcnt lgkmcnt(0)
	s_mul_hi_u32 s28, vcc_lo, s16
	s_add_i32 s28, vcc_lo, s28
	s_lshr_b32 vcc_hi, s28, s17
	s_cmp_ge_i32 vcc_hi, s13
	s_cbranch_scc1 .LBB111_12
; %bb.11:                               ;   in Loop: Header=BB111_6 Depth=1
	s_mul_i32 s28, vcc_hi, s18
	s_sub_i32 s28, vcc_lo, s28
	s_mul_i32 vcc_hi, vcc_hi, s20
	s_mul_i32 s28, s28, s9
	v_add_u32_e32 v93, vcc_hi, v88
	v_lshl_add_u32 v94, v93, 1, s28
	v_ashrrev_i32_e32 v95, 31, v94
	v_lshl_add_u64 v[94:95], v[94:95], 2, s[6:7]
	global_load_dwordx2 v[94:95], v[94:95], off
	s_waitcnt vmcnt(0)
	v_cvt_f16_f32_e32 v94, v94
	v_cvt_f16_f32_e32 v93, v95
.LBB111_12:                             ;   in Loop: Header=BB111_6 Depth=1
	s_andn2_b64 vcc, exec, s[40:41]
	v_mov_b32_e32 v95, 0
	s_cbranch_vccnz .LBB111_5
; %bb.13:                               ;   in Loop: Header=BB111_6 Depth=1
	s_load_dword vcc_lo, s[36:37], 0x8
	v_mov_b32_e32 v95, 0
	v_mov_b32_e32 v92, 0
	s_waitcnt lgkmcnt(0)
	s_mul_hi_u32 s28, vcc_lo, s16
	s_add_i32 s28, vcc_lo, s28
	s_lshr_b32 vcc_hi, s28, s17
	s_cmp_ge_i32 vcc_hi, s13
	s_cbranch_scc1 .LBB111_5
; %bb.14:                               ;   in Loop: Header=BB111_6 Depth=1
	s_mul_i32 s28, vcc_hi, s18
	s_sub_i32 s28, vcc_lo, s28
	s_mul_i32 vcc_hi, vcc_hi, s20
	s_mul_i32 s28, s28, s9
	v_add_u32_e32 v92, vcc_hi, v88
	v_lshl_add_u32 v96, v92, 1, s28
	v_ashrrev_i32_e32 v97, 31, v96
	v_lshl_add_u64 v[96:97], v[96:97], 2, s[6:7]
	global_load_dwordx2 v[96:97], v[96:97], off
	s_waitcnt vmcnt(0)
	v_cvt_f16_f32_e32 v92, v96
	v_cvt_f16_f32_e32 v95, v97
	s_branch .LBB111_5
.LBB111_15:
	s_or_b64 exec, exec, s[4:5]
	v_readlane_b32 s24, v101, 4
	v_readlane_b32 s25, v101, 5
.LBB111_16:
	s_or_b64 exec, exec, s[30:31]
	v_lshl_add_u32 v16, v86, 2, 0
	v_mul_u32_u24_e32 v17, 0x508, v87
	v_and_b32_e32 v18, 0x3f0, v84
	v_add3_u32 v16, v16, v17, v18
	v_cmp_gt_u32_e32 vcc, 3, v85
	s_barrier
	ds_write2_b32 v16, v8, v9 offset1:1
	ds_write2_b32 v16, v10, v11 offset0:2 offset1:3
	ds_write2_b32 v16, v0, v1 offset0:16 offset1:17
	;; [unrolled: 1-line block ×7, first 2 shown]
	s_waitcnt lgkmcnt(0)
	s_barrier
	s_and_saveexec_b64 s[0:1], vcc
	s_cbranch_execz .LBB111_20
; %bb.17:
	s_cmp_gt_i32 s14, 0
	v_add_u32_e32 v0, s2, v85
	s_cselect_b64 s[0:1], -1, 0
	v_cmp_gt_i32_e32 vcc, s33, v0
	s_and_b64 s[0:1], s[0:1], vcc
	s_and_b64 exec, exec, s[0:1]
	s_cbranch_execz .LBB111_20
; %bb.18:
	s_lshl_b64 s[0:1], s[26:27], 2
	v_readlane_b32 s2, v101, 0
	v_readlane_b32 s3, v101, 1
	s_add_u32 s0, s2, s0
	s_addc_u32 s1, s3, s1
	v_ashrrev_i32_e32 v1, 31, v0
	v_lshl_add_u64 v[0:1], v[0:1], 2, s[0:1]
	global_load_dword v0, v[0:1], off
	s_waitcnt vmcnt(0)
	v_mul_hi_u32 v1, v0, s19
	v_add_u32_e32 v1, v0, v1
	v_lshrrev_b32_e32 v1, s24, v1
	v_cmp_gt_i32_e32 vcc, s13, v1
	s_and_b64 exec, exec, vcc
	s_cbranch_execz .LBB111_20
; %bb.19:
	v_lshlrev_b32_e32 v2, 2, v84
	v_mul_u32_u24_e32 v3, 0x508, v85
	v_add3_u32 v6, 0, v2, v3
	ds_read2st64_b32 v[2:3], v6 offset1:1
	ds_read2st64_b32 v[4:5], v6 offset0:2 offset1:3
	ds_read_b32 v6, v6 offset:1024
	v_add_u32_e32 v7, s11, v84
	v_readlane_b32 s0, v101, 2
	s_waitcnt lgkmcnt(2)
	v_add_f32_e32 v2, 0, v2
	v_add_f32_e32 v2, v2, v3
	v_mul_lo_u32 v3, v1, s25
	v_sub_u32_e32 v0, v0, v3
	s_waitcnt lgkmcnt(1)
	v_add_f32_e32 v2, v2, v4
	v_mul_lo_u32 v0, v0, s10
	v_mul_lo_u32 v1, v1, s21
	v_add_f32_e32 v2, v2, v5
	v_add3_u32 v0, v7, v1, v0
	v_mov_b32_e32 v1, 0
	v_readlane_b32 s1, v101, 3
	s_waitcnt lgkmcnt(0)
	v_add_f32_e32 v2, v2, v6
	v_lshl_add_u64 v[0:1], v[0:1], 2, s[0:1]
	global_store_dword v[0:1], v2, off
.LBB111_20:
	s_endpgm
	.section	.rodata,"a",@progbits
	.p2align	6, 0x0
	.amdhsa_kernel _ZL13mul_mat_f_idsI7__half2Li64ELi3ELi5EEvPKT_PKfPKiS7_S7_Pfiiiiiiiiiiiiii15HIP_vector_typeIjLj3EESA_
		.amdhsa_group_segment_fixed_size 0
		.amdhsa_private_segment_fixed_size 0
		.amdhsa_kernarg_size 128
		.amdhsa_user_sgpr_count 2
		.amdhsa_user_sgpr_dispatch_ptr 0
		.amdhsa_user_sgpr_queue_ptr 0
		.amdhsa_user_sgpr_kernarg_segment_ptr 1
		.amdhsa_user_sgpr_dispatch_id 0
		.amdhsa_user_sgpr_kernarg_preload_length 0
		.amdhsa_user_sgpr_kernarg_preload_offset 0
		.amdhsa_user_sgpr_private_segment_size 0
		.amdhsa_uses_dynamic_stack 0
		.amdhsa_enable_private_segment 0
		.amdhsa_system_sgpr_workgroup_id_x 1
		.amdhsa_system_sgpr_workgroup_id_y 1
		.amdhsa_system_sgpr_workgroup_id_z 1
		.amdhsa_system_sgpr_workgroup_info 0
		.amdhsa_system_vgpr_workitem_id 1
		.amdhsa_next_free_vgpr 102
		.amdhsa_next_free_sgpr 100
		.amdhsa_accum_offset 104
		.amdhsa_reserve_vcc 1
		.amdhsa_float_round_mode_32 0
		.amdhsa_float_round_mode_16_64 0
		.amdhsa_float_denorm_mode_32 3
		.amdhsa_float_denorm_mode_16_64 3
		.amdhsa_dx10_clamp 1
		.amdhsa_ieee_mode 1
		.amdhsa_fp16_overflow 0
		.amdhsa_tg_split 0
		.amdhsa_exception_fp_ieee_invalid_op 0
		.amdhsa_exception_fp_denorm_src 0
		.amdhsa_exception_fp_ieee_div_zero 0
		.amdhsa_exception_fp_ieee_overflow 0
		.amdhsa_exception_fp_ieee_underflow 0
		.amdhsa_exception_fp_ieee_inexact 0
		.amdhsa_exception_int_div_zero 0
	.end_amdhsa_kernel
	.section	.text._ZL13mul_mat_f_idsI7__half2Li64ELi3ELi5EEvPKT_PKfPKiS7_S7_Pfiiiiiiiiiiiiii15HIP_vector_typeIjLj3EESA_,"axG",@progbits,_ZL13mul_mat_f_idsI7__half2Li64ELi3ELi5EEvPKT_PKfPKiS7_S7_Pfiiiiiiiiiiiiii15HIP_vector_typeIjLj3EESA_,comdat
.Lfunc_end111:
	.size	_ZL13mul_mat_f_idsI7__half2Li64ELi3ELi5EEvPKT_PKfPKiS7_S7_Pfiiiiiiiiiiiiii15HIP_vector_typeIjLj3EESA_, .Lfunc_end111-_ZL13mul_mat_f_idsI7__half2Li64ELi3ELi5EEvPKT_PKfPKiS7_S7_Pfiiiiiiiiiiiiii15HIP_vector_typeIjLj3EESA_
                                        ; -- End function
	.set _ZL13mul_mat_f_idsI7__half2Li64ELi3ELi5EEvPKT_PKfPKiS7_S7_Pfiiiiiiiiiiiiii15HIP_vector_typeIjLj3EESA_.num_vgpr, 102
	.set _ZL13mul_mat_f_idsI7__half2Li64ELi3ELi5EEvPKT_PKfPKiS7_S7_Pfiiiiiiiiiiiiii15HIP_vector_typeIjLj3EESA_.num_agpr, 0
	.set _ZL13mul_mat_f_idsI7__half2Li64ELi3ELi5EEvPKT_PKfPKiS7_S7_Pfiiiiiiiiiiiiii15HIP_vector_typeIjLj3EESA_.numbered_sgpr, 100
	.set _ZL13mul_mat_f_idsI7__half2Li64ELi3ELi5EEvPKT_PKfPKiS7_S7_Pfiiiiiiiiiiiiii15HIP_vector_typeIjLj3EESA_.num_named_barrier, 0
	.set _ZL13mul_mat_f_idsI7__half2Li64ELi3ELi5EEvPKT_PKfPKiS7_S7_Pfiiiiiiiiiiiiii15HIP_vector_typeIjLj3EESA_.private_seg_size, 0
	.set _ZL13mul_mat_f_idsI7__half2Li64ELi3ELi5EEvPKT_PKfPKiS7_S7_Pfiiiiiiiiiiiiii15HIP_vector_typeIjLj3EESA_.uses_vcc, 1
	.set _ZL13mul_mat_f_idsI7__half2Li64ELi3ELi5EEvPKT_PKfPKiS7_S7_Pfiiiiiiiiiiiiii15HIP_vector_typeIjLj3EESA_.uses_flat_scratch, 0
	.set _ZL13mul_mat_f_idsI7__half2Li64ELi3ELi5EEvPKT_PKfPKiS7_S7_Pfiiiiiiiiiiiiii15HIP_vector_typeIjLj3EESA_.has_dyn_sized_stack, 0
	.set _ZL13mul_mat_f_idsI7__half2Li64ELi3ELi5EEvPKT_PKfPKiS7_S7_Pfiiiiiiiiiiiiii15HIP_vector_typeIjLj3EESA_.has_recursion, 0
	.set _ZL13mul_mat_f_idsI7__half2Li64ELi3ELi5EEvPKT_PKfPKiS7_S7_Pfiiiiiiiiiiiiii15HIP_vector_typeIjLj3EESA_.has_indirect_call, 0
	.section	.AMDGPU.csdata,"",@progbits
; Kernel info:
; codeLenInByte = 4640
; TotalNumSgprs: 106
; NumVgprs: 102
; NumAgprs: 0
; TotalNumVgprs: 102
; ScratchSize: 0
; MemoryBound: 0
; FloatMode: 240
; IeeeMode: 1
; LDSByteSize: 0 bytes/workgroup (compile time only)
; SGPRBlocks: 13
; VGPRBlocks: 12
; NumSGPRsForWavesPerEU: 106
; NumVGPRsForWavesPerEU: 102
; AccumOffset: 104
; Occupancy: 4
; WaveLimiterHint : 1
; COMPUTE_PGM_RSRC2:SCRATCH_EN: 0
; COMPUTE_PGM_RSRC2:USER_SGPR: 2
; COMPUTE_PGM_RSRC2:TRAP_HANDLER: 0
; COMPUTE_PGM_RSRC2:TGID_X_EN: 1
; COMPUTE_PGM_RSRC2:TGID_Y_EN: 1
; COMPUTE_PGM_RSRC2:TGID_Z_EN: 1
; COMPUTE_PGM_RSRC2:TIDIG_COMP_CNT: 1
; COMPUTE_PGM_RSRC3_GFX90A:ACCUM_OFFSET: 25
; COMPUTE_PGM_RSRC3_GFX90A:TG_SPLIT: 0
	.section	.text._ZL9mul_mat_fI7__half2Li64ELi3ELi5ELb1EEvPKT_PKfPKiPfiiiiiiiiiiiiiiii,"axG",@progbits,_ZL9mul_mat_fI7__half2Li64ELi3ELi5ELb1EEvPKT_PKfPKiPfiiiiiiiiiiiiiiii,comdat
	.globl	_ZL9mul_mat_fI7__half2Li64ELi3ELi5ELb1EEvPKT_PKfPKiPfiiiiiiiiiiiiiiii ; -- Begin function _ZL9mul_mat_fI7__half2Li64ELi3ELi5ELb1EEvPKT_PKfPKiPfiiiiiiiiiiiiiiii
	.p2align	8
	.type	_ZL9mul_mat_fI7__half2Li64ELi3ELi5ELb1EEvPKT_PKfPKiPfiiiiiiiiiiiiiiii,@function
_ZL9mul_mat_fI7__half2Li64ELi3ELi5ELb1EEvPKT_PKfPKiPfiiiiiiiiiiiiiiii: ; @_ZL9mul_mat_fI7__half2Li64ELi3ELi5ELb1EEvPKT_PKfPKiPfiiiiiiiiiiiiiiii
; %bb.0:
	s_load_dwordx8 s[12:19], s[0:1], 0x20
	v_and_b32_e32 v16, 0x3ff, v0
	v_bfe_u32 v17, v0, 10, 10
	s_waitcnt lgkmcnt(0)
	s_add_i32 s5, s13, 2
	s_mul_hi_i32 s5, s5, 0x55555556
	s_lshr_b32 s6, s5, 31
	s_add_i32 s5, s5, s6
	v_cvt_f32_u32_e32 v1, s5
	s_load_dwordx4 s[20:23], s[0:1], 0x44
	s_load_dword s6, s[0:1], 0x64
	s_add_u32 s30, s0, 0x60
	s_addc_u32 s31, s1, 0
	v_rcp_iflag_f32_e32 v1, v1
	s_sub_i32 s7, 0, s5
	s_waitcnt lgkmcnt(0)
	s_abs_i32 s33, s23
	v_mul_f32_e32 v1, 0x4f7ffffe, v1
	v_cvt_u32_f32_e32 v1, v1
	v_mul_lo_u32 v2, s7, v1
	v_mul_hi_u32 v2, v1, v2
	v_add_u32_e32 v1, v1, v2
	v_mul_hi_u32 v1, s6, v1
	v_mul_lo_u32 v2, v1, s5
	v_sub_u32_e32 v2, s6, v2
	v_add_u32_e32 v3, 1, v1
	v_subrev_u32_e32 v4, s5, v2
	v_cmp_le_u32_e32 vcc, s5, v2
	s_nop 1
	v_cndmask_b32_e32 v1, v1, v3, vcc
	v_cndmask_b32_e32 v2, v2, v4, vcc
	v_add_u32_e32 v3, 1, v1
	v_cmp_le_u32_e32 vcc, s5, v2
	v_cvt_f32_u32_e32 v4, s33
	s_sub_i32 s5, 0, s33
	v_cndmask_b32_e32 v2, v1, v3, vcc
	v_cvt_f32_u32_e32 v1, v2
	v_rcp_iflag_f32_e32 v3, v4
	v_sub_u32_e32 v5, 0, v2
	v_cmp_eq_u32_e32 vcc, 0, v16
	v_rcp_iflag_f32_e32 v4, v1
	v_mul_f32_e32 v1, 0x4f7ffffe, v3
	v_cvt_u32_f32_e32 v1, v1
	v_mul_f32_e32 v3, 0x4f7ffffe, v4
	v_cvt_u32_f32_e32 v3, v3
	v_mul_lo_u32 v4, s5, v1
	v_mul_hi_u32 v4, v1, v4
	v_mul_lo_u32 v5, v5, v3
	v_mul_hi_u32 v5, v3, v5
	v_add_u32_e32 v3, v3, v5
	v_mul_hi_u32 v3, s3, v3
	s_and_saveexec_b64 s[6:7], vcc
; %bb.1:
	v_mov_b32_e32 v5, 0x100
	v_lshl_add_u32 v5, v17, 2, v5
	v_mov_b32_e32 v6, -1
	ds_write_b32 v5, v6
; %bb.2:
	s_or_b64 exec, exec, s[6:7]
	v_add_u32_e32 v1, v1, v4
	v_mul_lo_u32 v4, v3, v2
	v_sub_u32_e32 v4, s3, v4
	v_add_u32_e32 v5, 1, v3
	v_sub_u32_e32 v6, v4, v2
	v_cmp_ge_u32_e32 vcc, v4, v2
	s_load_dwordx4 s[24:27], s[0:1], 0x54
	s_waitcnt lgkmcnt(0)
	s_abs_i32 s27, s4
	v_cndmask_b32_e32 v3, v3, v5, vcc
	v_cndmask_b32_e32 v4, v4, v6, vcc
	v_add_u32_e32 v5, 1, v3
	v_cmp_ge_u32_e32 vcc, v4, v2
	v_mov_b32_e32 v6, 0
	s_nop 0
	v_cndmask_b32_e32 v3, v3, v5, vcc
	v_mul_lo_u32 v2, v3, v2
	v_mul_lo_u32 v94, v3, 3
	v_sub_u32_e32 v18, s3, v2
	v_add_u32_e32 v2, v17, v94
	v_cmp_gt_i32_e64 s[8:9], s13, v2
	s_and_saveexec_b64 s[10:11], s[8:9]
	s_cbranch_execz .LBB112_10
; %bb.3:
	v_cmp_gt_i32_e32 vcc, s14, v16
	v_mov_b32_e32 v6, 0
	s_and_saveexec_b64 s[28:29], vcc
	s_cbranch_execz .LBB112_9
; %bb.4:
	s_load_dwordx2 s[6:7], s[0:1], 0x10
	v_mul_hi_i32 v3, v94, s19
	v_mul_lo_u32 v2, v94, s19
	v_mul_lo_u32 v4, v17, s19
	v_lshlrev_b64 v[2:3], 2, v[2:3]
	s_waitcnt lgkmcnt(0)
	v_lshl_add_u64 v[2:3], s[6:7], 0, v[2:3]
	v_ashrrev_i32_e32 v5, 31, v4
	v_lshl_add_u64 v[2:3], v[4:5], 2, v[2:3]
	v_mov_b32_e32 v4, 0x100
	v_lshl_add_u32 v7, v17, 2, v4
	v_mul_lo_u32 v4, v16, s18
	s_lshl_b32 s3, s18, 6
	v_mov_b32_e32 v6, 0
	s_mov_b64 s[18:19], 0
	v_mov_b32_e32 v8, v16
	s_branch .LBB112_6
.LBB112_5:                              ;   in Loop: Header=BB112_6 Depth=1
	s_or_b64 exec, exec, s[34:35]
	v_add_u32_e32 v8, 64, v8
	v_cmp_le_i32_e64 s[6:7], s14, v8
	s_xor_b64 s[34:35], vcc, -1
	s_or_b64 s[6:7], s[34:35], s[6:7]
	s_and_b64 s[6:7], exec, s[6:7]
	s_or_b64 s[18:19], s[6:7], s[18:19]
	v_add_u32_e32 v4, s3, v4
	s_andn2_b64 exec, exec, s[18:19]
	s_cbranch_execz .LBB112_8
.LBB112_6:                              ; =>This Inner Loop Header: Depth=1
	v_ashrrev_i32_e32 v5, 31, v4
	v_lshl_add_u64 v[10:11], v[4:5], 2, v[2:3]
	global_load_dword v5, v[10:11], off
	s_waitcnt vmcnt(0)
	v_cmp_ne_u32_e32 vcc, v5, v18
	v_cmp_eq_u32_e64 s[6:7], v5, v18
	s_and_saveexec_b64 s[34:35], s[6:7]
	s_cbranch_execz .LBB112_5
; %bb.7:                                ;   in Loop: Header=BB112_6 Depth=1
	v_mov_b32_e32 v6, 1
	ds_write_b32 v7, v8
	s_branch .LBB112_5
.LBB112_8:
	s_or_b64 exec, exec, s[18:19]
.LBB112_9:
	s_or_b64 exec, exec, s[28:29]
.LBB112_10:
	s_or_b64 exec, exec, s[10:11]
	s_load_dwordx2 s[18:19], s[30:31], 0xc
	s_load_dwordx2 s[28:29], s[0:1], 0x8
	;; [unrolled: 1-line block ×3, first 2 shown]
	v_mul_hi_u32 v19, s27, v1
	v_or_b32_dpp v1, v6, v6 row_shl:1 row_mask:0xf bank_mask:0xf bound_ctrl:1
	s_waitcnt lgkmcnt(0)
	s_lshr_b32 s6, s18, 16
	s_and_b32 s5, s18, 0xffff
	v_or_b32_dpp v1, v1, v1 row_shl:2 row_mask:0xf bank_mask:0xf bound_ctrl:1
	s_mul_i32 s7, s6, s5
	s_and_b32 s3, s19, 0xffff
	v_or_b32_dpp v1, v1, v1 row_shl:4 row_mask:0xf bank_mask:0xf bound_ctrl:1
	s_bfe_i32 s7, s7, 0x180000
	s_mul_i32 s3, s7, s3
	v_or_b32_dpp v1, v1, v1 row_shl:8 row_mask:0xf bank_mask:0xf bound_ctrl:1
	s_add_i32 s7, s3, 63
	s_bitcmp1_b32 exec_hi, 0
	v_mov_b32_dpp v2, v1 wave_shl:1 row_mask:0xf bank_mask:0xf bound_ctrl:1
	s_nop 1
	v_or_b32_dpp v1, v2, v1 row_mirror row_mask:0xf bank_mask:0xf bound_ctrl:1
	s_nop 0
	v_readlane_b32 s3, v1, 32
	s_cselect_b32 s3, s3, 0
	v_readlane_b32 s14, v1, 0
	s_or_b32 s3, s3, s14
	s_andn2_b32 s7, s7, 63
	s_cmp_lg_u32 s7, 64
	v_mov_b32_e32 v1, s3
	s_cbranch_scc0 .LBB112_17
; %bb.11:
	v_bfe_u32 v0, v0, 20, 10
	v_mbcnt_lo_u32_b32 v1, -1, 0
	v_mad_u32_u24 v0, v0, s6, v17
	v_mbcnt_hi_u32_b32 v2, -1, v1
	v_mad_u64_u32 v[0:1], s[6:7], v0, s5, v[16:17]
	v_lshrrev_b32_e32 v1, 6, v0
	v_or_b32_e32 v1, v2, v1
	v_cmp_eq_u32_e32 vcc, 0, v1
	s_and_saveexec_b64 s[6:7], vcc
; %bb.12:
	v_mov_b32_e32 v1, 0
	v_mov_b32_e32 v3, s3
	ds_write_b32 v1, v3
; %bb.13:
	s_or_b64 exec, exec, s[6:7]
	v_cmp_eq_u32_e32 vcc, 0, v2
	v_cmp_lt_u32_e64 s[6:7], 63, v0
	s_and_b64 s[18:19], s[6:7], vcc
	s_waitcnt lgkmcnt(0)
	s_barrier
	s_and_saveexec_b64 s[6:7], s[18:19]
	s_cbranch_execz .LBB112_16
; %bb.14:
	v_mbcnt_lo_u32_b32 v0, exec_lo, 0
	v_mbcnt_hi_u32_b32 v0, exec_hi, v0
	v_cmp_eq_u32_e32 vcc, 0, v0
	s_and_b64 exec, exec, vcc
; %bb.15:
	v_mov_b32_e32 v0, 0
	v_mov_b32_e32 v1, s3
	ds_or_b32 v0, v1
.LBB112_16:
	s_or_b64 exec, exec, s[6:7]
	v_mov_b32_e32 v0, 0
	s_waitcnt lgkmcnt(0)
	s_barrier
	ds_read_b32 v1, v0
	s_waitcnt lgkmcnt(0)
	s_barrier
.LBB112_17:
	s_load_dwordx2 s[0:1], s[0:1], 0x0
	v_cmp_ne_u32_e32 vcc, 0, v1
	s_ashr_i32 s3, s4, 31
	s_ashr_i32 s14, s23, 31
	s_cbranch_vccz .LBB112_39
; %bb.18:
	v_lshlrev_b32_e32 v95, 6, v17
	v_add_u32_e32 v97, v95, v16
	v_cmp_le_i32_e32 vcc, s12, v97
	v_and_b32_e32 v96, 15, v16
	s_and_saveexec_b64 s[6:7], vcc
	s_xor_b64 s[6:7], exec, s[6:7]
; %bb.19:
	v_and_b32_e32 v96, 15, v16
                                        ; implicit-def: $vgpr97
                                        ; implicit-def: $vgpr19
                                        ; implicit-def: $vgpr18
; %bb.20:
	s_or_saveexec_b64 s[18:19], s[6:7]
	v_mov_b32_e32 v11, 0
	s_lshl_b32 s5, s2, 6
	v_mov_b32_e32 v10, v11
	v_mov_b32_e32 v9, v11
	;; [unrolled: 1-line block ×15, first 2 shown]
	s_xor_b64 exec, exec, s[18:19]
	s_cbranch_execz .LBB112_36
; %bb.21:
	v_mul_lo_u32 v0, v19, s33
	v_sub_u32_e32 v0, s27, v0
	v_add_u32_e32 v1, 1, v19
	v_subrev_u32_e32 v2, s33, v0
	v_cmp_le_u32_e32 vcc, s33, v0
	s_xor_b32 s2, s3, s14
	s_movk_i32 s6, 0x1080
	v_cndmask_b32_e32 v1, v19, v1, vcc
	v_cndmask_b32_e32 v0, v0, v2, vcc
	v_add_u32_e32 v2, 1, v1
	v_cmp_le_u32_e32 vcc, s33, v0
	v_mov_b32_e32 v98, 0x100
	v_mad_u32_u24 v6, v17, s6, v98
	v_cndmask_b32_e32 v0, v1, v2, vcc
	v_xor_b32_e32 v0, s2, v0
	v_subrev_u32_e32 v0, s2, v0
	v_mul_hi_i32 v1, v0, s24
	v_mul_lo_u32 v0, v0, s24
	v_mul_lo_u32 v2, v18, s20
	v_ashrrev_i32_e32 v3, 31, v2
	s_mul_i32 s2, s15, s5
	v_lshlrev_b64 v[0:1], 2, v[0:1]
	s_waitcnt lgkmcnt(0)
	v_lshl_add_u64 v[4:5], s[0:1], 0, v[0:1]
	v_lshlrev_b64 v[2:3], 2, v[2:3]
	s_ashr_i32 s3, s2, 31
	s_mul_hi_i32 s7, s25, s4
	s_mul_i32 s6, s25, s4
	v_lshl_add_u64 v[4:5], v[4:5], 0, v[2:3]
	s_lshl_b64 s[2:3], s[2:3], 2
	s_lshl_b64 s[6:7], s[6:7], 2
	v_lshl_add_u64 v[18:19], v[4:5], 0, s[2:3]
	v_mul_hi_i32 v5, s16, v94
	v_mul_lo_u32 v4, s16, v94
	s_add_u32 s6, s28, s6
	v_lshlrev_b64 v[4:5], 3, v[4:5]
	s_addc_u32 s7, s29, s7
	v_lshl_add_u64 v[0:1], v[0:1], 0, s[2:3]
	v_lshl_add_u64 v[20:21], s[6:7], 0, v[4:5]
	v_lshrrev_b32_e32 v5, 1, v16
	v_lshl_add_u64 v[0:1], v[0:1], 0, v[2:3]
	v_mul_u32_u24_e32 v4, 0x108, v96
	v_and_b32_e32 v5, 0x1f8, v5
	v_add_u32_e32 v26, 1, v94
	v_add_u32_e32 v27, 2, v94
	s_ashr_i32 s7, s15, 31
	s_mov_b32 s6, s15
	v_lshl_add_u64 v[0:1], s[0:1], 0, v[0:1]
	v_lshlrev_b32_e32 v2, 1, v16
	v_lshlrev_b32_e32 v22, 2, v97
	v_mov_b32_e32 v23, 0
	v_lshl_add_u32 v99, v16, 2, v6
	v_add3_u32 v100, v6, v4, v5
	s_lshl_b32 s20, s16, 2
	s_add_i32 s23, s15, s15
	s_mul_i32 s27, s15, 3
	s_lshl_b32 s30, s15, 2
	s_mul_i32 s31, s15, 5
	s_mul_i32 s33, s15, 6
	;; [unrolled: 1-line block ×3, first 2 shown]
	s_lshl_b32 s35, s15, 3
	s_mul_i32 s36, s15, 9
	s_mul_i32 s37, s15, 10
	;; [unrolled: 1-line block ×7, first 2 shown]
	s_lshl_b32 s43, s15, 4
	s_mul_i32 s44, s15, 17
	s_mul_i32 s45, s15, 18
	;; [unrolled: 1-line block ×15, first 2 shown]
	s_lshl_b32 s59, s15, 5
	s_mul_i32 s60, s15, 33
	s_mul_i32 s61, s15, 34
	;; [unrolled: 1-line block ×22, first 2 shown]
	v_cmp_gt_i32_e64 s[2:3], s13, v94
	s_mul_i32 s82, s15, 55
	s_mul_i32 s83, s15, 56
	v_lshl_add_u32 v101, v17, 7, v2
	s_lshl_b64 s[24:25], s[6:7], 2
	v_lshl_add_u64 v[24:25], v[0:1], 0, v[22:23]
	v_mov_b32_e32 v12, 0
	v_mov_b32_e32 v13, v23
	;; [unrolled: 1-line block ×16, first 2 shown]
	s_mul_i32 s84, s15, 57
	s_mul_i32 s85, s15, 58
	;; [unrolled: 1-line block ×7, first 2 shown]
	s_lshl_b32 s16, s16, 1
	v_cmp_gt_i32_e64 s[0:1], s13, v26
	v_cmp_gt_i32_e64 s[6:7], s13, v27
	s_mov_b64 s[14:15], 0
	s_mov_b64 s[28:29], 0x500
	s_branch .LBB112_24
.LBB112_22:                             ;   in Loop: Header=BB112_24 Depth=1
	v_mul_lo_u32 v22, v22, s21
	v_add_u32_e32 v22, s20, v22
	v_add_u32_e32 v90, v22, v101
	v_ashrrev_i32_e32 v91, 31, v90
	v_lshl_add_u64 v[90:91], v[90:91], 2, v[20:21]
	global_load_dwordx2 v[90:91], v[90:91], off
.LBB112_23:                             ;   in Loop: Header=BB112_24 Depth=1
	s_waitcnt vmcnt(0)
	v_cvt_pk_f16_f32 v22, v90, v91
	ds_write2_b32 v99, v22, v23 offset0:148 offset1:214
	v_add_u32_e32 v22, 0x400, v99
	ds_write2_b32 v22, v23, v23 offset0:24 offset1:90
	ds_write2_b32 v22, v23, v23 offset0:156 offset1:222
	v_add_u32_e32 v22, 0x800, v99
	ds_write2_b32 v22, v23, v23 offset0:32 offset1:98
	;; [unrolled: 3-line block ×3, first 2 shown]
	ds_write2_b32 v22, v23, v23 offset0:172 offset1:238
	ds_read2_b64 v[90:93], v100 offset0:8 offset1:12
	v_add_u32_e32 v97, 0x140, v97
	s_waitcnt lgkmcnt(0)
	v_mfma_f32_16x16x16_f16 v[0:3], v[58:59], v[90:91], v[0:3]
	v_cmp_le_i32_e32 vcc, s12, v97
	v_add_u32_e32 v101, 0x280, v101
	v_lshl_add_u64 v[24:25], v[24:25], 0, s[28:29]
	v_mfma_f32_16x16x16_f16 v[8:11], v[42:43], v[90:91], v[8:11]
	s_or_b64 s[14:15], vcc, s[14:15]
	v_mfma_f32_16x16x16_f16 v[4:7], v[74:75], v[90:91], v[4:7]
	v_mfma_f32_16x16x16_f16 v[12:15], v[88:89], v[90:91], v[12:15]
	v_mfma_f32_16x16x16_f16 v[0:3], v[56:57], v[92:93], v[0:3]
	ds_read2_b64 v[56:59], v100 offset0:16 offset1:20
	v_mfma_f32_16x16x16_f16 v[8:11], v[38:39], v[92:93], v[8:11]
	v_mfma_f32_16x16x16_f16 v[4:7], v[72:73], v[92:93], v[4:7]
	v_mfma_f32_16x16x16_f16 v[12:15], v[86:87], v[92:93], v[12:15]
	s_waitcnt lgkmcnt(0)
	v_mfma_f32_16x16x16_f16 v[8:11], v[36:37], v[56:57], v[8:11]
	v_mfma_f32_16x16x16_f16 v[0:3], v[52:53], v[56:57], v[0:3]
	v_mfma_f32_16x16x16_f16 v[4:7], v[70:71], v[56:57], v[4:7]
	v_mfma_f32_16x16x16_f16 v[12:15], v[84:85], v[56:57], v[12:15]
	v_mfma_f32_16x16x16_f16 v[8:11], v[34:35], v[58:59], v[8:11]
	ds_read2_b64 v[34:37], v100 offset0:24 offset1:28
	v_mfma_f32_16x16x16_f16 v[0:3], v[50:51], v[58:59], v[0:3]
	v_mfma_f32_16x16x16_f16 v[4:7], v[68:69], v[58:59], v[4:7]
	v_mfma_f32_16x16x16_f16 v[12:15], v[82:83], v[58:59], v[12:15]
	s_waitcnt lgkmcnt(0)
	v_mfma_f32_16x16x16_f16 v[8:11], v[32:33], v[34:35], v[8:11]
	v_mfma_f32_16x16x16_f16 v[0:3], v[48:49], v[34:35], v[0:3]
	v_mfma_f32_16x16x16_f16 v[4:7], v[64:65], v[34:35], v[4:7]
	v_mfma_f32_16x16x16_f16 v[12:15], v[80:81], v[34:35], v[12:15]
	v_mfma_f32_16x16x16_f16 v[8:11], v[30:31], v[36:37], v[8:11]
	ds_read2_b64 v[30:33], v100 offset0:32 offset1:36
	v_mfma_f32_16x16x16_f16 v[0:3], v[46:47], v[36:37], v[0:3]
	v_mfma_f32_16x16x16_f16 v[4:7], v[62:63], v[36:37], v[4:7]
	v_mfma_f32_16x16x16_f16 v[12:15], v[78:79], v[36:37], v[12:15]
	s_waitcnt lgkmcnt(0)
	v_mfma_f32_16x16x16_f16 v[8:11], v[28:29], v[30:31], v[8:11]
	v_mfma_f32_16x16x16_f16 v[0:3], v[44:45], v[30:31], v[0:3]
	v_mfma_f32_16x16x16_f16 v[4:7], v[60:61], v[30:31], v[4:7]
	v_mfma_f32_16x16x16_f16 v[12:15], v[76:77], v[30:31], v[12:15]
	;; [unrolled: 1-line block ×6, first 2 shown]
	s_andn2_b64 exec, exec, s[14:15]
	s_cbranch_execz .LBB112_35
.LBB112_24:                             ; =>This Inner Loop Header: Depth=1
	v_lshl_add_u64 v[26:27], v[24:25], 0, s[24:25]
	global_load_dword v22, v[24:25], off
	global_load_dword v52, v[26:27], off
	v_add_u32_e32 v26, s23, v97
	v_ashrrev_i32_e32 v27, 31, v26
	v_add_u32_e32 v28, s27, v97
	v_add_u32_e32 v30, s30, v97
	;; [unrolled: 1-line block ×5, first 2 shown]
	v_lshl_add_u64 v[26:27], v[26:27], 2, v[18:19]
	v_ashrrev_i32_e32 v29, 31, v28
	v_ashrrev_i32_e32 v31, 31, v30
	;; [unrolled: 1-line block ×5, first 2 shown]
	v_lshl_add_u64 v[28:29], v[28:29], 2, v[18:19]
	v_lshl_add_u64 v[30:31], v[30:31], 2, v[18:19]
	;; [unrolled: 1-line block ×5, first 2 shown]
	global_load_dword v53, v[26:27], off
	global_load_dword v54, v[28:29], off
	;; [unrolled: 1-line block ×6, first 2 shown]
	v_add_u32_e32 v26, s35, v97
	v_add_u32_e32 v44, s44, v97
	;; [unrolled: 1-line block ×10, first 2 shown]
	v_ashrrev_i32_e32 v27, 31, v26
	v_ashrrev_i32_e32 v45, 31, v44
	;; [unrolled: 1-line block ×10, first 2 shown]
	v_lshl_add_u64 v[26:27], v[26:27], 2, v[18:19]
	v_lshl_add_u64 v[44:45], v[44:45], 2, v[18:19]
	v_add_u32_e32 v46, s45, v97
	v_add_u32_e32 v48, s46, v97
	;; [unrolled: 1-line block ×3, first 2 shown]
	v_lshl_add_u64 v[28:29], v[28:29], 2, v[18:19]
	v_lshl_add_u64 v[30:31], v[30:31], 2, v[18:19]
	;; [unrolled: 1-line block ×8, first 2 shown]
	global_load_dword v59, v[26:27], off
	global_load_dword v60, v[28:29], off
	;; [unrolled: 1-line block ×9, first 2 shown]
	s_nop 0
	global_load_dword v44, v[44:45], off
	v_add_u32_e32 v26, s48, v97
	v_ashrrev_i32_e32 v47, 31, v46
	v_ashrrev_i32_e32 v49, 31, v48
	;; [unrolled: 1-line block ×4, first 2 shown]
	v_add_u32_e32 v28, s49, v97
	v_add_u32_e32 v30, s50, v97
	;; [unrolled: 1-line block ×4, first 2 shown]
	v_lshl_add_u64 v[46:47], v[46:47], 2, v[18:19]
	v_lshl_add_u64 v[48:49], v[48:49], 2, v[18:19]
	;; [unrolled: 1-line block ×4, first 2 shown]
	v_ashrrev_i32_e32 v29, 31, v28
	v_ashrrev_i32_e32 v31, 31, v30
	;; [unrolled: 1-line block ×4, first 2 shown]
	v_lshl_add_u64 v[28:29], v[28:29], 2, v[18:19]
	v_lshl_add_u64 v[30:31], v[30:31], 2, v[18:19]
	;; [unrolled: 1-line block ×4, first 2 shown]
	v_add_u32_e32 v36, s58, v97
	v_add_u32_e32 v38, s59, v97
	;; [unrolled: 1-line block ×3, first 2 shown]
	v_ashrrev_i32_e32 v37, 31, v36
	v_ashrrev_i32_e32 v39, 31, v38
	;; [unrolled: 1-line block ×3, first 2 shown]
	v_lshl_add_u64 v[36:37], v[36:37], 2, v[18:19]
	s_waitcnt vmcnt(17)
	ds_write_b32 v99, v22 offset:64
	s_waitcnt vmcnt(16)
	ds_write_b32 v99, v52 offset:328
	;; [unrolled: 2-line block ×8, first 2 shown]
	global_load_dword v22, v[46:47], off
	global_load_dword v45, v[48:49], off
	s_nop 0
	global_load_dword v46, v[50:51], off
	global_load_dword v47, v[26:27], off
	;; [unrolled: 1-line block ×4, first 2 shown]
	s_nop 0
	global_load_dword v50, v[32:33], off
	global_load_dword v51, v[34:35], off
	v_add_u32_e32 v26, s53, v97
	v_ashrrev_i32_e32 v27, 31, v26
	v_add_u32_e32 v28, s54, v97
	v_add_u32_e32 v30, s55, v97
	;; [unrolled: 1-line block ×4, first 2 shown]
	v_lshl_add_u64 v[26:27], v[26:27], 2, v[18:19]
	v_ashrrev_i32_e32 v29, 31, v28
	v_ashrrev_i32_e32 v31, 31, v30
	;; [unrolled: 1-line block ×4, first 2 shown]
	v_lshl_add_u64 v[28:29], v[28:29], 2, v[18:19]
	v_lshl_add_u64 v[30:31], v[30:31], 2, v[18:19]
	v_lshl_add_u64 v[32:33], v[32:33], 2, v[18:19]
	v_lshl_add_u64 v[34:35], v[34:35], 2, v[18:19]
	v_lshl_add_u64 v[38:39], v[38:39], 2, v[18:19]
	v_lshl_add_u64 v[40:41], v[40:41], 2, v[18:19]
	global_load_dword v52, v[26:27], off
	global_load_dword v53, v[28:29], off
	global_load_dword v54, v[30:31], off
	global_load_dword v55, v[32:33], off
	global_load_dword v56, v[34:35], off
	global_load_dword v57, v[36:37], off
	global_load_dword v68, v[38:39], off
	global_load_dword v69, v[40:41], off
	v_add_u32_e32 v26, s61, v97
	v_ashrrev_i32_e32 v27, 31, v26
	v_add_u32_e32 v28, s62, v97
	v_add_u32_e32 v30, s63, v97
	v_add_u32_e32 v32, s64, v97
	v_add_u32_e32 v34, s65, v97
	v_add_u32_e32 v36, s66, v97
	v_add_u32_e32 v38, s67, v97
	v_add_u32_e32 v40, s68, v97
	v_lshl_add_u64 v[26:27], v[26:27], 2, v[18:19]
	v_ashrrev_i32_e32 v29, 31, v28
	v_ashrrev_i32_e32 v31, 31, v30
	v_ashrrev_i32_e32 v33, 31, v32
	v_ashrrev_i32_e32 v35, 31, v34
	v_ashrrev_i32_e32 v37, 31, v36
	v_ashrrev_i32_e32 v39, 31, v38
	v_ashrrev_i32_e32 v41, 31, v40
	v_lshl_add_u64 v[28:29], v[28:29], 2, v[18:19]
	v_lshl_add_u64 v[30:31], v[30:31], 2, v[18:19]
	v_lshl_add_u64 v[32:33], v[32:33], 2, v[18:19]
	v_lshl_add_u64 v[34:35], v[34:35], 2, v[18:19]
	v_lshl_add_u64 v[36:37], v[36:37], 2, v[18:19]
	v_lshl_add_u64 v[38:39], v[38:39], 2, v[18:19]
	v_lshl_add_u64 v[40:41], v[40:41], 2, v[18:19]
	global_load_dword v70, v[26:27], off
	global_load_dword v71, v[28:29], off
	global_load_dword v72, v[30:31], off
	global_load_dword v73, v[32:33], off
	global_load_dword v74, v[34:35], off
	global_load_dword v75, v[36:37], off
	global_load_dword v76, v[38:39], off
	global_load_dword v77, v[40:41], off
	v_add_u32_e32 v26, s69, v97
	v_ashrrev_i32_e32 v27, 31, v26
	v_add_u32_e32 v28, s70, v97
	v_add_u32_e32 v30, s71, v97
	v_add_u32_e32 v32, s72, v97
	v_add_u32_e32 v34, s73, v97
	v_add_u32_e32 v36, s74, v97
	v_add_u32_e32 v38, s75, v97
	v_add_u32_e32 v40, s76, v97
	v_lshl_add_u64 v[26:27], v[26:27], 2, v[18:19]
	v_ashrrev_i32_e32 v29, 31, v28
	v_ashrrev_i32_e32 v31, 31, v30
	v_ashrrev_i32_e32 v33, 31, v32
	v_ashrrev_i32_e32 v35, 31, v34
	v_ashrrev_i32_e32 v37, 31, v36
	v_ashrrev_i32_e32 v39, 31, v38
	v_ashrrev_i32_e32 v41, 31, v40
	v_lshl_add_u64 v[28:29], v[28:29], 2, v[18:19]
	;; [unrolled: 32-line block ×3, first 2 shown]
	v_lshl_add_u64 v[30:31], v[30:31], 2, v[18:19]
	v_lshl_add_u64 v[32:33], v[32:33], 2, v[18:19]
	;; [unrolled: 1-line block ×6, first 2 shown]
	global_load_dword v86, v[26:27], off
	global_load_dword v87, v[28:29], off
	;; [unrolled: 1-line block ×8, first 2 shown]
	v_add_u32_e32 v26, s85, v97
	v_ashrrev_i32_e32 v27, 31, v26
	v_add_u32_e32 v28, s86, v97
	v_add_u32_e32 v30, s87, v97
	;; [unrolled: 1-line block ×5, first 2 shown]
	v_lshl_add_u64 v[26:27], v[26:27], 2, v[18:19]
	v_ashrrev_i32_e32 v29, 31, v28
	v_ashrrev_i32_e32 v31, 31, v30
	;; [unrolled: 1-line block ×5, first 2 shown]
	v_lshl_add_u64 v[28:29], v[28:29], 2, v[18:19]
	v_lshl_add_u64 v[30:31], v[30:31], 2, v[18:19]
	;; [unrolled: 1-line block ×5, first 2 shown]
	global_load_dword v102, v[26:27], off
	global_load_dword v103, v[28:29], off
	;; [unrolled: 1-line block ×6, first 2 shown]
	s_waitcnt vmcnt(55)
	ds_write_b32 v99, v59 offset:2176
	s_waitcnt vmcnt(54)
	ds_write_b32 v99, v60 offset:2440
	s_waitcnt vmcnt(53)
	ds_write_b32 v99, v61 offset:2704
	s_waitcnt vmcnt(52)
	ds_write_b32 v99, v62 offset:2968
	s_waitcnt vmcnt(51)
	ds_write_b32 v99, v63 offset:3232
	s_waitcnt vmcnt(50)
	ds_write_b32 v99, v64 offset:3496
	s_waitcnt vmcnt(49)
	ds_write_b32 v99, v65 offset:3760
	s_waitcnt vmcnt(48)
	ds_write_b32 v99, v66 offset:4024
	ds_read_b64 v[42:43], v100 offset:64
	ds_read_b64 v[38:39], v100 offset:96
	ds_read_b64 v[36:37], v100 offset:128
	ds_read_b64 v[34:35], v100 offset:160
	ds_read_b64 v[32:33], v100 offset:192
	ds_read_b64 v[30:31], v100 offset:224
	ds_read_b64 v[28:29], v100 offset:256
	ds_read_b64 v[26:27], v100 offset:288
	s_waitcnt vmcnt(47)
	ds_write_b32 v99, v67 offset:64
	s_waitcnt vmcnt(46)
	ds_write_b32 v99, v44 offset:328
	s_waitcnt vmcnt(45)
	ds_write_b32 v99, v22 offset:592
	s_waitcnt vmcnt(44)
	ds_write_b32 v99, v45 offset:856
	s_waitcnt vmcnt(43)
	ds_write_b32 v99, v46 offset:1120
	s_waitcnt vmcnt(42)
	ds_write_b32 v99, v47 offset:1384
	s_waitcnt vmcnt(41)
	ds_write_b32 v99, v48 offset:1648
	s_waitcnt vmcnt(40)
	ds_write_b32 v99, v49 offset:1912
	s_waitcnt vmcnt(39)
	ds_write_b32 v99, v50 offset:2176
	s_waitcnt vmcnt(38)
	ds_write_b32 v99, v51 offset:2440
	s_waitcnt vmcnt(37)
	ds_write_b32 v99, v52 offset:2704
	s_waitcnt vmcnt(36)
	ds_write_b32 v99, v53 offset:2968
	s_waitcnt vmcnt(35)
	ds_write_b32 v99, v54 offset:3232
	s_waitcnt vmcnt(34)
	ds_write_b32 v99, v55 offset:3496
	s_waitcnt vmcnt(33)
	ds_write_b32 v99, v56 offset:3760
	s_waitcnt vmcnt(32)
	ds_write_b32 v99, v57 offset:4024
	ds_read_b64 v[58:59], v100 offset:64
	ds_read_b64 v[56:57], v100 offset:96
	ds_read_b64 v[52:53], v100 offset:128
	ds_read_b64 v[50:51], v100 offset:160
	ds_read_b64 v[48:49], v100 offset:192
	ds_read_b64 v[46:47], v100 offset:224
	ds_read_b64 v[44:45], v100 offset:256
	ds_read_b64 v[40:41], v100 offset:288
	s_waitcnt vmcnt(31)
	ds_write_b32 v99, v68 offset:64
	s_waitcnt vmcnt(30)
	ds_write_b32 v99, v69 offset:328
	s_waitcnt vmcnt(29)
	ds_write_b32 v99, v70 offset:592
	s_waitcnt vmcnt(28)
	ds_write_b32 v99, v71 offset:856
	s_waitcnt vmcnt(27)
	ds_write_b32 v99, v72 offset:1120
	s_waitcnt vmcnt(26)
	ds_write_b32 v99, v73 offset:1384
	s_waitcnt vmcnt(25)
	ds_write_b32 v99, v74 offset:1648
	s_waitcnt vmcnt(24)
	ds_write_b32 v99, v75 offset:1912
	;; [unrolled: 40-line block ×3, first 2 shown]
	s_waitcnt vmcnt(7)
	ds_write_b32 v99, v92 offset:2176
	s_waitcnt vmcnt(6)
	ds_write_b32 v99, v93 offset:2440
	;; [unrolled: 2-line block ×8, first 2 shown]
	ds_read_b64 v[88:89], v100 offset:64
	ds_read_b64 v[86:87], v100 offset:96
	;; [unrolled: 1-line block ×8, first 2 shown]
	s_andn2_b64 vcc, exec, s[2:3]
	v_mov_b32_e32 v90, 0
	v_mov_b32_e32 v91, 0
	s_cbranch_vccnz .LBB112_28
; %bb.25:                               ;   in Loop: Header=BB112_24 Depth=1
	ds_read_b32 v22, v98
	s_waitcnt lgkmcnt(0)
	v_cmp_gt_i32_e32 vcc, 0, v22
	s_cbranch_vccnz .LBB112_27
; %bb.26:                               ;   in Loop: Header=BB112_24 Depth=1
	v_mul_lo_u32 v22, v22, s21
	v_add_u32_e32 v90, v101, v22
	v_ashrrev_i32_e32 v91, 31, v90
	v_lshl_add_u64 v[90:91], v[90:91], 2, v[20:21]
	global_load_dwordx2 v[90:91], v[90:91], off
	s_branch .LBB112_28
.LBB112_27:                             ;   in Loop: Header=BB112_24 Depth=1
	v_mov_b32_e32 v90, 0
	v_mov_b32_e32 v91, 0
.LBB112_28:                             ;   in Loop: Header=BB112_24 Depth=1
	s_waitcnt vmcnt(0)
	v_cvt_pk_f16_f32 v22, v90, v91
	v_mov_b32_e32 v90, 0
	s_andn2_b64 vcc, exec, s[0:1]
	v_mov_b32_e32 v92, 0
	v_mov_b32_e32 v93, 0
	ds_write_b32 v99, v22 offset:64
	s_cbranch_vccnz .LBB112_32
; %bb.29:                               ;   in Loop: Header=BB112_24 Depth=1
	ds_read_b32 v22, v98 offset:4
	s_waitcnt lgkmcnt(0)
	v_cmp_gt_i32_e32 vcc, 0, v22
	s_cbranch_vccnz .LBB112_31
; %bb.30:                               ;   in Loop: Header=BB112_24 Depth=1
	v_mul_lo_u32 v22, v22, s21
	v_add_u32_e32 v22, s16, v22
	v_add_u32_e32 v92, v22, v101
	v_ashrrev_i32_e32 v93, 31, v92
	v_lshl_add_u64 v[92:93], v[92:93], 2, v[20:21]
	global_load_dwordx2 v[92:93], v[92:93], off
	s_branch .LBB112_32
.LBB112_31:                             ;   in Loop: Header=BB112_24 Depth=1
	v_mov_b32_e32 v92, 0
	v_mov_b32_e32 v93, 0
.LBB112_32:                             ;   in Loop: Header=BB112_24 Depth=1
	s_waitcnt vmcnt(0)
	v_cvt_pk_f16_f32 v22, v92, v93
	s_andn2_b64 vcc, exec, s[6:7]
	v_mov_b32_e32 v91, 0
	ds_write_b32 v99, v22 offset:328
	s_cbranch_vccnz .LBB112_23
; %bb.33:                               ;   in Loop: Header=BB112_24 Depth=1
	ds_read_b32 v22, v98 offset:8
	s_waitcnt lgkmcnt(0)
	v_cmp_gt_i32_e32 vcc, 0, v22
	s_cbranch_vccz .LBB112_22
; %bb.34:                               ;   in Loop: Header=BB112_24 Depth=1
	v_mov_b32_e32 v90, 0
	v_mov_b32_e32 v91, 0
	s_branch .LBB112_23
.LBB112_35:
	s_or_b64 exec, exec, s[14:15]
.LBB112_36:
	s_or_b64 exec, exec, s[18:19]
	v_mov_b32_e32 v18, 0x100
	v_lshl_add_u32 v18, v95, 2, v18
	v_mul_u32_u24_e32 v19, 0x508, v96
	v_and_b32_e32 v20, 0x3f0, v16
	v_add3_u32 v19, v18, v19, v20
	v_cmp_gt_u32_e32 vcc, 3, v17
	s_waitcnt lgkmcnt(0)
	s_barrier
	ds_write2_b32 v19, v8, v9 offset0:16 offset1:17
	ds_write2_b32 v19, v10, v11 offset0:18 offset1:19
	;; [unrolled: 1-line block ×8, first 2 shown]
	s_waitcnt lgkmcnt(0)
	s_barrier
	s_and_saveexec_b64 s[0:1], vcc
	s_cbranch_execz .LBB112_39
; %bb.37:
	s_movk_i32 s0, 0xff04
	v_mad_i32_i24 v0, v17, s0, v18
	ds_read_b32 v0, v0
	s_waitcnt lgkmcnt(0)
	v_cmp_lt_i32_e32 vcc, -1, v0
	s_and_b64 s[0:1], vcc, s[8:9]
	s_and_b64 exec, exec, s[0:1]
	s_cbranch_execz .LBB112_39
; %bb.38:
	v_lshlrev_b32_e32 v4, 2, v16
	s_movk_i32 s2, 0x100
	v_mul_u32_u24_e32 v5, 0x508, v17
	v_add3_u32 v8, s2, v4, v5
	ds_read2_b32 v[4:5], v8 offset0:16 offset1:80
	ds_read2_b32 v[6:7], v8 offset0:144 offset1:208
	s_mul_hi_i32 s1, s26, s4
	s_mul_i32 s0, s26, s4
	ds_read_b32 v8, v8 offset:1088
	s_lshl_b64 s[0:1], s[0:1], 2
	s_waitcnt lgkmcnt(2)
	v_add_f32_e32 v4, 0, v4
	v_mul_hi_i32 v3, v94, s17
	v_mul_lo_u32 v2, v94, s17
	s_add_u32 s0, s10, s0
	v_add_f32_e32 v4, v4, v5
	v_add_u32_e32 v1, s5, v16
	s_addc_u32 s1, s11, s1
	v_lshlrev_b64 v[2:3], 2, v[2:3]
	s_waitcnt lgkmcnt(1)
	v_add_f32_e32 v4, v4, v6
	v_mul_lo_u32 v0, v0, s22
	v_mul_lo_u32 v5, v17, s17
	v_lshl_add_u64 v[2:3], s[0:1], 0, v[2:3]
	v_add_f32_e32 v4, v4, v7
	v_add3_u32 v0, v1, v5, v0
	v_mov_b32_e32 v1, 0
	s_waitcnt lgkmcnt(0)
	v_add_f32_e32 v4, v4, v8
	v_lshl_add_u64 v[0:1], v[0:1], 2, v[2:3]
	global_store_dword v[0:1], v4, off
.LBB112_39:
	s_endpgm
	.section	.rodata,"a",@progbits
	.p2align	6, 0x0
	.amdhsa_kernel _ZL9mul_mat_fI7__half2Li64ELi3ELi5ELb1EEvPKT_PKfPKiPfiiiiiiiiiiiiiiii
		.amdhsa_group_segment_fixed_size 256
		.amdhsa_private_segment_fixed_size 0
		.amdhsa_kernarg_size 352
		.amdhsa_user_sgpr_count 2
		.amdhsa_user_sgpr_dispatch_ptr 0
		.amdhsa_user_sgpr_queue_ptr 0
		.amdhsa_user_sgpr_kernarg_segment_ptr 1
		.amdhsa_user_sgpr_dispatch_id 0
		.amdhsa_user_sgpr_kernarg_preload_length 0
		.amdhsa_user_sgpr_kernarg_preload_offset 0
		.amdhsa_user_sgpr_private_segment_size 0
		.amdhsa_uses_dynamic_stack 0
		.amdhsa_enable_private_segment 0
		.amdhsa_system_sgpr_workgroup_id_x 1
		.amdhsa_system_sgpr_workgroup_id_y 1
		.amdhsa_system_sgpr_workgroup_id_z 1
		.amdhsa_system_sgpr_workgroup_info 0
		.amdhsa_system_vgpr_workitem_id 2
		.amdhsa_next_free_vgpr 108
		.amdhsa_next_free_sgpr 91
		.amdhsa_accum_offset 108
		.amdhsa_reserve_vcc 1
		.amdhsa_float_round_mode_32 0
		.amdhsa_float_round_mode_16_64 0
		.amdhsa_float_denorm_mode_32 3
		.amdhsa_float_denorm_mode_16_64 3
		.amdhsa_dx10_clamp 1
		.amdhsa_ieee_mode 1
		.amdhsa_fp16_overflow 0
		.amdhsa_tg_split 0
		.amdhsa_exception_fp_ieee_invalid_op 0
		.amdhsa_exception_fp_denorm_src 0
		.amdhsa_exception_fp_ieee_div_zero 0
		.amdhsa_exception_fp_ieee_overflow 0
		.amdhsa_exception_fp_ieee_underflow 0
		.amdhsa_exception_fp_ieee_inexact 0
		.amdhsa_exception_int_div_zero 0
	.end_amdhsa_kernel
	.section	.text._ZL9mul_mat_fI7__half2Li64ELi3ELi5ELb1EEvPKT_PKfPKiPfiiiiiiiiiiiiiiii,"axG",@progbits,_ZL9mul_mat_fI7__half2Li64ELi3ELi5ELb1EEvPKT_PKfPKiPfiiiiiiiiiiiiiiii,comdat
.Lfunc_end112:
	.size	_ZL9mul_mat_fI7__half2Li64ELi3ELi5ELb1EEvPKT_PKfPKiPfiiiiiiiiiiiiiiii, .Lfunc_end112-_ZL9mul_mat_fI7__half2Li64ELi3ELi5ELb1EEvPKT_PKfPKiPfiiiiiiiiiiiiiiii
                                        ; -- End function
	.set _ZL9mul_mat_fI7__half2Li64ELi3ELi5ELb1EEvPKT_PKfPKiPfiiiiiiiiiiiiiiii.num_vgpr, 108
	.set _ZL9mul_mat_fI7__half2Li64ELi3ELi5ELb1EEvPKT_PKfPKiPfiiiiiiiiiiiiiiii.num_agpr, 0
	.set _ZL9mul_mat_fI7__half2Li64ELi3ELi5ELb1EEvPKT_PKfPKiPfiiiiiiiiiiiiiiii.numbered_sgpr, 91
	.set _ZL9mul_mat_fI7__half2Li64ELi3ELi5ELb1EEvPKT_PKfPKiPfiiiiiiiiiiiiiiii.num_named_barrier, 0
	.set _ZL9mul_mat_fI7__half2Li64ELi3ELi5ELb1EEvPKT_PKfPKiPfiiiiiiiiiiiiiiii.private_seg_size, 0
	.set _ZL9mul_mat_fI7__half2Li64ELi3ELi5ELb1EEvPKT_PKfPKiPfiiiiiiiiiiiiiiii.uses_vcc, 1
	.set _ZL9mul_mat_fI7__half2Li64ELi3ELi5ELb1EEvPKT_PKfPKiPfiiiiiiiiiiiiiiii.uses_flat_scratch, 0
	.set _ZL9mul_mat_fI7__half2Li64ELi3ELi5ELb1EEvPKT_PKfPKiPfiiiiiiiiiiiiiiii.has_dyn_sized_stack, 0
	.set _ZL9mul_mat_fI7__half2Li64ELi3ELi5ELb1EEvPKT_PKfPKiPfiiiiiiiiiiiiiiii.has_recursion, 0
	.set _ZL9mul_mat_fI7__half2Li64ELi3ELi5ELb1EEvPKT_PKfPKiPfiiiiiiiiiiiiiiii.has_indirect_call, 0
	.section	.AMDGPU.csdata,"",@progbits
; Kernel info:
; codeLenInByte = 5472
; TotalNumSgprs: 97
; NumVgprs: 108
; NumAgprs: 0
; TotalNumVgprs: 108
; ScratchSize: 0
; MemoryBound: 0
; FloatMode: 240
; IeeeMode: 1
; LDSByteSize: 256 bytes/workgroup (compile time only)
; SGPRBlocks: 12
; VGPRBlocks: 13
; NumSGPRsForWavesPerEU: 97
; NumVGPRsForWavesPerEU: 108
; AccumOffset: 108
; Occupancy: 4
; WaveLimiterHint : 0
; COMPUTE_PGM_RSRC2:SCRATCH_EN: 0
; COMPUTE_PGM_RSRC2:USER_SGPR: 2
; COMPUTE_PGM_RSRC2:TRAP_HANDLER: 0
; COMPUTE_PGM_RSRC2:TGID_X_EN: 1
; COMPUTE_PGM_RSRC2:TGID_Y_EN: 1
; COMPUTE_PGM_RSRC2:TGID_Z_EN: 1
; COMPUTE_PGM_RSRC2:TIDIG_COMP_CNT: 2
; COMPUTE_PGM_RSRC3_GFX90A:ACCUM_OFFSET: 26
; COMPUTE_PGM_RSRC3_GFX90A:TG_SPLIT: 0
	.section	.text._ZL9mul_mat_fI7__half2Li64ELi3ELi5ELb0EEvPKT_PKfPKiPfiiiiiiiiiiiiiiii,"axG",@progbits,_ZL9mul_mat_fI7__half2Li64ELi3ELi5ELb0EEvPKT_PKfPKiPfiiiiiiiiiiiiiiii,comdat
	.globl	_ZL9mul_mat_fI7__half2Li64ELi3ELi5ELb0EEvPKT_PKfPKiPfiiiiiiiiiiiiiiii ; -- Begin function _ZL9mul_mat_fI7__half2Li64ELi3ELi5ELb0EEvPKT_PKfPKiPfiiiiiiiiiiiiiiii
	.p2align	8
	.type	_ZL9mul_mat_fI7__half2Li64ELi3ELi5ELb0EEvPKT_PKfPKiPfiiiiiiiiiiiiiiii,@function
_ZL9mul_mat_fI7__half2Li64ELi3ELi5ELb0EEvPKT_PKfPKiPfiiiiiiiiiiiiiiii: ; @_ZL9mul_mat_fI7__half2Li64ELi3ELi5ELb0EEvPKT_PKfPKiPfiiiiiiiiiiiiiiii
; %bb.0:
	s_load_dword s5, s[0:1], 0x20
	s_load_dwordx4 s[16:19], s[0:1], 0x2c
	v_bfe_u32 v84, v0, 10, 10
	v_lshlrev_b32_e32 v86, 6, v84
	v_and_b32_e32 v85, 0x3ff, v0
	v_add_u32_e32 v88, v86, v85
	s_waitcnt lgkmcnt(0)
	s_ashr_i32 s19, s4, 31
	v_cmp_le_i32_e32 vcc, s5, v88
	v_and_b32_e32 v87, 15, v85
	s_and_saveexec_b64 s[6:7], vcc
	s_xor_b64 s[6:7], exec, s[6:7]
; %bb.1:
	v_and_b32_e32 v87, 15, v85
                                        ; implicit-def: $vgpr88
; %bb.2:
	s_or_saveexec_b64 s[24:25], s[6:7]
	s_load_dwordx8 s[8:15], s[0:1], 0x40
	s_load_dwordx2 s[6:7], s[0:1], 0x18
	v_mov_b32_e32 v11, 0
	s_lshl_b32 s2, s2, 6
	v_lshlrev_b32_e32 v16, 2, v85
	v_mov_b32_e32 v10, v11
	v_mov_b32_e32 v9, v11
	;; [unrolled: 1-line block ×15, first 2 shown]
	s_xor_b64 exec, exec, s[24:25]
	s_cbranch_execz .LBB113_6
; %bb.3:
	s_waitcnt lgkmcnt(0)
	s_abs_i32 s26, s8
	v_cvt_f32_u32_e32 v0, s26
	s_abs_i32 s27, s12
	v_cvt_f32_u32_e32 v1, s27
	s_sub_i32 s20, 0, s26
	v_rcp_iflag_f32_e32 v0, v0
	s_abs_i32 s28, s3
	v_rcp_iflag_f32_e32 v1, v1
	s_sub_i32 s21, 0, s27
	v_mul_f32_e32 v0, 0x4f7ffffe, v0
	v_cvt_u32_f32_e32 v0, v0
	v_mul_f32_e32 v1, 0x4f7ffffe, v1
	v_cvt_u32_f32_e32 v1, v1
	s_abs_i32 s29, s4
	v_mul_lo_u32 v2, s20, v0
	v_mul_hi_u32 v2, v0, v2
	v_add_u32_e32 v0, v0, v2
	v_mul_hi_u32 v0, s28, v0
	v_mul_lo_u32 v3, s21, v1
	v_mul_lo_u32 v2, v0, s26
	v_mul_hi_u32 v3, v1, v3
	v_sub_u32_e32 v2, s28, v2
	v_add_u32_e32 v1, v1, v3
	v_add_u32_e32 v3, 1, v0
	v_subrev_u32_e32 v4, s26, v2
	v_cmp_le_u32_e32 vcc, s26, v2
	s_load_dwordx4 s[20:23], s[0:1], 0x0
	s_ashr_i32 s0, s3, 31
	v_cndmask_b32_e32 v0, v0, v3, vcc
	v_cndmask_b32_e32 v2, v2, v4, vcc
	s_ashr_i32 s1, s8, 31
	v_add_u32_e32 v3, 1, v0
	v_cmp_le_u32_e32 vcc, s26, v2
	s_xor_b32 s0, s0, s1
	v_mul_hi_u32 v1, s29, v1
	v_cndmask_b32_e32 v0, v0, v3, vcc
	v_xor_b32_e32 v0, s0, v0
	v_subrev_u32_e32 v2, s0, v0
	v_mul_lo_u32 v0, v1, s27
	v_sub_u32_e32 v0, s29, v0
	v_add_u32_e32 v3, 1, v1
	v_subrev_u32_e32 v4, s27, v0
	v_cmp_le_u32_e32 vcc, s27, v0
	s_ashr_i32 s8, s12, 31
	s_xor_b32 s0, s19, s8
	v_cndmask_b32_e32 v1, v1, v3, vcc
	v_cndmask_b32_e32 v0, v0, v4, vcc
	v_add_u32_e32 v3, 1, v1
	v_cmp_le_u32_e32 vcc, s27, v0
	v_mul_lo_u32 v2, v2, s9
	s_mul_hi_i32 s9, s14, s4
	v_cndmask_b32_e32 v0, v1, v3, vcc
	v_xor_b32_e32 v0, s0, v0
	s_mul_i32 s8, s14, s4
	v_subrev_u32_e32 v0, s0, v0
	s_lshl_b64 s[26:27], s[8:9], 2
	v_mul_hi_i32 v1, v0, s13
	v_mul_lo_u32 v0, v0, s13
	s_mul_i32 s0, s16, s2
	s_waitcnt lgkmcnt(0)
	s_add_u32 s8, s22, s26
	v_ashrrev_i32_e32 v3, 31, v2
	v_lshlrev_b64 v[0:1], 2, v[0:1]
	s_mul_i32 s12, s10, s3
	s_addc_u32 s9, s23, s27
	s_ashr_i32 s1, s0, 31
	v_lshl_add_u64 v[4:5], s[20:21], 0, v[0:1]
	v_lshlrev_b64 v[2:3], 2, v[2:3]
	s_lshl_b64 s[74:75], s[0:1], 2
	s_ashr_i32 s13, s12, 31
	v_lshl_add_u64 v[4:5], v[4:5], 0, v[2:3]
	s_lshl_b64 s[28:29], s[12:13], 2
	v_lshl_add_u64 v[2:3], v[2:3], 0, s[74:75]
	s_add_u32 s0, s8, s28
	s_movk_i32 s8, 0x1080
	v_mov_b32_e32 v21, 0
	v_lshlrev_b32_e32 v20, 8, v84
	v_lshl_add_u64 v[0:1], v[2:3], 0, v[0:1]
	v_lshl_add_u64 v[18:19], v[4:5], 0, s[74:75]
	s_addc_u32 s1, s9, s29
	v_mad_u32_u24 v4, v84, s8, 0
	s_ashr_i32 s9, s16, 31
	s_mov_b32 s8, s16
	s_ashr_i32 s13, s17, 31
	s_mov_b32 s12, s17
	v_lshl_add_u64 v[0:1], v[0:1], 0, v[20:21]
	v_mov_b32_e32 v17, v21
	s_add_i32 s10, s16, s16
	s_add_i32 s14, s17, s17
	s_lshl_b32 s30, s16, 2
	s_lshl_b32 s35, s16, 3
	;; [unrolled: 1-line block ×4, first 2 shown]
	s_lshl_b64 s[8:9], s[8:9], 2
	s_lshl_b64 s[12:13], s[12:13], 3
	v_lshl_add_u64 v[0:1], v[0:1], 0, v[16:17]
	v_lshlrev_b32_e32 v20, 9, v84
	v_lshrrev_b32_e32 v6, 1, v85
	s_add_u32 s22, s22, s28
	v_lshl_add_u64 v[22:23], s[20:21], 0, v[0:1]
	v_lshl_add_u64 v[0:1], s[26:27], 0, v[20:21]
	v_lshlrev_b32_e32 v20, 3, v85
	v_mul_u32_u24_e32 v5, 0x108, v87
	v_and_b32_e32 v6, 0x1f8, v6
	s_addc_u32 s23, s23, s29
	v_lshl_add_u64 v[0:1], v[0:1], 0, v[20:21]
	v_add_u32_e32 v89, v4, v16
	v_add3_u32 v90, v4, v5, v6
	s_mul_i32 s19, s16, 3
	s_mul_i32 s31, s16, 5
	;; [unrolled: 1-line block ×47, first 2 shown]
	v_lshl_add_u64 v[24:25], s[22:23], 0, v[0:1]
	s_mul_i32 s77, s16, 54
	s_mul_i32 s78, s16, 55
	v_mov_b32_e32 v12, 0
	v_mov_b32_e32 v13, v21
	;; [unrolled: 1-line block ×16, first 2 shown]
	s_mul_i32 s79, s16, 56
	s_mul_i32 s80, s16, 57
	;; [unrolled: 1-line block ×8, first 2 shown]
	s_mov_b64 s[16:17], 0
	s_mov_b64 s[20:21], 0x500
	;; [unrolled: 1-line block ×3, first 2 shown]
.LBB113_4:                              ; =>This Inner Loop Header: Depth=1
	v_add_u32_e32 v82, s10, v88
	v_add_u32_e32 v74, s19, v88
	;; [unrolled: 1-line block ×8, first 2 shown]
	v_lshl_add_u64 v[80:81], v[22:23], 0, s[8:9]
	v_add_u32_e32 v78, s30, v88
	v_add_u32_e32 v68, s33, v88
	;; [unrolled: 1-line block ×7, first 2 shown]
	v_ashrrev_i32_e32 v83, 31, v82
	v_ashrrev_i32_e32 v75, 31, v74
	;; [unrolled: 1-line block ×8, first 2 shown]
	v_add_u32_e32 v28, s44, v88
	v_add_u32_e32 v44, s45, v88
	global_load_dword v91, v[80:81], off
	v_lshl_add_u64 v[80:81], v[82:83], 2, v[18:19]
	v_ashrrev_i32_e32 v79, 31, v78
	v_lshl_add_u64 v[74:75], v[74:75], 2, v[18:19]
	v_ashrrev_i32_e32 v69, 31, v68
	;; [unrolled: 2-line block ×5, first 2 shown]
	v_lshl_add_u64 v[32:33], v[32:33], 2, v[18:19]
	v_lshl_add_u64 v[30:31], v[30:31], 2, v[18:19]
	;; [unrolled: 1-line block ×3, first 2 shown]
	v_ashrrev_i32_e32 v27, 31, v26
	v_ashrrev_i32_e32 v39, 31, v38
	v_add_u32_e32 v36, s46, v88
	v_add_u32_e32 v52, s47, v88
	global_load_dword v82, v[80:81], off
	v_lshl_add_u64 v[92:93], v[78:79], 2, v[18:19]
	global_load_dword v78, v[74:75], off
	global_load_dword v79, v[92:93], off
	v_lshl_add_u64 v[68:69], v[68:69], 2, v[18:19]
	global_load_dword v62, v[62:63], off
	s_nop 0
	global_load_dword v63, v[68:69], off
	v_lshl_add_u64 v[56:57], v[56:57], 2, v[18:19]
	global_load_dword v48, v[48:49], off
	s_nop 0
	;; [unrolled: 4-line block ×4, first 2 shown]
	global_load_dword v32, v[42:43], off
	s_nop 0
	global_load_dword v30, v[30:31], off
	s_nop 0
	global_load_dword v31, v[34:35], off
	v_lshl_add_u64 v[26:27], v[26:27], 2, v[18:19]
	v_lshl_add_u64 v[34:35], v[38:39], 2, v[18:19]
	v_ashrrev_i32_e32 v29, 31, v28
	v_ashrrev_i32_e32 v45, 31, v44
	v_add_u32_e32 v46, s48, v88
	v_add_u32_e32 v58, s49, v88
	global_load_dword v27, v[26:27], off
	s_nop 0
	global_load_dword v26, v[34:35], off
	v_lshl_add_u64 v[28:29], v[28:29], 2, v[18:19]
	v_lshl_add_u64 v[34:35], v[44:45], 2, v[18:19]
	v_ashrrev_i32_e32 v37, 31, v36
	v_ashrrev_i32_e32 v53, 31, v52
	v_add_u32_e32 v54, s50, v88
	v_add_u32_e32 v64, s51, v88
	;; [unrolled: 9-line block ×6, first 2 shown]
	global_load_dword v39, v[42:43], off
	global_load_dword v41, v[44:45], off
	v_lshl_add_u64 v[42:43], v[66:67], 2, v[18:19]
	v_lshl_add_u64 v[44:45], v[76:77], 2, v[18:19]
	v_ashrrev_i32_e32 v73, 31, v72
	v_ashrrev_i32_e32 v81, 31, v80
	v_add_u32_e32 v56, s60, v88
	v_add_u32_e32 v50, s61, v88
	global_load_dword v42, v[42:43], off
	s_nop 0
	global_load_dword v43, v[44:45], off
	v_lshl_add_u64 v[44:45], v[72:73], 2, v[18:19]
	v_lshl_add_u64 v[46:47], v[80:81], 2, v[18:19]
	v_ashrrev_i32_e32 v75, 31, v74
	v_ashrrev_i32_e32 v69, 31, v68
	v_add_u32_e32 v92, s62, v88
	v_add_u32_e32 v94, s63, v88
	global_load_dword v44, v[44:45], off
	s_nop 0
	;; [unrolled: 9-line block ×3, first 2 shown]
	global_load_dword v46, v[52:53], off
	v_lshl_add_u64 v[52:53], v[56:57], 2, v[18:19]
	v_lshl_add_u64 v[54:55], v[50:51], 2, v[18:19]
	v_ashrrev_i32_e32 v93, 31, v92
	v_ashrrev_i32_e32 v95, 31, v94
	v_add_u32_e32 v100, s66, v88
	v_add_u32_e32 v58, s67, v88
	;; [unrolled: 1-line block ×3, first 2 shown]
	global_load_dword v50, v[52:53], off
	global_load_dword v51, v[54:55], off
	v_lshl_add_u64 v[52:53], v[92:93], 2, v[18:19]
	v_lshl_add_u64 v[54:55], v[94:95], 2, v[18:19]
	v_ashrrev_i32_e32 v97, 31, v96
	v_ashrrev_i32_e32 v99, 31, v98
	v_add_u32_e32 v60, s69, v88
	v_add_u32_e32 v66, s70, v88
	;; [unrolled: 1-line block ×3, first 2 shown]
	global_load_dword v52, v[52:53], off
	s_nop 0
	global_load_dword v53, v[54:55], off
	v_lshl_add_u64 v[54:55], v[96:97], 2, v[18:19]
	v_lshl_add_u64 v[56:57], v[98:99], 2, v[18:19]
	v_ashrrev_i32_e32 v101, 31, v100
	v_ashrrev_i32_e32 v59, 31, v58
	v_ashrrev_i32_e32 v65, 31, v64
	v_add_u32_e32 v68, s72, v88
	v_add_u32_e32 v72, s28, v88
	global_load_dword v54, v[54:55], off
	s_nop 0
	global_load_dword v55, v[56:57], off
	v_lshl_add_u64 v[56:57], v[100:101], 2, v[18:19]
	v_lshl_add_u64 v[58:59], v[58:59], 2, v[18:19]
	v_ashrrev_i32_e32 v61, 31, v60
	v_lshl_add_u64 v[64:65], v[64:65], 2, v[18:19]
	v_ashrrev_i32_e32 v67, 31, v66
	v_ashrrev_i32_e32 v71, 31, v70
	v_add_u32_e32 v74, s29, v88
	global_load_dword v56, v[56:57], off
	s_nop 0
	global_load_dword v57, v[58:59], off
	v_add_u32_e32 v58, s74, v88
	v_lshl_add_u64 v[60:61], v[60:61], 2, v[18:19]
	global_load_dword v80, v[64:65], off
	global_load_dword v81, v[60:61], off
	v_lshl_add_u64 v[64:65], v[66:67], 2, v[18:19]
	v_lshl_add_u64 v[66:67], v[70:71], 2, v[18:19]
	v_ashrrev_i32_e32 v69, 31, v68
	v_ashrrev_i32_e32 v73, 31, v72
	v_add_u32_e32 v76, s73, v88
	v_add_u32_e32 v60, s75, v88
	global_load_dword v83, v[64:65], off
	global_load_dword v92, v[66:67], off
	v_lshl_add_u64 v[66:67], v[68:69], 2, v[18:19]
	v_lshl_add_u64 v[68:69], v[72:73], 2, v[18:19]
	v_ashrrev_i32_e32 v75, 31, v74
	v_ashrrev_i32_e32 v59, 31, v58
	v_add_u32_e32 v64, s76, v88
	global_load_dword v72, v[66:67], off
	global_load_dword v73, v[68:69], off
	v_add_u32_e32 v66, s26, v88
	v_ashrrev_i32_e32 v77, 31, v76
	v_lshl_add_u64 v[68:69], v[74:75], 2, v[18:19]
	v_ashrrev_i32_e32 v61, 31, v60
	v_lshl_add_u64 v[58:59], v[58:59], 2, v[18:19]
	v_lshl_add_u64 v[70:71], v[76:77], 2, v[18:19]
	global_load_dword v74, v[68:69], off
	global_load_dword v75, v[70:71], off
	v_add_u32_e32 v68, s27, v88
	v_lshl_add_u64 v[60:61], v[60:61], 2, v[18:19]
	global_load_dword v76, v[58:59], off
	global_load_dword v77, v[60:61], off
	v_add_u32_e32 v58, s77, v88
	v_ashrrev_i32_e32 v65, 31, v64
	v_ashrrev_i32_e32 v67, 31, v66
	v_lshl_add_u64 v[60:61], v[64:65], 2, v[18:19]
	v_lshl_add_u64 v[64:65], v[66:67], 2, v[18:19]
	v_ashrrev_i32_e32 v69, 31, v68
	v_ashrrev_i32_e32 v59, 31, v58
	global_load_dword v93, v[60:61], off
	global_load_dword v94, v[64:65], off
	v_lshl_add_u64 v[64:65], v[68:69], 2, v[18:19]
	v_lshl_add_u64 v[58:59], v[58:59], 2, v[18:19]
	v_add_u32_e32 v60, s78, v88
	global_load_dword v95, v[64:65], off
	global_load_dword v96, v[58:59], off
	v_add_u32_e32 v58, s79, v88
	v_ashrrev_i32_e32 v61, 31, v60
	v_ashrrev_i32_e32 v59, 31, v58
	v_lshl_add_u64 v[60:61], v[60:61], 2, v[18:19]
	v_lshl_add_u64 v[58:59], v[58:59], 2, v[18:19]
	global_load_dword v97, v[60:61], off
	global_load_dword v98, v[58:59], off
	v_add_u32_e32 v58, s80, v88
	v_ashrrev_i32_e32 v59, 31, v58
	v_lshl_add_u64 v[58:59], v[58:59], 2, v[18:19]
	global_load_dword v99, v[58:59], off
	v_add_u32_e32 v58, s81, v88
	v_ashrrev_i32_e32 v59, 31, v58
	v_lshl_add_u64 v[58:59], v[58:59], 2, v[18:19]
	global_load_dword v100, v[58:59], off
	v_add_u32_e32 v58, s82, v88
	v_ashrrev_i32_e32 v59, 31, v58
	v_lshl_add_u64 v[58:59], v[58:59], 2, v[18:19]
	global_load_dword v101, v[58:59], off
	v_add_u32_e32 v58, s83, v88
	v_ashrrev_i32_e32 v59, 31, v58
	v_lshl_add_u64 v[58:59], v[58:59], 2, v[18:19]
	global_load_dword v102, v[58:59], off
	v_add_u32_e32 v58, s84, v88
	v_ashrrev_i32_e32 v59, 31, v58
	v_lshl_add_u64 v[58:59], v[58:59], 2, v[18:19]
	global_load_dword v103, v[58:59], off
	v_add_u32_e32 v58, s85, v88
	v_ashrrev_i32_e32 v59, 31, v58
	v_lshl_add_u64 v[58:59], v[58:59], 2, v[18:19]
	global_load_dword v104, v[58:59], off
	v_add_u32_e32 v58, s86, v88
	v_ashrrev_i32_e32 v59, 31, v58
	v_lshl_add_u64 v[58:59], v[58:59], 2, v[18:19]
	global_load_dword v105, v[58:59], off
	s_nop 0
	global_load_dword v58, v[22:23], off
	s_waitcnt vmcnt(62)
	ds_write_b32 v89, v91 offset:264
	v_lshl_add_u64 v[22:23], v[22:23], 0, s[20:21]
	s_waitcnt vmcnt(0)
	ds_write_b32 v89, v58
	global_load_dwordx2 v[58:59], v[24:25], off
	s_waitcnt vmcnt(0)
	v_cvt_pk_f16_f32 v106, v58, v59
	v_lshl_add_u64 v[58:59], v[24:25], 0, s[12:13]
	global_load_dwordx2 v[58:59], v[58:59], off
	ds_write_b32 v89, v82 offset:528
	ds_write_b32 v89, v78 offset:792
	ds_write_b32 v89, v79 offset:1056
	ds_write_b32 v89, v62 offset:1320
	ds_write_b32 v89, v63 offset:1584
	ds_write_b32 v89, v48 offset:1848
	ds_write_b32 v89, v49 offset:2112
	ds_write_b32 v89, v40 offset:2376
	v_add_u32_e32 v48, s14, v88
	v_ashrrev_i32_e32 v49, 31, v48
	v_lshl_add_u64 v[48:49], v[48:49], 3, s[0:1]
	global_load_dwordx2 v[48:49], v[48:49], off
	ds_write_b32 v89, v17 offset:2640
	ds_write_b32 v89, v20 offset:2904
	;; [unrolled: 1-line block ×6, first 2 shown]
	v_add_u32_e32 v88, 0x140, v88
	v_cmp_le_i32_e32 vcc, s5, v88
	s_or_b64 s[16:17], vcc, s[16:17]
	v_lshl_add_u64 v[24:25], v[24:25], 0, s[22:23]
	s_waitcnt vmcnt(1)
	v_cvt_pk_f16_f32 v91, v58, v59
	s_waitcnt vmcnt(0)
	v_cvt_pk_f16_f32 v17, v48, v49
	ds_read_b64 v[30:31], v90
	ds_read_b64 v[48:49], v90 offset:32
	ds_read_b64 v[58:59], v90 offset:64
	ds_read_b64 v[60:61], v90 offset:96
	ds_read_b64 v[62:63], v90 offset:128
	ds_read_b64 v[64:65], v90 offset:160
	ds_read_b64 v[66:67], v90 offset:192
	ds_read_b64 v[68:69], v90 offset:224
	ds_write_b32 v89, v26
	ds_write_b32 v89, v28 offset:264
	ds_write_b32 v89, v29 offset:528
	ds_write_b32 v89, v33 offset:792
	ds_write_b32 v89, v34 offset:1056
	ds_write_b32 v89, v35 offset:1320
	ds_write_b32 v89, v36 offset:1584
	ds_write_b32 v89, v37 offset:1848
	ds_write_b32 v89, v38 offset:2112
	ds_write_b32 v89, v39 offset:2376
	ds_write_b32 v89, v41 offset:2640
	ds_write_b32 v89, v42 offset:2904
	ds_write_b32 v89, v43 offset:3168
	ds_write_b32 v89, v44 offset:3432
	ds_write_b32 v89, v45 offset:3696
	ds_write_b32 v89, v47 offset:3960
	ds_read_b64 v[26:27], v90
	ds_read_b64 v[28:29], v90 offset:32
	ds_read_b64 v[32:33], v90 offset:64
	ds_read_b64 v[34:35], v90 offset:96
	ds_read_b64 v[36:37], v90 offset:128
	ds_read_b64 v[38:39], v90 offset:160
	ds_read_b64 v[40:41], v90 offset:192
	ds_read_b64 v[42:43], v90 offset:224
	ds_write_b32 v89, v46
	ds_write_b32 v89, v50 offset:264
	ds_write_b32 v89, v51 offset:528
	ds_write_b32 v89, v52 offset:792
	ds_write_b32 v89, v53 offset:1056
	ds_write_b32 v89, v54 offset:1320
	ds_write_b32 v89, v55 offset:1584
	ds_write_b32 v89, v56 offset:1848
	ds_write_b32 v89, v57 offset:2112
	ds_write_b32 v89, v80 offset:2376
	ds_write_b32 v89, v81 offset:2640
	ds_write_b32 v89, v83 offset:2904
	ds_write_b32 v89, v92 offset:3168
	ds_write_b32 v89, v72 offset:3432
	ds_write_b32 v89, v73 offset:3696
	ds_write_b32 v89, v74 offset:3960
	;; [unrolled: 24-line block ×4, first 2 shown]
	ds_read_b64 v[98:99], v90
	s_waitcnt lgkmcnt(0)
	v_mfma_f32_16x16x16_f16 v[4:7], v[26:27], v[98:99], v[4:7]
	ds_read_b64 v[26:27], v90 offset:32
	v_mfma_f32_16x16x16_f16 v[8:11], v[30:31], v[98:99], v[8:11]
	v_mfma_f32_16x16x16_f16 v[0:3], v[44:45], v[98:99], v[0:3]
	;; [unrolled: 1-line block ×3, first 2 shown]
	s_waitcnt lgkmcnt(0)
	v_mfma_f32_16x16x16_f16 v[8:11], v[48:49], v[26:27], v[8:11]
	v_mfma_f32_16x16x16_f16 v[4:7], v[28:29], v[26:27], v[4:7]
	v_mfma_f32_16x16x16_f16 v[0:3], v[46:47], v[26:27], v[0:3]
	v_mfma_f32_16x16x16_f16 v[12:15], v[76:77], v[26:27], v[12:15]
	ds_read_b64 v[26:27], v90 offset:64
	s_waitcnt lgkmcnt(0)
	v_mfma_f32_16x16x16_f16 v[8:11], v[58:59], v[26:27], v[8:11]
	v_mfma_f32_16x16x16_f16 v[4:7], v[32:33], v[26:27], v[4:7]
	v_mfma_f32_16x16x16_f16 v[0:3], v[50:51], v[26:27], v[0:3]
	v_mfma_f32_16x16x16_f16 v[12:15], v[78:79], v[26:27], v[12:15]
	ds_read_b64 v[26:27], v90 offset:96
	;; [unrolled: 6-line block ×6, first 2 shown]
	s_waitcnt lgkmcnt(0)
	v_mfma_f32_16x16x16_f16 v[8:11], v[68:69], v[26:27], v[8:11]
	v_mfma_f32_16x16x16_f16 v[4:7], v[42:43], v[26:27], v[4:7]
	;; [unrolled: 1-line block ×4, first 2 shown]
	s_andn2_b64 exec, exec, s[16:17]
	s_cbranch_execnz .LBB113_4
; %bb.5:
	s_or_b64 exec, exec, s[16:17]
.LBB113_6:
	s_or_b64 exec, exec, s[24:25]
	v_lshl_add_u32 v17, v86, 2, 0
	v_mul_u32_u24_e32 v18, 0x508, v87
	v_and_b32_e32 v19, 0x3f0, v85
	v_add3_u32 v17, v17, v18, v19
	v_cmp_gt_u32_e32 vcc, 3, v84
	s_waitcnt lgkmcnt(0)
	s_barrier
	ds_write2_b32 v17, v8, v9 offset1:1
	ds_write2_b32 v17, v10, v11 offset0:2 offset1:3
	ds_write2_b32 v17, v4, v5 offset0:16 offset1:17
	;; [unrolled: 1-line block ×7, first 2 shown]
	s_waitcnt lgkmcnt(0)
	s_barrier
	s_and_saveexec_b64 s[0:1], vcc
	s_cbranch_execz .LBB113_8
; %bb.7:
	v_mul_u32_u24_e32 v0, 0x508, v84
	v_add3_u32 v4, 0, v16, v0
	ds_read2st64_b32 v[0:1], v4 offset1:1
	ds_read2st64_b32 v[2:3], v4 offset0:2 offset1:3
	s_mul_hi_i32 s1, s15, s4
	s_mul_i32 s0, s15, s4
	ds_read_b32 v4, v4 offset:1024
	s_lshl_b64 s[0:1], s[0:1], 2
	s_waitcnt lgkmcnt(2)
	v_add_f32_e32 v0, 0, v0
	s_mul_i32 s4, s11, s3
	s_add_u32 s3, s6, s0
	v_add_f32_e32 v0, v0, v1
	s_addc_u32 s6, s7, s1
	s_ashr_i32 s5, s4, 31
	s_waitcnt lgkmcnt(1)
	v_add_f32_e32 v0, v0, v2
	s_lshl_b64 s[0:1], s[4:5], 2
	v_add_f32_e32 v0, v0, v3
	s_add_u32 s0, s3, s0
	s_waitcnt lgkmcnt(0)
	v_add_f32_e32 v2, v0, v4
	v_mul_lo_u32 v0, v84, s18
	s_addc_u32 s1, s6, s1
	v_add3_u32 v0, s2, v85, v0
	v_mov_b32_e32 v1, 0
	v_lshl_add_u64 v[0:1], v[0:1], 2, s[0:1]
	global_store_dword v[0:1], v2, off
.LBB113_8:
	s_endpgm
	.section	.rodata,"a",@progbits
	.p2align	6, 0x0
	.amdhsa_kernel _ZL9mul_mat_fI7__half2Li64ELi3ELi5ELb0EEvPKT_PKfPKiPfiiiiiiiiiiiiiiii
		.amdhsa_group_segment_fixed_size 0
		.amdhsa_private_segment_fixed_size 0
		.amdhsa_kernarg_size 96
		.amdhsa_user_sgpr_count 2
		.amdhsa_user_sgpr_dispatch_ptr 0
		.amdhsa_user_sgpr_queue_ptr 0
		.amdhsa_user_sgpr_kernarg_segment_ptr 1
		.amdhsa_user_sgpr_dispatch_id 0
		.amdhsa_user_sgpr_kernarg_preload_length 0
		.amdhsa_user_sgpr_kernarg_preload_offset 0
		.amdhsa_user_sgpr_private_segment_size 0
		.amdhsa_uses_dynamic_stack 0
		.amdhsa_enable_private_segment 0
		.amdhsa_system_sgpr_workgroup_id_x 1
		.amdhsa_system_sgpr_workgroup_id_y 1
		.amdhsa_system_sgpr_workgroup_id_z 1
		.amdhsa_system_sgpr_workgroup_info 0
		.amdhsa_system_vgpr_workitem_id 1
		.amdhsa_next_free_vgpr 107
		.amdhsa_next_free_sgpr 87
		.amdhsa_accum_offset 108
		.amdhsa_reserve_vcc 1
		.amdhsa_float_round_mode_32 0
		.amdhsa_float_round_mode_16_64 0
		.amdhsa_float_denorm_mode_32 3
		.amdhsa_float_denorm_mode_16_64 3
		.amdhsa_dx10_clamp 1
		.amdhsa_ieee_mode 1
		.amdhsa_fp16_overflow 0
		.amdhsa_tg_split 0
		.amdhsa_exception_fp_ieee_invalid_op 0
		.amdhsa_exception_fp_denorm_src 0
		.amdhsa_exception_fp_ieee_div_zero 0
		.amdhsa_exception_fp_ieee_overflow 0
		.amdhsa_exception_fp_ieee_underflow 0
		.amdhsa_exception_fp_ieee_inexact 0
		.amdhsa_exception_int_div_zero 0
	.end_amdhsa_kernel
	.section	.text._ZL9mul_mat_fI7__half2Li64ELi3ELi5ELb0EEvPKT_PKfPKiPfiiiiiiiiiiiiiiii,"axG",@progbits,_ZL9mul_mat_fI7__half2Li64ELi3ELi5ELb0EEvPKT_PKfPKiPfiiiiiiiiiiiiiiii,comdat
.Lfunc_end113:
	.size	_ZL9mul_mat_fI7__half2Li64ELi3ELi5ELb0EEvPKT_PKfPKiPfiiiiiiiiiiiiiiii, .Lfunc_end113-_ZL9mul_mat_fI7__half2Li64ELi3ELi5ELb0EEvPKT_PKfPKiPfiiiiiiiiiiiiiiii
                                        ; -- End function
	.set _ZL9mul_mat_fI7__half2Li64ELi3ELi5ELb0EEvPKT_PKfPKiPfiiiiiiiiiiiiiiii.num_vgpr, 107
	.set _ZL9mul_mat_fI7__half2Li64ELi3ELi5ELb0EEvPKT_PKfPKiPfiiiiiiiiiiiiiiii.num_agpr, 0
	.set _ZL9mul_mat_fI7__half2Li64ELi3ELi5ELb0EEvPKT_PKfPKiPfiiiiiiiiiiiiiiii.numbered_sgpr, 87
	.set _ZL9mul_mat_fI7__half2Li64ELi3ELi5ELb0EEvPKT_PKfPKiPfiiiiiiiiiiiiiiii.num_named_barrier, 0
	.set _ZL9mul_mat_fI7__half2Li64ELi3ELi5ELb0EEvPKT_PKfPKiPfiiiiiiiiiiiiiiii.private_seg_size, 0
	.set _ZL9mul_mat_fI7__half2Li64ELi3ELi5ELb0EEvPKT_PKfPKiPfiiiiiiiiiiiiiiii.uses_vcc, 1
	.set _ZL9mul_mat_fI7__half2Li64ELi3ELi5ELb0EEvPKT_PKfPKiPfiiiiiiiiiiiiiiii.uses_flat_scratch, 0
	.set _ZL9mul_mat_fI7__half2Li64ELi3ELi5ELb0EEvPKT_PKfPKiPfiiiiiiiiiiiiiiii.has_dyn_sized_stack, 0
	.set _ZL9mul_mat_fI7__half2Li64ELi3ELi5ELb0EEvPKT_PKfPKiPfiiiiiiiiiiiiiiii.has_recursion, 0
	.set _ZL9mul_mat_fI7__half2Li64ELi3ELi5ELb0EEvPKT_PKfPKiPfiiiiiiiiiiiiiiii.has_indirect_call, 0
	.section	.AMDGPU.csdata,"",@progbits
; Kernel info:
; codeLenInByte = 4292
; TotalNumSgprs: 93
; NumVgprs: 107
; NumAgprs: 0
; TotalNumVgprs: 107
; ScratchSize: 0
; MemoryBound: 0
; FloatMode: 240
; IeeeMode: 1
; LDSByteSize: 0 bytes/workgroup (compile time only)
; SGPRBlocks: 11
; VGPRBlocks: 13
; NumSGPRsForWavesPerEU: 93
; NumVGPRsForWavesPerEU: 107
; AccumOffset: 108
; Occupancy: 4
; WaveLimiterHint : 0
; COMPUTE_PGM_RSRC2:SCRATCH_EN: 0
; COMPUTE_PGM_RSRC2:USER_SGPR: 2
; COMPUTE_PGM_RSRC2:TRAP_HANDLER: 0
; COMPUTE_PGM_RSRC2:TGID_X_EN: 1
; COMPUTE_PGM_RSRC2:TGID_Y_EN: 1
; COMPUTE_PGM_RSRC2:TGID_Z_EN: 1
; COMPUTE_PGM_RSRC2:TIDIG_COMP_CNT: 1
; COMPUTE_PGM_RSRC3_GFX90A:ACCUM_OFFSET: 26
; COMPUTE_PGM_RSRC3_GFX90A:TG_SPLIT: 0
	.section	.text._ZL13mul_mat_f_idsI7__half2Li64ELi3ELi6EEvPKT_PKfPKiS7_S7_Pfiiiiiiiiiiiiii15HIP_vector_typeIjLj3EESA_,"axG",@progbits,_ZL13mul_mat_f_idsI7__half2Li64ELi3ELi6EEvPKT_PKfPKiS7_S7_Pfiiiiiiiiiiiiii15HIP_vector_typeIjLj3EESA_,comdat
	.globl	_ZL13mul_mat_f_idsI7__half2Li64ELi3ELi6EEvPKT_PKfPKiS7_S7_Pfiiiiiiiiiiiiii15HIP_vector_typeIjLj3EESA_ ; -- Begin function _ZL13mul_mat_f_idsI7__half2Li64ELi3ELi6EEvPKT_PKfPKiS7_S7_Pfiiiiiiiiiiiiii15HIP_vector_typeIjLj3EESA_
	.p2align	8
	.type	_ZL13mul_mat_f_idsI7__half2Li64ELi3ELi6EEvPKT_PKfPKiS7_S7_Pfiiiiiiiiiiiiii15HIP_vector_typeIjLj3EESA_,@function
_ZL13mul_mat_f_idsI7__half2Li64ELi3ELi6EEvPKT_PKfPKiS7_S7_Pfiiiiiiiiiiiiii15HIP_vector_typeIjLj3EESA_: ; @_ZL13mul_mat_f_idsI7__half2Li64ELi3ELi6EEvPKT_PKfPKiS7_S7_Pfiiiiiiiiiiiiii15HIP_vector_typeIjLj3EESA_
; %bb.0:
	s_load_dwordx2 s[6:7], s[0:1], 0x20
	s_mov_b32 s34, s3
	s_ashr_i32 s35, s3, 31
	s_lshl_b64 s[8:9], s[34:35], 2
	s_waitcnt lgkmcnt(0)
	s_add_u32 s6, s6, s8
	s_addc_u32 s7, s7, s9
	s_load_dwordx2 s[26:27], s[6:7], 0x0
	s_waitcnt lgkmcnt(0)
	s_sub_i32 s33, s27, s26
	s_add_i32 s3, s33, 2
	s_mul_hi_i32 s3, s3, 0x55555556
	s_lshr_b32 s5, s3, 31
	s_add_i32 s3, s3, s5
	s_cmp_ge_i32 s4, s3
	s_cbranch_scc1 .LBB114_20
; %bb.1:
	v_bfe_u32 v85, v0, 10, 10
	v_lshlrev_b32_e32 v86, 6, v85
	v_and_b32_e32 v84, 0x3ff, v0
	s_load_dwordx4 s[12:15], s[0:1], 0x30
	s_load_dwordx2 s[20:21], s[0:1], 0x40
	s_load_dwordx4 s[8:11], s[0:1], 0x4c
	s_load_dwordx4 s[16:19], s[0:1], 0x68
	s_load_dwordx2 s[24:25], s[0:1], 0x78
	v_add_u32_e32 v88, v86, v84
	s_ashr_i32 s27, s26, 31
	s_waitcnt lgkmcnt(0)
	v_cmp_le_i32_e32 vcc, s12, v88
	v_and_b32_e32 v87, 15, v84
	s_and_saveexec_b64 s[6:7], vcc
	s_xor_b64 s[6:7], exec, s[6:7]
; %bb.2:
	v_and_b32_e32 v87, 15, v84
                                        ; implicit-def: $vgpr88
; %bb.3:
	s_or_saveexec_b64 s[30:31], s[6:7]
	s_load_dwordx2 s[6:7], s[0:1], 0x18
                                        ; implicit-def: $vgpr101 : SGPR spill to VGPR lane
	v_mov_b32_e32 v15, 0
	s_lshl_b32 s11, s2, 6
	s_mul_i32 s2, s4, 3
	v_mov_b32_e32 v14, v15
	s_waitcnt lgkmcnt(0)
	v_writelane_b32 v101, s6, 0
	v_mov_b32_e32 v13, v15
	v_mov_b32_e32 v12, v15
	v_writelane_b32 v101, s7, 1
	s_load_dwordx2 s[6:7], s[0:1], 0x28
	v_mov_b32_e32 v7, v15
	v_mov_b32_e32 v6, v15
	;; [unrolled: 1-line block ×4, first 2 shown]
	s_waitcnt lgkmcnt(0)
	v_writelane_b32 v101, s6, 2
	v_mov_b32_e32 v3, v15
	v_mov_b32_e32 v2, v15
	;; [unrolled: 1-line block ×8, first 2 shown]
	v_writelane_b32 v101, s7, 3
	s_xor_b64 exec, exec, s[30:31]
	s_cbranch_execz .LBB114_16
; %bb.4:
	s_load_dwordx4 s[4:7], s[0:1], 0x0
	s_load_dwordx2 s[22:23], s[0:1], 0x10
	s_mul_i32 s0, s8, s34
	s_ashr_i32 s1, s0, 31
	v_writelane_b32 v101, s24, 4
	s_lshl_b64 s[44:45], s[0:1], 2
	s_waitcnt lgkmcnt(0)
	s_add_u32 s0, s4, s44
	v_writelane_b32 v101, s25, 5
	s_mul_i32 s24, s15, s11
	s_addc_u32 s1, s5, s45
	s_ashr_i32 s25, s24, 31
	s_lshl_b64 s[46:47], s[24:25], 2
	s_add_u32 s0, s0, s46
	s_addc_u32 s1, s1, s47
	s_lshl_b64 s[24:25], s[26:27], 2
	s_add_u32 s8, s22, s24
	s_addc_u32 s24, s23, s25
	s_movk_i32 s3, 0x1080
	s_cmp_lt_i32 s2, s33
	v_mad_u32_u24 v1, v85, s3, 0
	s_cselect_b64 s[34:35], -1, 0
	s_ashr_i32 s3, s2, 31
	s_lshl_b64 s[22:23], s[2:3], 2
	s_add_u32 s36, s8, s22
	s_addc_u32 s37, s24, s23
	s_add_i32 s3, s2, 1
	s_cmp_lt_i32 s3, s33
	s_cselect_b64 s[38:39], -1, 0
	s_add_i32 s3, s2, 2
	s_cmp_lt_i32 s3, s33
	s_cselect_b64 s[40:41], -1, 0
	s_ashr_i32 s23, s15, 31
	s_mov_b32 s22, s15
	s_add_i32 s3, s15, s15
	s_lshl_b32 s48, s15, 2
	s_lshl_b32 s52, s15, 3
	;; [unrolled: 1-line block ×4, first 2 shown]
	s_lshl_b64 s[42:43], s[22:23], 2
	v_lshrrev_b32_e32 v3, 1, v84
	s_add_u32 s22, s44, s46
	v_mov_b32_e32 v17, 0
	v_lshlrev_b32_e32 v0, 2, v84
	v_mul_u32_u24_e32 v2, 0x108, v87
	v_and_b32_e32 v3, 0x1f8, v3
	s_addc_u32 s23, s45, s47
	v_lshlrev_b32_e32 v16, 8, v85
	v_add_u32_e32 v89, v1, v0
	v_add3_u32 v90, v1, v2, v3
	v_lshl_add_u64 v[2:3], s[22:23], 0, v[16:17]
	v_mov_b32_e32 v1, v17
	v_lshl_add_u64 v[0:1], v[2:3], 0, v[0:1]
	s_mul_i32 s8, s15, 3
	s_mul_i32 s49, s15, 5
	;; [unrolled: 1-line block ×43, first 2 shown]
	v_lshl_add_u64 v[18:19], s[4:5], 0, v[0:1]
	v_mov_b32_e32 v8, 0
	v_mov_b32_e32 v9, v17
	;; [unrolled: 1-line block ×16, first 2 shown]
	s_mul_i32 s90, s15, 50
	s_mul_i32 s91, s15, 51
	s_mul_i32 s92, s15, 52
	s_mul_i32 s93, s15, 53
	s_mul_i32 s94, s15, 54
	s_mul_i32 s95, s15, 55
	s_mul_i32 s96, s15, 56
	s_mul_i32 s97, s15, 57
	s_mul_i32 s98, s15, 58
	s_mul_i32 s99, s15, 59
	s_mul_i32 s24, s15, 60
	s_mul_i32 s25, s15, 61
	s_mul_i32 s22, s15, 62
	s_mul_i32 s15, s15, 63
	s_mov_b32 s23, 0x5040100
	s_mov_b64 s[4:5], 0
	s_branch .LBB114_6
.LBB114_5:                              ;   in Loop: Header=BB114_6 Depth=1
	v_perm_b32 v16, v16, v91, s23
	v_perm_b32 v91, v93, v94, s23
	ds_write2_b32 v89, v16, v91 offset1:66
	v_perm_b32 v16, v95, v92, s23
	ds_write2_b32 v89, v16, v17 offset0:132 offset1:198
	v_add_u32_e32 v16, 0x400, v89
	ds_write2_b32 v16, v17, v17 offset0:8 offset1:74
	ds_write2_b32 v16, v17, v17 offset0:140 offset1:206
	v_add_u32_e32 v16, 0x800, v89
	ds_write2_b32 v16, v17, v17 offset0:16 offset1:82
	;; [unrolled: 3-line block ×3, first 2 shown]
	ds_write2_b32 v16, v17, v17 offset0:156 offset1:222
	ds_read2_b64 v[92:95], v90 offset1:4
	s_waitcnt lgkmcnt(0)
	v_mfma_f32_16x16x16_f16 v[0:3], v[52:53], v[92:93], v[0:3]
	v_add_u32_e32 v88, 0x180, v88
	s_mov_b64 vcc, 0x600
	v_lshl_add_u64 v[18:19], v[18:19], 0, vcc
	v_mfma_f32_16x16x16_f16 v[8:11], v[36:37], v[92:93], v[8:11]
	v_cmp_le_i32_e32 vcc, s12, v88
	s_or_b64 s[4:5], vcc, s[4:5]
	v_mfma_f32_16x16x16_f16 v[4:7], v[68:69], v[92:93], v[4:7]
	v_mfma_f32_16x16x16_f16 v[12:15], v[82:83], v[92:93], v[12:15]
	v_mfma_f32_16x16x16_f16 v[0:3], v[50:51], v[94:95], v[0:3]
	ds_read2_b64 v[50:53], v90 offset0:8 offset1:12
	v_mfma_f32_16x16x16_f16 v[8:11], v[32:33], v[94:95], v[8:11]
	v_mfma_f32_16x16x16_f16 v[4:7], v[66:67], v[94:95], v[4:7]
	v_mfma_f32_16x16x16_f16 v[12:15], v[80:81], v[94:95], v[12:15]
	s_waitcnt lgkmcnt(0)
	v_mfma_f32_16x16x16_f16 v[8:11], v[30:31], v[50:51], v[8:11]
	v_mfma_f32_16x16x16_f16 v[0:3], v[46:47], v[50:51], v[0:3]
	v_mfma_f32_16x16x16_f16 v[4:7], v[64:65], v[50:51], v[4:7]
	v_mfma_f32_16x16x16_f16 v[12:15], v[76:77], v[50:51], v[12:15]
	v_mfma_f32_16x16x16_f16 v[8:11], v[28:29], v[52:53], v[8:11]
	ds_read2_b64 v[28:31], v90 offset0:16 offset1:20
	v_mfma_f32_16x16x16_f16 v[0:3], v[44:45], v[52:53], v[0:3]
	v_mfma_f32_16x16x16_f16 v[4:7], v[62:63], v[52:53], v[4:7]
	v_mfma_f32_16x16x16_f16 v[12:15], v[72:73], v[52:53], v[12:15]
	s_waitcnt lgkmcnt(0)
	v_mfma_f32_16x16x16_f16 v[8:11], v[26:27], v[28:29], v[8:11]
	v_mfma_f32_16x16x16_f16 v[0:3], v[42:43], v[28:29], v[0:3]
	;; [unrolled: 10-line block ×3, first 2 shown]
	v_mfma_f32_16x16x16_f16 v[4:7], v[54:55], v[24:25], v[4:7]
	v_mfma_f32_16x16x16_f16 v[12:15], v[70:71], v[24:25], v[12:15]
	;; [unrolled: 1-line block ×6, first 2 shown]
	s_andn2_b64 exec, exec, s[4:5]
	s_cbranch_execz .LBB114_15
.LBB114_6:                              ; =>This Inner Loop Header: Depth=1
	v_lshl_add_u64 v[20:21], v[18:19], 0, s[42:43]
	global_load_dword v16, v[18:19], off
	global_load_dword v46, v[20:21], off
	v_add_u32_e32 v20, s3, v88
	v_ashrrev_i32_e32 v21, 31, v20
	v_add_u32_e32 v22, s8, v88
	v_add_u32_e32 v24, s48, v88
	;; [unrolled: 1-line block ×5, first 2 shown]
	v_lshl_add_u64 v[20:21], v[20:21], 2, s[0:1]
	v_ashrrev_i32_e32 v23, 31, v22
	v_ashrrev_i32_e32 v25, 31, v24
	;; [unrolled: 1-line block ×5, first 2 shown]
	v_lshl_add_u64 v[22:23], v[22:23], 2, s[0:1]
	v_lshl_add_u64 v[24:25], v[24:25], 2, s[0:1]
	;; [unrolled: 1-line block ×5, first 2 shown]
	global_load_dword v47, v[20:21], off
	global_load_dword v48, v[22:23], off
	;; [unrolled: 1-line block ×6, first 2 shown]
	v_add_u32_e32 v20, s52, v88
	v_add_u32_e32 v38, s61, v88
	;; [unrolled: 1-line block ×10, first 2 shown]
	v_ashrrev_i32_e32 v21, 31, v20
	v_ashrrev_i32_e32 v39, 31, v38
	;; [unrolled: 1-line block ×10, first 2 shown]
	v_lshl_add_u64 v[20:21], v[20:21], 2, s[0:1]
	v_lshl_add_u64 v[38:39], v[38:39], 2, s[0:1]
	v_add_u32_e32 v40, s62, v88
	v_add_u32_e32 v42, s63, v88
	;; [unrolled: 1-line block ×3, first 2 shown]
	v_lshl_add_u64 v[22:23], v[22:23], 2, s[0:1]
	v_lshl_add_u64 v[24:25], v[24:25], 2, s[0:1]
	;; [unrolled: 1-line block ×8, first 2 shown]
	global_load_dword v53, v[20:21], off
	global_load_dword v54, v[22:23], off
	;; [unrolled: 1-line block ×9, first 2 shown]
	s_nop 0
	global_load_dword v38, v[38:39], off
	v_add_u32_e32 v20, s65, v88
	v_ashrrev_i32_e32 v41, 31, v40
	v_ashrrev_i32_e32 v43, 31, v42
	;; [unrolled: 1-line block ×4, first 2 shown]
	v_add_u32_e32 v22, s66, v88
	v_add_u32_e32 v24, s67, v88
	;; [unrolled: 1-line block ×4, first 2 shown]
	v_lshl_add_u64 v[40:41], v[40:41], 2, s[0:1]
	v_lshl_add_u64 v[42:43], v[42:43], 2, s[0:1]
	;; [unrolled: 1-line block ×4, first 2 shown]
	v_ashrrev_i32_e32 v23, 31, v22
	v_ashrrev_i32_e32 v25, 31, v24
	;; [unrolled: 1-line block ×4, first 2 shown]
	v_lshl_add_u64 v[22:23], v[22:23], 2, s[0:1]
	v_lshl_add_u64 v[24:25], v[24:25], 2, s[0:1]
	v_lshl_add_u64 v[26:27], v[26:27], 2, s[0:1]
	v_lshl_add_u64 v[28:29], v[28:29], 2, s[0:1]
	v_add_u32_e32 v30, s75, v88
	v_add_u32_e32 v32, s76, v88
	;; [unrolled: 1-line block ×3, first 2 shown]
	v_ashrrev_i32_e32 v31, 31, v30
	v_ashrrev_i32_e32 v33, 31, v32
	;; [unrolled: 1-line block ×3, first 2 shown]
	v_lshl_add_u64 v[30:31], v[30:31], 2, s[0:1]
	s_waitcnt vmcnt(17)
	ds_write_b32 v89, v16
	s_waitcnt vmcnt(16)
	ds_write_b32 v89, v46 offset:264
	s_waitcnt vmcnt(15)
	ds_write_b32 v89, v47 offset:528
	;; [unrolled: 2-line block ×7, first 2 shown]
	global_load_dword v16, v[40:41], off
	global_load_dword v39, v[42:43], off
	s_nop 0
	global_load_dword v40, v[44:45], off
	global_load_dword v41, v[20:21], off
	;; [unrolled: 1-line block ×4, first 2 shown]
	s_nop 0
	global_load_dword v44, v[26:27], off
	global_load_dword v45, v[28:29], off
	v_add_u32_e32 v20, s70, v88
	v_ashrrev_i32_e32 v21, 31, v20
	v_add_u32_e32 v22, s71, v88
	v_add_u32_e32 v24, s72, v88
	;; [unrolled: 1-line block ×4, first 2 shown]
	v_lshl_add_u64 v[20:21], v[20:21], 2, s[0:1]
	v_ashrrev_i32_e32 v23, 31, v22
	v_ashrrev_i32_e32 v25, 31, v24
	;; [unrolled: 1-line block ×4, first 2 shown]
	v_lshl_add_u64 v[22:23], v[22:23], 2, s[0:1]
	v_lshl_add_u64 v[24:25], v[24:25], 2, s[0:1]
	v_lshl_add_u64 v[26:27], v[26:27], 2, s[0:1]
	v_lshl_add_u64 v[28:29], v[28:29], 2, s[0:1]
	v_lshl_add_u64 v[32:33], v[32:33], 2, s[0:1]
	v_lshl_add_u64 v[34:35], v[34:35], 2, s[0:1]
	global_load_dword v46, v[20:21], off
	global_load_dword v47, v[22:23], off
	global_load_dword v48, v[24:25], off
	global_load_dword v49, v[26:27], off
	global_load_dword v50, v[28:29], off
	global_load_dword v51, v[30:31], off
	global_load_dword v62, v[32:33], off
	global_load_dword v63, v[34:35], off
	v_add_u32_e32 v20, s78, v88
	v_ashrrev_i32_e32 v21, 31, v20
	v_add_u32_e32 v22, s79, v88
	v_add_u32_e32 v24, s80, v88
	v_add_u32_e32 v26, s81, v88
	v_add_u32_e32 v28, s82, v88
	v_add_u32_e32 v30, s83, v88
	v_add_u32_e32 v32, s84, v88
	v_add_u32_e32 v34, s85, v88
	v_lshl_add_u64 v[20:21], v[20:21], 2, s[0:1]
	v_ashrrev_i32_e32 v23, 31, v22
	v_ashrrev_i32_e32 v25, 31, v24
	v_ashrrev_i32_e32 v27, 31, v26
	v_ashrrev_i32_e32 v29, 31, v28
	v_ashrrev_i32_e32 v31, 31, v30
	v_ashrrev_i32_e32 v33, 31, v32
	v_ashrrev_i32_e32 v35, 31, v34
	v_lshl_add_u64 v[22:23], v[22:23], 2, s[0:1]
	v_lshl_add_u64 v[24:25], v[24:25], 2, s[0:1]
	v_lshl_add_u64 v[26:27], v[26:27], 2, s[0:1]
	v_lshl_add_u64 v[28:29], v[28:29], 2, s[0:1]
	v_lshl_add_u64 v[30:31], v[30:31], 2, s[0:1]
	v_lshl_add_u64 v[32:33], v[32:33], 2, s[0:1]
	v_lshl_add_u64 v[34:35], v[34:35], 2, s[0:1]
	global_load_dword v64, v[20:21], off
	global_load_dword v65, v[22:23], off
	global_load_dword v66, v[24:25], off
	global_load_dword v67, v[26:27], off
	global_load_dword v68, v[28:29], off
	global_load_dword v69, v[30:31], off
	global_load_dword v70, v[32:33], off
	global_load_dword v71, v[34:35], off
	v_add_u32_e32 v20, s44, v88
	v_ashrrev_i32_e32 v21, 31, v20
	v_add_u32_e32 v22, s45, v88
	v_add_u32_e32 v24, s46, v88
	v_add_u32_e32 v26, s47, v88
	v_add_u32_e32 v28, s86, v88
	v_add_u32_e32 v30, s87, v88
	v_add_u32_e32 v32, s88, v88
	v_add_u32_e32 v34, s89, v88
	v_lshl_add_u64 v[20:21], v[20:21], 2, s[0:1]
	v_ashrrev_i32_e32 v23, 31, v22
	v_ashrrev_i32_e32 v25, 31, v24
	v_ashrrev_i32_e32 v27, 31, v26
	v_ashrrev_i32_e32 v29, 31, v28
	v_ashrrev_i32_e32 v31, 31, v30
	v_ashrrev_i32_e32 v33, 31, v32
	v_ashrrev_i32_e32 v35, 31, v34
	v_lshl_add_u64 v[22:23], v[22:23], 2, s[0:1]
	;; [unrolled: 32-line block ×3, first 2 shown]
	v_lshl_add_u64 v[24:25], v[24:25], 2, s[0:1]
	v_lshl_add_u64 v[26:27], v[26:27], 2, s[0:1]
	;; [unrolled: 1-line block ×6, first 2 shown]
	global_load_dword v80, v[20:21], off
	global_load_dword v81, v[22:23], off
	;; [unrolled: 1-line block ×8, first 2 shown]
	v_add_u32_e32 v20, s98, v88
	v_ashrrev_i32_e32 v21, 31, v20
	v_add_u32_e32 v22, s99, v88
	v_add_u32_e32 v24, s24, v88
	;; [unrolled: 1-line block ×5, first 2 shown]
	v_lshl_add_u64 v[20:21], v[20:21], 2, s[0:1]
	v_ashrrev_i32_e32 v23, 31, v22
	v_ashrrev_i32_e32 v25, 31, v24
	;; [unrolled: 1-line block ×5, first 2 shown]
	v_lshl_add_u64 v[22:23], v[22:23], 2, s[0:1]
	v_lshl_add_u64 v[24:25], v[24:25], 2, s[0:1]
	;; [unrolled: 1-line block ×5, first 2 shown]
	global_load_dword v95, v[20:21], off
	global_load_dword v96, v[22:23], off
	;; [unrolled: 1-line block ×6, first 2 shown]
	s_waitcnt vmcnt(55)
	ds_write_b32 v89, v53 offset:2112
	s_waitcnt vmcnt(54)
	ds_write_b32 v89, v54 offset:2376
	s_waitcnt vmcnt(53)
	ds_write_b32 v89, v55 offset:2640
	s_waitcnt vmcnt(52)
	ds_write_b32 v89, v56 offset:2904
	s_waitcnt vmcnt(51)
	ds_write_b32 v89, v57 offset:3168
	s_waitcnt vmcnt(50)
	ds_write_b32 v89, v58 offset:3432
	s_waitcnt vmcnt(49)
	ds_write_b32 v89, v59 offset:3696
	s_waitcnt vmcnt(48)
	ds_write_b32 v89, v60 offset:3960
	ds_read_b64 v[36:37], v90
	ds_read_b64 v[32:33], v90 offset:32
	ds_read_b64 v[30:31], v90 offset:64
	ds_read_b64 v[28:29], v90 offset:96
	ds_read_b64 v[26:27], v90 offset:128
	ds_read_b64 v[24:25], v90 offset:160
	ds_read_b64 v[22:23], v90 offset:192
	ds_read_b64 v[20:21], v90 offset:224
	s_waitcnt vmcnt(47)
	ds_write_b32 v89, v61
	s_waitcnt vmcnt(46)
	ds_write_b32 v89, v38 offset:264
	s_waitcnt vmcnt(45)
	ds_write_b32 v89, v16 offset:528
	s_waitcnt vmcnt(44)
	ds_write_b32 v89, v39 offset:792
	s_waitcnt vmcnt(43)
	ds_write_b32 v89, v40 offset:1056
	s_waitcnt vmcnt(42)
	ds_write_b32 v89, v41 offset:1320
	s_waitcnt vmcnt(41)
	ds_write_b32 v89, v42 offset:1584
	s_waitcnt vmcnt(40)
	ds_write_b32 v89, v43 offset:1848
	s_waitcnt vmcnt(39)
	ds_write_b32 v89, v44 offset:2112
	s_waitcnt vmcnt(38)
	ds_write_b32 v89, v45 offset:2376
	s_waitcnt vmcnt(37)
	ds_write_b32 v89, v46 offset:2640
	s_waitcnt vmcnt(36)
	ds_write_b32 v89, v47 offset:2904
	s_waitcnt vmcnt(35)
	ds_write_b32 v89, v48 offset:3168
	s_waitcnt vmcnt(34)
	ds_write_b32 v89, v49 offset:3432
	s_waitcnt vmcnt(33)
	ds_write_b32 v89, v50 offset:3696
	s_waitcnt vmcnt(32)
	ds_write_b32 v89, v51 offset:3960
	ds_read_b64 v[52:53], v90
	ds_read_b64 v[50:51], v90 offset:32
	ds_read_b64 v[46:47], v90 offset:64
	ds_read_b64 v[44:45], v90 offset:96
	ds_read_b64 v[42:43], v90 offset:128
	ds_read_b64 v[40:41], v90 offset:160
	ds_read_b64 v[38:39], v90 offset:192
	ds_read_b64 v[34:35], v90 offset:224
	s_waitcnt vmcnt(31)
	ds_write_b32 v89, v62
	s_waitcnt vmcnt(30)
	ds_write_b32 v89, v63 offset:264
	s_waitcnt vmcnt(29)
	ds_write_b32 v89, v64 offset:528
	s_waitcnt vmcnt(28)
	ds_write_b32 v89, v65 offset:792
	s_waitcnt vmcnt(27)
	ds_write_b32 v89, v66 offset:1056
	s_waitcnt vmcnt(26)
	ds_write_b32 v89, v67 offset:1320
	s_waitcnt vmcnt(25)
	ds_write_b32 v89, v68 offset:1584
	s_waitcnt vmcnt(24)
	ds_write_b32 v89, v69 offset:1848
	s_waitcnt vmcnt(23)
	ds_write_b32 v89, v70 offset:2112
	s_waitcnt vmcnt(22)
	ds_write_b32 v89, v71 offset:2376
	s_waitcnt vmcnt(21)
	ds_write_b32 v89, v72 offset:2640
	s_waitcnt vmcnt(20)
	ds_write_b32 v89, v73 offset:2904
	s_waitcnt vmcnt(19)
	ds_write_b32 v89, v74 offset:3168
	s_waitcnt vmcnt(18)
	ds_write_b32 v89, v75 offset:3432
	s_waitcnt vmcnt(17)
	ds_write_b32 v89, v76 offset:3696
	s_waitcnt vmcnt(16)
	ds_write_b32 v89, v77 offset:3960
	ds_read_b64 v[68:69], v90
	ds_read_b64 v[66:67], v90 offset:32
	ds_read_b64 v[64:65], v90 offset:64
	ds_read_b64 v[62:63], v90 offset:96
	ds_read_b64 v[60:61], v90 offset:128
	ds_read_b64 v[56:57], v90 offset:160
	ds_read_b64 v[54:55], v90 offset:192
	ds_read_b64 v[48:49], v90 offset:224
	s_waitcnt vmcnt(15)
	ds_write_b32 v89, v78
	s_waitcnt vmcnt(14)
	ds_write_b32 v89, v79 offset:264
	s_waitcnt vmcnt(13)
	ds_write_b32 v89, v80 offset:528
	s_waitcnt vmcnt(12)
	ds_write_b32 v89, v81 offset:792
	s_waitcnt vmcnt(11)
	ds_write_b32 v89, v82 offset:1056
	s_waitcnt vmcnt(10)
	ds_write_b32 v89, v83 offset:1320
	s_waitcnt vmcnt(9)
	ds_write_b32 v89, v91 offset:1584
	s_waitcnt vmcnt(8)
	ds_write_b32 v89, v92 offset:1848
	s_waitcnt vmcnt(7)
	ds_write_b32 v89, v93 offset:2112
	s_waitcnt vmcnt(6)
	ds_write_b32 v89, v94 offset:2376
	;; [unrolled: 2-line block ×8, first 2 shown]
	ds_read_b64 v[82:83], v90
	ds_read_b64 v[80:81], v90 offset:32
	ds_read_b64 v[76:77], v90 offset:64
	;; [unrolled: 1-line block ×7, first 2 shown]
	s_andn2_b64 vcc, exec, s[34:35]
	v_mov_b32_e32 v91, 0
	v_mov_b32_e32 v16, 0
	s_cbranch_vccnz .LBB114_9
; %bb.7:                                ;   in Loop: Header=BB114_6 Depth=1
	s_load_dword vcc_lo, s[36:37], 0x0
	v_mov_b32_e32 v16, 0
	v_mov_b32_e32 v91, 0
	s_waitcnt lgkmcnt(0)
	s_mul_hi_u32 vcc_hi, vcc_lo, s16
	s_add_i32 vcc_hi, vcc_lo, vcc_hi
	s_lshr_b32 s28, vcc_hi, s17
	s_cmp_ge_i32 s28, s13
	s_cbranch_scc1 .LBB114_9
; %bb.8:                                ;   in Loop: Header=BB114_6 Depth=1
	s_mul_i32 vcc_hi, s28, s18
	s_sub_i32 s29, vcc_lo, vcc_hi
	s_mul_i32 s28, s28, s20
	s_mul_i32 s29, s29, s9
	v_add_u32_e32 v16, s28, v88
	v_lshl_add_u32 v92, v16, 1, s29
	v_ashrrev_i32_e32 v93, 31, v92
	v_lshl_add_u64 v[92:93], v[92:93], 2, s[6:7]
	global_load_dwordx2 v[92:93], v[92:93], off
	s_waitcnt vmcnt(0)
	v_cvt_f16_f32_e32 v91, v92
	v_cvt_f16_f32_e32 v16, v93
.LBB114_9:                              ;   in Loop: Header=BB114_6 Depth=1
	v_mov_b32_e32 v92, 0
	s_andn2_b64 vcc, exec, s[38:39]
	v_mov_b32_e32 v94, 0
	v_mov_b32_e32 v93, 0
	s_cbranch_vccnz .LBB114_12
; %bb.10:                               ;   in Loop: Header=BB114_6 Depth=1
	s_load_dword vcc_lo, s[36:37], 0x4
	v_mov_b32_e32 v93, 0
	v_mov_b32_e32 v94, 0
	s_waitcnt lgkmcnt(0)
	s_mul_hi_u32 s28, vcc_lo, s16
	s_add_i32 s28, vcc_lo, s28
	s_lshr_b32 vcc_hi, s28, s17
	s_cmp_ge_i32 vcc_hi, s13
	s_cbranch_scc1 .LBB114_12
; %bb.11:                               ;   in Loop: Header=BB114_6 Depth=1
	s_mul_i32 s28, vcc_hi, s18
	s_sub_i32 s28, vcc_lo, s28
	s_mul_i32 vcc_hi, vcc_hi, s20
	s_mul_i32 s28, s28, s9
	v_add_u32_e32 v93, vcc_hi, v88
	v_lshl_add_u32 v94, v93, 1, s28
	v_ashrrev_i32_e32 v95, 31, v94
	v_lshl_add_u64 v[94:95], v[94:95], 2, s[6:7]
	global_load_dwordx2 v[94:95], v[94:95], off
	s_waitcnt vmcnt(0)
	v_cvt_f16_f32_e32 v94, v94
	v_cvt_f16_f32_e32 v93, v95
.LBB114_12:                             ;   in Loop: Header=BB114_6 Depth=1
	s_andn2_b64 vcc, exec, s[40:41]
	v_mov_b32_e32 v95, 0
	s_cbranch_vccnz .LBB114_5
; %bb.13:                               ;   in Loop: Header=BB114_6 Depth=1
	s_load_dword vcc_lo, s[36:37], 0x8
	v_mov_b32_e32 v95, 0
	v_mov_b32_e32 v92, 0
	s_waitcnt lgkmcnt(0)
	s_mul_hi_u32 s28, vcc_lo, s16
	s_add_i32 s28, vcc_lo, s28
	s_lshr_b32 vcc_hi, s28, s17
	s_cmp_ge_i32 vcc_hi, s13
	s_cbranch_scc1 .LBB114_5
; %bb.14:                               ;   in Loop: Header=BB114_6 Depth=1
	s_mul_i32 s28, vcc_hi, s18
	s_sub_i32 s28, vcc_lo, s28
	s_mul_i32 vcc_hi, vcc_hi, s20
	s_mul_i32 s28, s28, s9
	v_add_u32_e32 v92, vcc_hi, v88
	v_lshl_add_u32 v96, v92, 1, s28
	v_ashrrev_i32_e32 v97, 31, v96
	v_lshl_add_u64 v[96:97], v[96:97], 2, s[6:7]
	global_load_dwordx2 v[96:97], v[96:97], off
	s_waitcnt vmcnt(0)
	v_cvt_f16_f32_e32 v92, v96
	v_cvt_f16_f32_e32 v95, v97
	s_branch .LBB114_5
.LBB114_15:
	s_or_b64 exec, exec, s[4:5]
	v_readlane_b32 s24, v101, 4
	v_readlane_b32 s25, v101, 5
.LBB114_16:
	s_or_b64 exec, exec, s[30:31]
	v_lshl_add_u32 v16, v86, 2, 0
	v_mul_u32_u24_e32 v17, 0x608, v87
	v_and_b32_e32 v18, 0x3f0, v84
	v_add3_u32 v16, v16, v17, v18
	v_cmp_gt_u32_e32 vcc, 3, v85
	s_barrier
	ds_write2_b32 v16, v8, v9 offset1:1
	ds_write2_b32 v16, v10, v11 offset0:2 offset1:3
	ds_write2_b32 v16, v0, v1 offset0:16 offset1:17
	;; [unrolled: 1-line block ×7, first 2 shown]
	s_waitcnt lgkmcnt(0)
	s_barrier
	s_and_saveexec_b64 s[0:1], vcc
	s_cbranch_execz .LBB114_20
; %bb.17:
	s_cmp_gt_i32 s14, 0
	v_add_u32_e32 v0, s2, v85
	s_cselect_b64 s[0:1], -1, 0
	v_cmp_gt_i32_e32 vcc, s33, v0
	s_and_b64 s[0:1], s[0:1], vcc
	s_and_b64 exec, exec, s[0:1]
	s_cbranch_execz .LBB114_20
; %bb.18:
	s_lshl_b64 s[0:1], s[26:27], 2
	v_readlane_b32 s2, v101, 0
	v_readlane_b32 s3, v101, 1
	s_add_u32 s0, s2, s0
	s_addc_u32 s1, s3, s1
	v_ashrrev_i32_e32 v1, 31, v0
	v_lshl_add_u64 v[0:1], v[0:1], 2, s[0:1]
	global_load_dword v0, v[0:1], off
	s_waitcnt vmcnt(0)
	v_mul_hi_u32 v1, v0, s19
	v_add_u32_e32 v1, v0, v1
	v_lshrrev_b32_e32 v1, s24, v1
	v_cmp_gt_i32_e32 vcc, s13, v1
	s_and_b64 exec, exec, vcc
	s_cbranch_execz .LBB114_20
; %bb.19:
	v_lshlrev_b32_e32 v2, 2, v84
	v_mul_u32_u24_e32 v3, 0x608, v85
	v_add3_u32 v6, 0, v2, v3
	ds_read2st64_b32 v[2:3], v6 offset1:1
	ds_read2st64_b32 v[4:5], v6 offset0:2 offset1:3
	ds_read2st64_b32 v[6:7], v6 offset0:4 offset1:5
	v_add_u32_e32 v8, s11, v84
	v_readlane_b32 s0, v101, 2
	s_waitcnt lgkmcnt(2)
	v_add_f32_e32 v2, 0, v2
	v_add_f32_e32 v2, v2, v3
	v_mul_lo_u32 v3, v1, s25
	s_waitcnt lgkmcnt(1)
	v_add_f32_e32 v2, v2, v4
	v_sub_u32_e32 v0, v0, v3
	v_add_f32_e32 v2, v2, v5
	v_mul_lo_u32 v0, v0, s10
	v_mul_lo_u32 v1, v1, s21
	s_waitcnt lgkmcnt(0)
	v_add_f32_e32 v2, v2, v6
	v_add3_u32 v0, v8, v1, v0
	v_mov_b32_e32 v1, 0
	v_readlane_b32 s1, v101, 3
	v_add_f32_e32 v2, v2, v7
	s_nop 0
	v_lshl_add_u64 v[0:1], v[0:1], 2, s[0:1]
	global_store_dword v[0:1], v2, off
.LBB114_20:
	s_endpgm
	.section	.rodata,"a",@progbits
	.p2align	6, 0x0
	.amdhsa_kernel _ZL13mul_mat_f_idsI7__half2Li64ELi3ELi6EEvPKT_PKfPKiS7_S7_Pfiiiiiiiiiiiiii15HIP_vector_typeIjLj3EESA_
		.amdhsa_group_segment_fixed_size 0
		.amdhsa_private_segment_fixed_size 0
		.amdhsa_kernarg_size 128
		.amdhsa_user_sgpr_count 2
		.amdhsa_user_sgpr_dispatch_ptr 0
		.amdhsa_user_sgpr_queue_ptr 0
		.amdhsa_user_sgpr_kernarg_segment_ptr 1
		.amdhsa_user_sgpr_dispatch_id 0
		.amdhsa_user_sgpr_kernarg_preload_length 0
		.amdhsa_user_sgpr_kernarg_preload_offset 0
		.amdhsa_user_sgpr_private_segment_size 0
		.amdhsa_uses_dynamic_stack 0
		.amdhsa_enable_private_segment 0
		.amdhsa_system_sgpr_workgroup_id_x 1
		.amdhsa_system_sgpr_workgroup_id_y 1
		.amdhsa_system_sgpr_workgroup_id_z 1
		.amdhsa_system_sgpr_workgroup_info 0
		.amdhsa_system_vgpr_workitem_id 1
		.amdhsa_next_free_vgpr 102
		.amdhsa_next_free_sgpr 100
		.amdhsa_accum_offset 104
		.amdhsa_reserve_vcc 1
		.amdhsa_float_round_mode_32 0
		.amdhsa_float_round_mode_16_64 0
		.amdhsa_float_denorm_mode_32 3
		.amdhsa_float_denorm_mode_16_64 3
		.amdhsa_dx10_clamp 1
		.amdhsa_ieee_mode 1
		.amdhsa_fp16_overflow 0
		.amdhsa_tg_split 0
		.amdhsa_exception_fp_ieee_invalid_op 0
		.amdhsa_exception_fp_denorm_src 0
		.amdhsa_exception_fp_ieee_div_zero 0
		.amdhsa_exception_fp_ieee_overflow 0
		.amdhsa_exception_fp_ieee_underflow 0
		.amdhsa_exception_fp_ieee_inexact 0
		.amdhsa_exception_int_div_zero 0
	.end_amdhsa_kernel
	.section	.text._ZL13mul_mat_f_idsI7__half2Li64ELi3ELi6EEvPKT_PKfPKiS7_S7_Pfiiiiiiiiiiiiii15HIP_vector_typeIjLj3EESA_,"axG",@progbits,_ZL13mul_mat_f_idsI7__half2Li64ELi3ELi6EEvPKT_PKfPKiS7_S7_Pfiiiiiiiiiiiiii15HIP_vector_typeIjLj3EESA_,comdat
.Lfunc_end114:
	.size	_ZL13mul_mat_f_idsI7__half2Li64ELi3ELi6EEvPKT_PKfPKiS7_S7_Pfiiiiiiiiiiiiii15HIP_vector_typeIjLj3EESA_, .Lfunc_end114-_ZL13mul_mat_f_idsI7__half2Li64ELi3ELi6EEvPKT_PKfPKiS7_S7_Pfiiiiiiiiiiiiii15HIP_vector_typeIjLj3EESA_
                                        ; -- End function
	.set _ZL13mul_mat_f_idsI7__half2Li64ELi3ELi6EEvPKT_PKfPKiS7_S7_Pfiiiiiiiiiiiiii15HIP_vector_typeIjLj3EESA_.num_vgpr, 102
	.set _ZL13mul_mat_f_idsI7__half2Li64ELi3ELi6EEvPKT_PKfPKiS7_S7_Pfiiiiiiiiiiiiii15HIP_vector_typeIjLj3EESA_.num_agpr, 0
	.set _ZL13mul_mat_f_idsI7__half2Li64ELi3ELi6EEvPKT_PKfPKiS7_S7_Pfiiiiiiiiiiiiii15HIP_vector_typeIjLj3EESA_.numbered_sgpr, 100
	.set _ZL13mul_mat_f_idsI7__half2Li64ELi3ELi6EEvPKT_PKfPKiS7_S7_Pfiiiiiiiiiiiiii15HIP_vector_typeIjLj3EESA_.num_named_barrier, 0
	.set _ZL13mul_mat_f_idsI7__half2Li64ELi3ELi6EEvPKT_PKfPKiS7_S7_Pfiiiiiiiiiiiiii15HIP_vector_typeIjLj3EESA_.private_seg_size, 0
	.set _ZL13mul_mat_f_idsI7__half2Li64ELi3ELi6EEvPKT_PKfPKiS7_S7_Pfiiiiiiiiiiiiii15HIP_vector_typeIjLj3EESA_.uses_vcc, 1
	.set _ZL13mul_mat_f_idsI7__half2Li64ELi3ELi6EEvPKT_PKfPKiS7_S7_Pfiiiiiiiiiiiiii15HIP_vector_typeIjLj3EESA_.uses_flat_scratch, 0
	.set _ZL13mul_mat_f_idsI7__half2Li64ELi3ELi6EEvPKT_PKfPKiS7_S7_Pfiiiiiiiiiiiiii15HIP_vector_typeIjLj3EESA_.has_dyn_sized_stack, 0
	.set _ZL13mul_mat_f_idsI7__half2Li64ELi3ELi6EEvPKT_PKfPKiS7_S7_Pfiiiiiiiiiiiiii15HIP_vector_typeIjLj3EESA_.has_recursion, 0
	.set _ZL13mul_mat_f_idsI7__half2Li64ELi3ELi6EEvPKT_PKfPKiS7_S7_Pfiiiiiiiiiiiiii15HIP_vector_typeIjLj3EESA_.has_indirect_call, 0
	.section	.AMDGPU.csdata,"",@progbits
; Kernel info:
; codeLenInByte = 4648
; TotalNumSgprs: 106
; NumVgprs: 102
; NumAgprs: 0
; TotalNumVgprs: 102
; ScratchSize: 0
; MemoryBound: 0
; FloatMode: 240
; IeeeMode: 1
; LDSByteSize: 0 bytes/workgroup (compile time only)
; SGPRBlocks: 13
; VGPRBlocks: 12
; NumSGPRsForWavesPerEU: 106
; NumVGPRsForWavesPerEU: 102
; AccumOffset: 104
; Occupancy: 4
; WaveLimiterHint : 1
; COMPUTE_PGM_RSRC2:SCRATCH_EN: 0
; COMPUTE_PGM_RSRC2:USER_SGPR: 2
; COMPUTE_PGM_RSRC2:TRAP_HANDLER: 0
; COMPUTE_PGM_RSRC2:TGID_X_EN: 1
; COMPUTE_PGM_RSRC2:TGID_Y_EN: 1
; COMPUTE_PGM_RSRC2:TGID_Z_EN: 1
; COMPUTE_PGM_RSRC2:TIDIG_COMP_CNT: 1
; COMPUTE_PGM_RSRC3_GFX90A:ACCUM_OFFSET: 25
; COMPUTE_PGM_RSRC3_GFX90A:TG_SPLIT: 0
	.section	.text._ZL9mul_mat_fI7__half2Li64ELi3ELi6ELb1EEvPKT_PKfPKiPfiiiiiiiiiiiiiiii,"axG",@progbits,_ZL9mul_mat_fI7__half2Li64ELi3ELi6ELb1EEvPKT_PKfPKiPfiiiiiiiiiiiiiiii,comdat
	.globl	_ZL9mul_mat_fI7__half2Li64ELi3ELi6ELb1EEvPKT_PKfPKiPfiiiiiiiiiiiiiiii ; -- Begin function _ZL9mul_mat_fI7__half2Li64ELi3ELi6ELb1EEvPKT_PKfPKiPfiiiiiiiiiiiiiiii
	.p2align	8
	.type	_ZL9mul_mat_fI7__half2Li64ELi3ELi6ELb1EEvPKT_PKfPKiPfiiiiiiiiiiiiiiii,@function
_ZL9mul_mat_fI7__half2Li64ELi3ELi6ELb1EEvPKT_PKfPKiPfiiiiiiiiiiiiiiii: ; @_ZL9mul_mat_fI7__half2Li64ELi3ELi6ELb1EEvPKT_PKfPKiPfiiiiiiiiiiiiiiii
; %bb.0:
	s_load_dwordx8 s[12:19], s[0:1], 0x20
	v_and_b32_e32 v16, 0x3ff, v0
	v_bfe_u32 v17, v0, 10, 10
	s_waitcnt lgkmcnt(0)
	s_add_i32 s5, s13, 2
	s_mul_hi_i32 s5, s5, 0x55555556
	s_lshr_b32 s6, s5, 31
	s_add_i32 s5, s5, s6
	v_cvt_f32_u32_e32 v1, s5
	s_load_dwordx4 s[20:23], s[0:1], 0x44
	s_load_dword s6, s[0:1], 0x64
	s_add_u32 s30, s0, 0x60
	s_addc_u32 s31, s1, 0
	v_rcp_iflag_f32_e32 v1, v1
	s_sub_i32 s7, 0, s5
	s_waitcnt lgkmcnt(0)
	s_abs_i32 s33, s23
	v_mul_f32_e32 v1, 0x4f7ffffe, v1
	v_cvt_u32_f32_e32 v1, v1
	v_mul_lo_u32 v2, s7, v1
	v_mul_hi_u32 v2, v1, v2
	v_add_u32_e32 v1, v1, v2
	v_mul_hi_u32 v1, s6, v1
	v_mul_lo_u32 v2, v1, s5
	v_sub_u32_e32 v2, s6, v2
	v_add_u32_e32 v3, 1, v1
	v_subrev_u32_e32 v4, s5, v2
	v_cmp_le_u32_e32 vcc, s5, v2
	s_nop 1
	v_cndmask_b32_e32 v1, v1, v3, vcc
	v_cndmask_b32_e32 v2, v2, v4, vcc
	v_add_u32_e32 v3, 1, v1
	v_cmp_le_u32_e32 vcc, s5, v2
	v_cvt_f32_u32_e32 v4, s33
	s_sub_i32 s5, 0, s33
	v_cndmask_b32_e32 v2, v1, v3, vcc
	v_cvt_f32_u32_e32 v1, v2
	v_rcp_iflag_f32_e32 v3, v4
	v_sub_u32_e32 v5, 0, v2
	v_cmp_eq_u32_e32 vcc, 0, v16
	v_rcp_iflag_f32_e32 v4, v1
	v_mul_f32_e32 v1, 0x4f7ffffe, v3
	v_cvt_u32_f32_e32 v1, v1
	v_mul_f32_e32 v3, 0x4f7ffffe, v4
	v_cvt_u32_f32_e32 v3, v3
	v_mul_lo_u32 v4, s5, v1
	v_mul_hi_u32 v4, v1, v4
	v_mul_lo_u32 v5, v5, v3
	v_mul_hi_u32 v5, v3, v5
	v_add_u32_e32 v3, v3, v5
	v_mul_hi_u32 v3, s3, v3
	s_and_saveexec_b64 s[6:7], vcc
; %bb.1:
	v_mov_b32_e32 v5, 0x100
	v_lshl_add_u32 v5, v17, 2, v5
	v_mov_b32_e32 v6, -1
	ds_write_b32 v5, v6
; %bb.2:
	s_or_b64 exec, exec, s[6:7]
	v_add_u32_e32 v1, v1, v4
	v_mul_lo_u32 v4, v3, v2
	v_sub_u32_e32 v4, s3, v4
	v_add_u32_e32 v5, 1, v3
	v_sub_u32_e32 v6, v4, v2
	v_cmp_ge_u32_e32 vcc, v4, v2
	s_load_dwordx4 s[24:27], s[0:1], 0x54
	s_waitcnt lgkmcnt(0)
	s_abs_i32 s27, s4
	v_cndmask_b32_e32 v3, v3, v5, vcc
	v_cndmask_b32_e32 v4, v4, v6, vcc
	v_add_u32_e32 v5, 1, v3
	v_cmp_ge_u32_e32 vcc, v4, v2
	v_mov_b32_e32 v6, 0
	s_nop 0
	v_cndmask_b32_e32 v3, v3, v5, vcc
	v_mul_lo_u32 v2, v3, v2
	v_mul_lo_u32 v94, v3, 3
	v_sub_u32_e32 v18, s3, v2
	v_add_u32_e32 v2, v17, v94
	v_cmp_gt_i32_e64 s[8:9], s13, v2
	s_and_saveexec_b64 s[10:11], s[8:9]
	s_cbranch_execz .LBB115_10
; %bb.3:
	v_cmp_gt_i32_e32 vcc, s14, v16
	v_mov_b32_e32 v6, 0
	s_and_saveexec_b64 s[28:29], vcc
	s_cbranch_execz .LBB115_9
; %bb.4:
	s_load_dwordx2 s[6:7], s[0:1], 0x10
	v_mul_hi_i32 v3, v94, s19
	v_mul_lo_u32 v2, v94, s19
	v_mul_lo_u32 v4, v17, s19
	v_lshlrev_b64 v[2:3], 2, v[2:3]
	s_waitcnt lgkmcnt(0)
	v_lshl_add_u64 v[2:3], s[6:7], 0, v[2:3]
	v_ashrrev_i32_e32 v5, 31, v4
	v_lshl_add_u64 v[2:3], v[4:5], 2, v[2:3]
	v_mov_b32_e32 v4, 0x100
	v_lshl_add_u32 v7, v17, 2, v4
	v_mul_lo_u32 v4, v16, s18
	s_lshl_b32 s3, s18, 6
	v_mov_b32_e32 v6, 0
	s_mov_b64 s[18:19], 0
	v_mov_b32_e32 v8, v16
	s_branch .LBB115_6
.LBB115_5:                              ;   in Loop: Header=BB115_6 Depth=1
	s_or_b64 exec, exec, s[34:35]
	v_add_u32_e32 v8, 64, v8
	v_cmp_le_i32_e64 s[6:7], s14, v8
	s_xor_b64 s[34:35], vcc, -1
	s_or_b64 s[6:7], s[34:35], s[6:7]
	s_and_b64 s[6:7], exec, s[6:7]
	s_or_b64 s[18:19], s[6:7], s[18:19]
	v_add_u32_e32 v4, s3, v4
	s_andn2_b64 exec, exec, s[18:19]
	s_cbranch_execz .LBB115_8
.LBB115_6:                              ; =>This Inner Loop Header: Depth=1
	v_ashrrev_i32_e32 v5, 31, v4
	v_lshl_add_u64 v[10:11], v[4:5], 2, v[2:3]
	global_load_dword v5, v[10:11], off
	s_waitcnt vmcnt(0)
	v_cmp_ne_u32_e32 vcc, v5, v18
	v_cmp_eq_u32_e64 s[6:7], v5, v18
	s_and_saveexec_b64 s[34:35], s[6:7]
	s_cbranch_execz .LBB115_5
; %bb.7:                                ;   in Loop: Header=BB115_6 Depth=1
	v_mov_b32_e32 v6, 1
	ds_write_b32 v7, v8
	s_branch .LBB115_5
.LBB115_8:
	s_or_b64 exec, exec, s[18:19]
.LBB115_9:
	s_or_b64 exec, exec, s[28:29]
.LBB115_10:
	s_or_b64 exec, exec, s[10:11]
	s_load_dwordx2 s[18:19], s[30:31], 0xc
	s_load_dwordx2 s[28:29], s[0:1], 0x8
	;; [unrolled: 1-line block ×3, first 2 shown]
	v_mul_hi_u32 v19, s27, v1
	v_or_b32_dpp v1, v6, v6 row_shl:1 row_mask:0xf bank_mask:0xf bound_ctrl:1
	s_waitcnt lgkmcnt(0)
	s_lshr_b32 s6, s18, 16
	s_and_b32 s5, s18, 0xffff
	v_or_b32_dpp v1, v1, v1 row_shl:2 row_mask:0xf bank_mask:0xf bound_ctrl:1
	s_mul_i32 s7, s6, s5
	s_and_b32 s3, s19, 0xffff
	v_or_b32_dpp v1, v1, v1 row_shl:4 row_mask:0xf bank_mask:0xf bound_ctrl:1
	s_bfe_i32 s7, s7, 0x180000
	s_mul_i32 s3, s7, s3
	v_or_b32_dpp v1, v1, v1 row_shl:8 row_mask:0xf bank_mask:0xf bound_ctrl:1
	s_add_i32 s7, s3, 63
	s_bitcmp1_b32 exec_hi, 0
	v_mov_b32_dpp v2, v1 wave_shl:1 row_mask:0xf bank_mask:0xf bound_ctrl:1
	s_nop 1
	v_or_b32_dpp v1, v2, v1 row_mirror row_mask:0xf bank_mask:0xf bound_ctrl:1
	s_nop 0
	v_readlane_b32 s3, v1, 32
	s_cselect_b32 s3, s3, 0
	v_readlane_b32 s14, v1, 0
	s_or_b32 s3, s3, s14
	s_andn2_b32 s7, s7, 63
	s_cmp_lg_u32 s7, 64
	v_mov_b32_e32 v1, s3
	s_cbranch_scc0 .LBB115_17
; %bb.11:
	v_bfe_u32 v0, v0, 20, 10
	v_mbcnt_lo_u32_b32 v1, -1, 0
	v_mad_u32_u24 v0, v0, s6, v17
	v_mbcnt_hi_u32_b32 v2, -1, v1
	v_mad_u64_u32 v[0:1], s[6:7], v0, s5, v[16:17]
	v_lshrrev_b32_e32 v1, 6, v0
	v_or_b32_e32 v1, v2, v1
	v_cmp_eq_u32_e32 vcc, 0, v1
	s_and_saveexec_b64 s[6:7], vcc
; %bb.12:
	v_mov_b32_e32 v1, 0
	v_mov_b32_e32 v3, s3
	ds_write_b32 v1, v3
; %bb.13:
	s_or_b64 exec, exec, s[6:7]
	v_cmp_eq_u32_e32 vcc, 0, v2
	v_cmp_lt_u32_e64 s[6:7], 63, v0
	s_and_b64 s[18:19], s[6:7], vcc
	s_waitcnt lgkmcnt(0)
	s_barrier
	s_and_saveexec_b64 s[6:7], s[18:19]
	s_cbranch_execz .LBB115_16
; %bb.14:
	v_mbcnt_lo_u32_b32 v0, exec_lo, 0
	v_mbcnt_hi_u32_b32 v0, exec_hi, v0
	v_cmp_eq_u32_e32 vcc, 0, v0
	s_and_b64 exec, exec, vcc
; %bb.15:
	v_mov_b32_e32 v0, 0
	v_mov_b32_e32 v1, s3
	ds_or_b32 v0, v1
.LBB115_16:
	s_or_b64 exec, exec, s[6:7]
	v_mov_b32_e32 v0, 0
	s_waitcnt lgkmcnt(0)
	s_barrier
	ds_read_b32 v1, v0
	s_waitcnt lgkmcnt(0)
	s_barrier
.LBB115_17:
	s_load_dwordx2 s[0:1], s[0:1], 0x0
	v_cmp_ne_u32_e32 vcc, 0, v1
	s_ashr_i32 s3, s4, 31
	s_ashr_i32 s14, s23, 31
	s_cbranch_vccz .LBB115_39
; %bb.18:
	v_lshlrev_b32_e32 v95, 6, v17
	v_add_u32_e32 v97, v95, v16
	v_cmp_le_i32_e32 vcc, s12, v97
	v_and_b32_e32 v96, 15, v16
	s_and_saveexec_b64 s[6:7], vcc
	s_xor_b64 s[6:7], exec, s[6:7]
; %bb.19:
	v_and_b32_e32 v96, 15, v16
                                        ; implicit-def: $vgpr97
                                        ; implicit-def: $vgpr19
                                        ; implicit-def: $vgpr18
; %bb.20:
	s_or_saveexec_b64 s[18:19], s[6:7]
	v_mov_b32_e32 v11, 0
	s_lshl_b32 s5, s2, 6
	v_mov_b32_e32 v10, v11
	v_mov_b32_e32 v9, v11
	;; [unrolled: 1-line block ×15, first 2 shown]
	s_xor_b64 exec, exec, s[18:19]
	s_cbranch_execz .LBB115_36
; %bb.21:
	v_mul_lo_u32 v0, v19, s33
	v_sub_u32_e32 v0, s27, v0
	v_add_u32_e32 v1, 1, v19
	v_subrev_u32_e32 v2, s33, v0
	v_cmp_le_u32_e32 vcc, s33, v0
	s_xor_b32 s2, s3, s14
	s_movk_i32 s6, 0x1080
	v_cndmask_b32_e32 v1, v19, v1, vcc
	v_cndmask_b32_e32 v0, v0, v2, vcc
	v_add_u32_e32 v2, 1, v1
	v_cmp_le_u32_e32 vcc, s33, v0
	v_mov_b32_e32 v98, 0x100
	v_mad_u32_u24 v6, v17, s6, v98
	v_cndmask_b32_e32 v0, v1, v2, vcc
	v_xor_b32_e32 v0, s2, v0
	v_subrev_u32_e32 v0, s2, v0
	v_mul_hi_i32 v1, v0, s24
	v_mul_lo_u32 v0, v0, s24
	v_mul_lo_u32 v2, v18, s20
	v_ashrrev_i32_e32 v3, 31, v2
	s_mul_i32 s2, s15, s5
	v_lshlrev_b64 v[0:1], 2, v[0:1]
	s_waitcnt lgkmcnt(0)
	v_lshl_add_u64 v[4:5], s[0:1], 0, v[0:1]
	v_lshlrev_b64 v[2:3], 2, v[2:3]
	s_ashr_i32 s3, s2, 31
	s_mul_hi_i32 s7, s25, s4
	s_mul_i32 s6, s25, s4
	v_lshl_add_u64 v[4:5], v[4:5], 0, v[2:3]
	s_lshl_b64 s[2:3], s[2:3], 2
	s_lshl_b64 s[6:7], s[6:7], 2
	v_lshl_add_u64 v[18:19], v[4:5], 0, s[2:3]
	v_mul_hi_i32 v5, s16, v94
	v_mul_lo_u32 v4, s16, v94
	s_add_u32 s6, s28, s6
	v_lshlrev_b64 v[4:5], 3, v[4:5]
	s_addc_u32 s7, s29, s7
	v_lshl_add_u64 v[0:1], v[0:1], 0, s[2:3]
	v_lshl_add_u64 v[20:21], s[6:7], 0, v[4:5]
	v_lshrrev_b32_e32 v5, 1, v16
	v_lshl_add_u64 v[0:1], v[0:1], 0, v[2:3]
	v_mul_u32_u24_e32 v4, 0x108, v96
	v_and_b32_e32 v5, 0x1f8, v5
	v_add_u32_e32 v26, 1, v94
	v_add_u32_e32 v27, 2, v94
	s_ashr_i32 s7, s15, 31
	s_mov_b32 s6, s15
	v_lshl_add_u64 v[0:1], s[0:1], 0, v[0:1]
	v_lshlrev_b32_e32 v2, 1, v16
	v_lshlrev_b32_e32 v22, 2, v97
	v_mov_b32_e32 v23, 0
	v_lshl_add_u32 v99, v16, 2, v6
	v_add3_u32 v100, v6, v4, v5
	s_lshl_b32 s20, s16, 2
	s_add_i32 s23, s15, s15
	s_mul_i32 s27, s15, 3
	s_lshl_b32 s30, s15, 2
	s_mul_i32 s31, s15, 5
	s_mul_i32 s33, s15, 6
	;; [unrolled: 1-line block ×3, first 2 shown]
	s_lshl_b32 s35, s15, 3
	s_mul_i32 s36, s15, 9
	s_mul_i32 s37, s15, 10
	;; [unrolled: 1-line block ×7, first 2 shown]
	s_lshl_b32 s43, s15, 4
	s_mul_i32 s44, s15, 17
	s_mul_i32 s45, s15, 18
	;; [unrolled: 1-line block ×15, first 2 shown]
	s_lshl_b32 s59, s15, 5
	s_mul_i32 s60, s15, 33
	s_mul_i32 s61, s15, 34
	;; [unrolled: 1-line block ×22, first 2 shown]
	v_cmp_gt_i32_e64 s[2:3], s13, v94
	s_mul_i32 s82, s15, 55
	s_mul_i32 s83, s15, 56
	v_lshl_add_u32 v101, v17, 7, v2
	s_lshl_b64 s[24:25], s[6:7], 2
	v_lshl_add_u64 v[24:25], v[0:1], 0, v[22:23]
	v_mov_b32_e32 v12, 0
	v_mov_b32_e32 v13, v23
	;; [unrolled: 1-line block ×16, first 2 shown]
	s_mul_i32 s84, s15, 57
	s_mul_i32 s85, s15, 58
	;; [unrolled: 1-line block ×7, first 2 shown]
	s_lshl_b32 s16, s16, 1
	v_cmp_gt_i32_e64 s[0:1], s13, v26
	v_cmp_gt_i32_e64 s[6:7], s13, v27
	s_mov_b64 s[14:15], 0
	s_mov_b64 s[28:29], 0x600
	s_branch .LBB115_24
.LBB115_22:                             ;   in Loop: Header=BB115_24 Depth=1
	v_mul_lo_u32 v22, v22, s21
	v_add_u32_e32 v22, s20, v22
	v_add_u32_e32 v90, v22, v101
	v_ashrrev_i32_e32 v91, 31, v90
	v_lshl_add_u64 v[90:91], v[90:91], 2, v[20:21]
	global_load_dwordx2 v[90:91], v[90:91], off
.LBB115_23:                             ;   in Loop: Header=BB115_24 Depth=1
	s_waitcnt vmcnt(0)
	v_cvt_pk_f16_f32 v22, v90, v91
	ds_write2_b32 v99, v22, v23 offset0:148 offset1:214
	v_add_u32_e32 v22, 0x400, v99
	ds_write2_b32 v22, v23, v23 offset0:24 offset1:90
	ds_write2_b32 v22, v23, v23 offset0:156 offset1:222
	v_add_u32_e32 v22, 0x800, v99
	ds_write2_b32 v22, v23, v23 offset0:32 offset1:98
	;; [unrolled: 3-line block ×3, first 2 shown]
	ds_write2_b32 v22, v23, v23 offset0:172 offset1:238
	ds_read2_b64 v[90:93], v100 offset0:8 offset1:12
	v_add_u32_e32 v97, 0x180, v97
	s_waitcnt lgkmcnt(0)
	v_mfma_f32_16x16x16_f16 v[0:3], v[58:59], v[90:91], v[0:3]
	v_cmp_le_i32_e32 vcc, s12, v97
	v_add_u32_e32 v101, 0x300, v101
	v_lshl_add_u64 v[24:25], v[24:25], 0, s[28:29]
	v_mfma_f32_16x16x16_f16 v[8:11], v[42:43], v[90:91], v[8:11]
	s_or_b64 s[14:15], vcc, s[14:15]
	v_mfma_f32_16x16x16_f16 v[4:7], v[74:75], v[90:91], v[4:7]
	v_mfma_f32_16x16x16_f16 v[12:15], v[88:89], v[90:91], v[12:15]
	v_mfma_f32_16x16x16_f16 v[0:3], v[56:57], v[92:93], v[0:3]
	ds_read2_b64 v[56:59], v100 offset0:16 offset1:20
	v_mfma_f32_16x16x16_f16 v[8:11], v[38:39], v[92:93], v[8:11]
	v_mfma_f32_16x16x16_f16 v[4:7], v[72:73], v[92:93], v[4:7]
	v_mfma_f32_16x16x16_f16 v[12:15], v[86:87], v[92:93], v[12:15]
	s_waitcnt lgkmcnt(0)
	v_mfma_f32_16x16x16_f16 v[8:11], v[36:37], v[56:57], v[8:11]
	v_mfma_f32_16x16x16_f16 v[0:3], v[52:53], v[56:57], v[0:3]
	v_mfma_f32_16x16x16_f16 v[4:7], v[70:71], v[56:57], v[4:7]
	v_mfma_f32_16x16x16_f16 v[12:15], v[84:85], v[56:57], v[12:15]
	v_mfma_f32_16x16x16_f16 v[8:11], v[34:35], v[58:59], v[8:11]
	ds_read2_b64 v[34:37], v100 offset0:24 offset1:28
	v_mfma_f32_16x16x16_f16 v[0:3], v[50:51], v[58:59], v[0:3]
	v_mfma_f32_16x16x16_f16 v[4:7], v[68:69], v[58:59], v[4:7]
	v_mfma_f32_16x16x16_f16 v[12:15], v[82:83], v[58:59], v[12:15]
	s_waitcnt lgkmcnt(0)
	v_mfma_f32_16x16x16_f16 v[8:11], v[32:33], v[34:35], v[8:11]
	v_mfma_f32_16x16x16_f16 v[0:3], v[48:49], v[34:35], v[0:3]
	;; [unrolled: 10-line block ×3, first 2 shown]
	v_mfma_f32_16x16x16_f16 v[4:7], v[60:61], v[30:31], v[4:7]
	v_mfma_f32_16x16x16_f16 v[12:15], v[76:77], v[30:31], v[12:15]
	;; [unrolled: 1-line block ×6, first 2 shown]
	s_andn2_b64 exec, exec, s[14:15]
	s_cbranch_execz .LBB115_35
.LBB115_24:                             ; =>This Inner Loop Header: Depth=1
	v_lshl_add_u64 v[26:27], v[24:25], 0, s[24:25]
	global_load_dword v22, v[24:25], off
	global_load_dword v52, v[26:27], off
	v_add_u32_e32 v26, s23, v97
	v_ashrrev_i32_e32 v27, 31, v26
	v_add_u32_e32 v28, s27, v97
	v_add_u32_e32 v30, s30, v97
	;; [unrolled: 1-line block ×5, first 2 shown]
	v_lshl_add_u64 v[26:27], v[26:27], 2, v[18:19]
	v_ashrrev_i32_e32 v29, 31, v28
	v_ashrrev_i32_e32 v31, 31, v30
	;; [unrolled: 1-line block ×5, first 2 shown]
	v_lshl_add_u64 v[28:29], v[28:29], 2, v[18:19]
	v_lshl_add_u64 v[30:31], v[30:31], 2, v[18:19]
	;; [unrolled: 1-line block ×5, first 2 shown]
	global_load_dword v53, v[26:27], off
	global_load_dword v54, v[28:29], off
	global_load_dword v55, v[30:31], off
	global_load_dword v56, v[32:33], off
	global_load_dword v57, v[34:35], off
	global_load_dword v58, v[36:37], off
	v_add_u32_e32 v26, s35, v97
	v_add_u32_e32 v44, s44, v97
	;; [unrolled: 1-line block ×10, first 2 shown]
	v_ashrrev_i32_e32 v27, 31, v26
	v_ashrrev_i32_e32 v45, 31, v44
	;; [unrolled: 1-line block ×10, first 2 shown]
	v_lshl_add_u64 v[26:27], v[26:27], 2, v[18:19]
	v_lshl_add_u64 v[44:45], v[44:45], 2, v[18:19]
	v_add_u32_e32 v46, s45, v97
	v_add_u32_e32 v48, s46, v97
	;; [unrolled: 1-line block ×3, first 2 shown]
	v_lshl_add_u64 v[28:29], v[28:29], 2, v[18:19]
	v_lshl_add_u64 v[30:31], v[30:31], 2, v[18:19]
	;; [unrolled: 1-line block ×8, first 2 shown]
	global_load_dword v59, v[26:27], off
	global_load_dword v60, v[28:29], off
	;; [unrolled: 1-line block ×9, first 2 shown]
	s_nop 0
	global_load_dword v44, v[44:45], off
	v_add_u32_e32 v26, s48, v97
	v_ashrrev_i32_e32 v47, 31, v46
	v_ashrrev_i32_e32 v49, 31, v48
	;; [unrolled: 1-line block ×4, first 2 shown]
	v_add_u32_e32 v28, s49, v97
	v_add_u32_e32 v30, s50, v97
	;; [unrolled: 1-line block ×4, first 2 shown]
	v_lshl_add_u64 v[46:47], v[46:47], 2, v[18:19]
	v_lshl_add_u64 v[48:49], v[48:49], 2, v[18:19]
	;; [unrolled: 1-line block ×4, first 2 shown]
	v_ashrrev_i32_e32 v29, 31, v28
	v_ashrrev_i32_e32 v31, 31, v30
	;; [unrolled: 1-line block ×4, first 2 shown]
	v_lshl_add_u64 v[28:29], v[28:29], 2, v[18:19]
	v_lshl_add_u64 v[30:31], v[30:31], 2, v[18:19]
	;; [unrolled: 1-line block ×4, first 2 shown]
	v_add_u32_e32 v36, s58, v97
	v_add_u32_e32 v38, s59, v97
	;; [unrolled: 1-line block ×3, first 2 shown]
	v_ashrrev_i32_e32 v37, 31, v36
	v_ashrrev_i32_e32 v39, 31, v38
	;; [unrolled: 1-line block ×3, first 2 shown]
	v_lshl_add_u64 v[36:37], v[36:37], 2, v[18:19]
	s_waitcnt vmcnt(17)
	ds_write_b32 v99, v22 offset:64
	s_waitcnt vmcnt(16)
	ds_write_b32 v99, v52 offset:328
	;; [unrolled: 2-line block ×8, first 2 shown]
	global_load_dword v22, v[46:47], off
	global_load_dword v45, v[48:49], off
	s_nop 0
	global_load_dword v46, v[50:51], off
	global_load_dword v47, v[26:27], off
	;; [unrolled: 1-line block ×4, first 2 shown]
	s_nop 0
	global_load_dword v50, v[32:33], off
	global_load_dword v51, v[34:35], off
	v_add_u32_e32 v26, s53, v97
	v_ashrrev_i32_e32 v27, 31, v26
	v_add_u32_e32 v28, s54, v97
	v_add_u32_e32 v30, s55, v97
	v_add_u32_e32 v32, s56, v97
	v_add_u32_e32 v34, s57, v97
	v_lshl_add_u64 v[26:27], v[26:27], 2, v[18:19]
	v_ashrrev_i32_e32 v29, 31, v28
	v_ashrrev_i32_e32 v31, 31, v30
	;; [unrolled: 1-line block ×4, first 2 shown]
	v_lshl_add_u64 v[28:29], v[28:29], 2, v[18:19]
	v_lshl_add_u64 v[30:31], v[30:31], 2, v[18:19]
	v_lshl_add_u64 v[32:33], v[32:33], 2, v[18:19]
	v_lshl_add_u64 v[34:35], v[34:35], 2, v[18:19]
	v_lshl_add_u64 v[38:39], v[38:39], 2, v[18:19]
	v_lshl_add_u64 v[40:41], v[40:41], 2, v[18:19]
	global_load_dword v52, v[26:27], off
	global_load_dword v53, v[28:29], off
	global_load_dword v54, v[30:31], off
	global_load_dword v55, v[32:33], off
	global_load_dword v56, v[34:35], off
	global_load_dword v57, v[36:37], off
	global_load_dword v68, v[38:39], off
	global_load_dword v69, v[40:41], off
	v_add_u32_e32 v26, s61, v97
	v_ashrrev_i32_e32 v27, 31, v26
	v_add_u32_e32 v28, s62, v97
	v_add_u32_e32 v30, s63, v97
	v_add_u32_e32 v32, s64, v97
	v_add_u32_e32 v34, s65, v97
	v_add_u32_e32 v36, s66, v97
	v_add_u32_e32 v38, s67, v97
	v_add_u32_e32 v40, s68, v97
	v_lshl_add_u64 v[26:27], v[26:27], 2, v[18:19]
	v_ashrrev_i32_e32 v29, 31, v28
	v_ashrrev_i32_e32 v31, 31, v30
	v_ashrrev_i32_e32 v33, 31, v32
	v_ashrrev_i32_e32 v35, 31, v34
	v_ashrrev_i32_e32 v37, 31, v36
	v_ashrrev_i32_e32 v39, 31, v38
	v_ashrrev_i32_e32 v41, 31, v40
	v_lshl_add_u64 v[28:29], v[28:29], 2, v[18:19]
	v_lshl_add_u64 v[30:31], v[30:31], 2, v[18:19]
	v_lshl_add_u64 v[32:33], v[32:33], 2, v[18:19]
	v_lshl_add_u64 v[34:35], v[34:35], 2, v[18:19]
	v_lshl_add_u64 v[36:37], v[36:37], 2, v[18:19]
	v_lshl_add_u64 v[38:39], v[38:39], 2, v[18:19]
	v_lshl_add_u64 v[40:41], v[40:41], 2, v[18:19]
	global_load_dword v70, v[26:27], off
	global_load_dword v71, v[28:29], off
	global_load_dword v72, v[30:31], off
	global_load_dword v73, v[32:33], off
	global_load_dword v74, v[34:35], off
	global_load_dword v75, v[36:37], off
	global_load_dword v76, v[38:39], off
	global_load_dword v77, v[40:41], off
	v_add_u32_e32 v26, s69, v97
	v_ashrrev_i32_e32 v27, 31, v26
	v_add_u32_e32 v28, s70, v97
	v_add_u32_e32 v30, s71, v97
	v_add_u32_e32 v32, s72, v97
	v_add_u32_e32 v34, s73, v97
	v_add_u32_e32 v36, s74, v97
	v_add_u32_e32 v38, s75, v97
	v_add_u32_e32 v40, s76, v97
	v_lshl_add_u64 v[26:27], v[26:27], 2, v[18:19]
	v_ashrrev_i32_e32 v29, 31, v28
	v_ashrrev_i32_e32 v31, 31, v30
	v_ashrrev_i32_e32 v33, 31, v32
	v_ashrrev_i32_e32 v35, 31, v34
	v_ashrrev_i32_e32 v37, 31, v36
	v_ashrrev_i32_e32 v39, 31, v38
	v_ashrrev_i32_e32 v41, 31, v40
	v_lshl_add_u64 v[28:29], v[28:29], 2, v[18:19]
	;; [unrolled: 32-line block ×3, first 2 shown]
	v_lshl_add_u64 v[30:31], v[30:31], 2, v[18:19]
	v_lshl_add_u64 v[32:33], v[32:33], 2, v[18:19]
	;; [unrolled: 1-line block ×6, first 2 shown]
	global_load_dword v86, v[26:27], off
	global_load_dword v87, v[28:29], off
	;; [unrolled: 1-line block ×8, first 2 shown]
	v_add_u32_e32 v26, s85, v97
	v_ashrrev_i32_e32 v27, 31, v26
	v_add_u32_e32 v28, s86, v97
	v_add_u32_e32 v30, s87, v97
	;; [unrolled: 1-line block ×5, first 2 shown]
	v_lshl_add_u64 v[26:27], v[26:27], 2, v[18:19]
	v_ashrrev_i32_e32 v29, 31, v28
	v_ashrrev_i32_e32 v31, 31, v30
	;; [unrolled: 1-line block ×5, first 2 shown]
	v_lshl_add_u64 v[28:29], v[28:29], 2, v[18:19]
	v_lshl_add_u64 v[30:31], v[30:31], 2, v[18:19]
	;; [unrolled: 1-line block ×5, first 2 shown]
	global_load_dword v102, v[26:27], off
	global_load_dword v103, v[28:29], off
	global_load_dword v104, v[30:31], off
	global_load_dword v105, v[32:33], off
	global_load_dword v106, v[34:35], off
	global_load_dword v107, v[36:37], off
	s_waitcnt vmcnt(55)
	ds_write_b32 v99, v59 offset:2176
	s_waitcnt vmcnt(54)
	ds_write_b32 v99, v60 offset:2440
	s_waitcnt vmcnt(53)
	ds_write_b32 v99, v61 offset:2704
	s_waitcnt vmcnt(52)
	ds_write_b32 v99, v62 offset:2968
	s_waitcnt vmcnt(51)
	ds_write_b32 v99, v63 offset:3232
	s_waitcnt vmcnt(50)
	ds_write_b32 v99, v64 offset:3496
	s_waitcnt vmcnt(49)
	ds_write_b32 v99, v65 offset:3760
	s_waitcnt vmcnt(48)
	ds_write_b32 v99, v66 offset:4024
	ds_read_b64 v[42:43], v100 offset:64
	ds_read_b64 v[38:39], v100 offset:96
	ds_read_b64 v[36:37], v100 offset:128
	ds_read_b64 v[34:35], v100 offset:160
	ds_read_b64 v[32:33], v100 offset:192
	ds_read_b64 v[30:31], v100 offset:224
	ds_read_b64 v[28:29], v100 offset:256
	ds_read_b64 v[26:27], v100 offset:288
	s_waitcnt vmcnt(47)
	ds_write_b32 v99, v67 offset:64
	s_waitcnt vmcnt(46)
	ds_write_b32 v99, v44 offset:328
	s_waitcnt vmcnt(45)
	ds_write_b32 v99, v22 offset:592
	s_waitcnt vmcnt(44)
	ds_write_b32 v99, v45 offset:856
	s_waitcnt vmcnt(43)
	ds_write_b32 v99, v46 offset:1120
	s_waitcnt vmcnt(42)
	ds_write_b32 v99, v47 offset:1384
	s_waitcnt vmcnt(41)
	ds_write_b32 v99, v48 offset:1648
	s_waitcnt vmcnt(40)
	ds_write_b32 v99, v49 offset:1912
	s_waitcnt vmcnt(39)
	ds_write_b32 v99, v50 offset:2176
	s_waitcnt vmcnt(38)
	ds_write_b32 v99, v51 offset:2440
	s_waitcnt vmcnt(37)
	ds_write_b32 v99, v52 offset:2704
	s_waitcnt vmcnt(36)
	ds_write_b32 v99, v53 offset:2968
	s_waitcnt vmcnt(35)
	ds_write_b32 v99, v54 offset:3232
	s_waitcnt vmcnt(34)
	ds_write_b32 v99, v55 offset:3496
	s_waitcnt vmcnt(33)
	ds_write_b32 v99, v56 offset:3760
	s_waitcnt vmcnt(32)
	ds_write_b32 v99, v57 offset:4024
	ds_read_b64 v[58:59], v100 offset:64
	ds_read_b64 v[56:57], v100 offset:96
	ds_read_b64 v[52:53], v100 offset:128
	ds_read_b64 v[50:51], v100 offset:160
	ds_read_b64 v[48:49], v100 offset:192
	ds_read_b64 v[46:47], v100 offset:224
	ds_read_b64 v[44:45], v100 offset:256
	ds_read_b64 v[40:41], v100 offset:288
	s_waitcnt vmcnt(31)
	ds_write_b32 v99, v68 offset:64
	s_waitcnt vmcnt(30)
	ds_write_b32 v99, v69 offset:328
	s_waitcnt vmcnt(29)
	ds_write_b32 v99, v70 offset:592
	s_waitcnt vmcnt(28)
	ds_write_b32 v99, v71 offset:856
	s_waitcnt vmcnt(27)
	ds_write_b32 v99, v72 offset:1120
	s_waitcnt vmcnt(26)
	ds_write_b32 v99, v73 offset:1384
	s_waitcnt vmcnt(25)
	ds_write_b32 v99, v74 offset:1648
	s_waitcnt vmcnt(24)
	ds_write_b32 v99, v75 offset:1912
	;; [unrolled: 40-line block ×3, first 2 shown]
	s_waitcnt vmcnt(7)
	ds_write_b32 v99, v92 offset:2176
	s_waitcnt vmcnt(6)
	ds_write_b32 v99, v93 offset:2440
	;; [unrolled: 2-line block ×8, first 2 shown]
	ds_read_b64 v[88:89], v100 offset:64
	ds_read_b64 v[86:87], v100 offset:96
	;; [unrolled: 1-line block ×8, first 2 shown]
	s_andn2_b64 vcc, exec, s[2:3]
	v_mov_b32_e32 v90, 0
	v_mov_b32_e32 v91, 0
	s_cbranch_vccnz .LBB115_28
; %bb.25:                               ;   in Loop: Header=BB115_24 Depth=1
	ds_read_b32 v22, v98
	s_waitcnt lgkmcnt(0)
	v_cmp_gt_i32_e32 vcc, 0, v22
	s_cbranch_vccnz .LBB115_27
; %bb.26:                               ;   in Loop: Header=BB115_24 Depth=1
	v_mul_lo_u32 v22, v22, s21
	v_add_u32_e32 v90, v101, v22
	v_ashrrev_i32_e32 v91, 31, v90
	v_lshl_add_u64 v[90:91], v[90:91], 2, v[20:21]
	global_load_dwordx2 v[90:91], v[90:91], off
	s_branch .LBB115_28
.LBB115_27:                             ;   in Loop: Header=BB115_24 Depth=1
	v_mov_b32_e32 v90, 0
	v_mov_b32_e32 v91, 0
.LBB115_28:                             ;   in Loop: Header=BB115_24 Depth=1
	s_waitcnt vmcnt(0)
	v_cvt_pk_f16_f32 v22, v90, v91
	v_mov_b32_e32 v90, 0
	s_andn2_b64 vcc, exec, s[0:1]
	v_mov_b32_e32 v92, 0
	v_mov_b32_e32 v93, 0
	ds_write_b32 v99, v22 offset:64
	s_cbranch_vccnz .LBB115_32
; %bb.29:                               ;   in Loop: Header=BB115_24 Depth=1
	ds_read_b32 v22, v98 offset:4
	s_waitcnt lgkmcnt(0)
	v_cmp_gt_i32_e32 vcc, 0, v22
	s_cbranch_vccnz .LBB115_31
; %bb.30:                               ;   in Loop: Header=BB115_24 Depth=1
	v_mul_lo_u32 v22, v22, s21
	v_add_u32_e32 v22, s16, v22
	v_add_u32_e32 v92, v22, v101
	v_ashrrev_i32_e32 v93, 31, v92
	v_lshl_add_u64 v[92:93], v[92:93], 2, v[20:21]
	global_load_dwordx2 v[92:93], v[92:93], off
	s_branch .LBB115_32
.LBB115_31:                             ;   in Loop: Header=BB115_24 Depth=1
	v_mov_b32_e32 v92, 0
	v_mov_b32_e32 v93, 0
.LBB115_32:                             ;   in Loop: Header=BB115_24 Depth=1
	s_waitcnt vmcnt(0)
	v_cvt_pk_f16_f32 v22, v92, v93
	s_andn2_b64 vcc, exec, s[6:7]
	v_mov_b32_e32 v91, 0
	ds_write_b32 v99, v22 offset:328
	s_cbranch_vccnz .LBB115_23
; %bb.33:                               ;   in Loop: Header=BB115_24 Depth=1
	ds_read_b32 v22, v98 offset:8
	s_waitcnt lgkmcnt(0)
	v_cmp_gt_i32_e32 vcc, 0, v22
	s_cbranch_vccz .LBB115_22
; %bb.34:                               ;   in Loop: Header=BB115_24 Depth=1
	v_mov_b32_e32 v90, 0
	v_mov_b32_e32 v91, 0
	s_branch .LBB115_23
.LBB115_35:
	s_or_b64 exec, exec, s[14:15]
.LBB115_36:
	s_or_b64 exec, exec, s[18:19]
	v_mov_b32_e32 v18, 0x100
	v_lshl_add_u32 v18, v95, 2, v18
	v_mul_u32_u24_e32 v19, 0x608, v96
	v_and_b32_e32 v20, 0x3f0, v16
	v_add3_u32 v19, v18, v19, v20
	v_cmp_gt_u32_e32 vcc, 3, v17
	s_waitcnt lgkmcnt(0)
	s_barrier
	ds_write2_b32 v19, v8, v9 offset0:16 offset1:17
	ds_write2_b32 v19, v10, v11 offset0:18 offset1:19
	;; [unrolled: 1-line block ×8, first 2 shown]
	s_waitcnt lgkmcnt(0)
	s_barrier
	s_and_saveexec_b64 s[0:1], vcc
	s_cbranch_execz .LBB115_39
; %bb.37:
	s_movk_i32 s0, 0xff04
	v_mad_i32_i24 v0, v17, s0, v18
	ds_read_b32 v0, v0
	s_waitcnt lgkmcnt(0)
	v_cmp_lt_i32_e32 vcc, -1, v0
	s_and_b64 s[0:1], vcc, s[8:9]
	s_and_b64 exec, exec, s[0:1]
	s_cbranch_execz .LBB115_39
; %bb.38:
	v_lshlrev_b32_e32 v4, 2, v16
	s_movk_i32 s2, 0x100
	v_mul_u32_u24_e32 v5, 0x608, v17
	v_add3_u32 v8, s2, v4, v5
	ds_read2_b32 v[4:5], v8 offset0:16 offset1:80
	ds_read2_b32 v[6:7], v8 offset0:144 offset1:208
	v_add_u32_e32 v8, 64, v8
	ds_read2st64_b32 v[8:9], v8 offset0:4 offset1:5
	s_mul_hi_i32 s1, s26, s4
	s_mul_i32 s0, s26, s4
	s_waitcnt lgkmcnt(2)
	v_add_f32_e32 v4, 0, v4
	s_lshl_b64 s[0:1], s[0:1], 2
	v_add_f32_e32 v4, v4, v5
	v_mul_hi_i32 v3, v94, s17
	v_mul_lo_u32 v2, v94, s17
	s_add_u32 s0, s10, s0
	s_waitcnt lgkmcnt(1)
	v_add_f32_e32 v4, v4, v6
	v_add_u32_e32 v1, s5, v16
	s_addc_u32 s1, s11, s1
	v_lshlrev_b64 v[2:3], 2, v[2:3]
	v_add_f32_e32 v4, v4, v7
	v_mul_lo_u32 v0, v0, s22
	v_mul_lo_u32 v5, v17, s17
	v_lshl_add_u64 v[2:3], s[0:1], 0, v[2:3]
	s_waitcnt lgkmcnt(0)
	v_add_f32_e32 v4, v4, v8
	v_add3_u32 v0, v1, v5, v0
	v_mov_b32_e32 v1, 0
	v_add_f32_e32 v4, v4, v9
	v_lshl_add_u64 v[0:1], v[0:1], 2, v[2:3]
	global_store_dword v[0:1], v4, off
.LBB115_39:
	s_endpgm
	.section	.rodata,"a",@progbits
	.p2align	6, 0x0
	.amdhsa_kernel _ZL9mul_mat_fI7__half2Li64ELi3ELi6ELb1EEvPKT_PKfPKiPfiiiiiiiiiiiiiiii
		.amdhsa_group_segment_fixed_size 256
		.amdhsa_private_segment_fixed_size 0
		.amdhsa_kernarg_size 352
		.amdhsa_user_sgpr_count 2
		.amdhsa_user_sgpr_dispatch_ptr 0
		.amdhsa_user_sgpr_queue_ptr 0
		.amdhsa_user_sgpr_kernarg_segment_ptr 1
		.amdhsa_user_sgpr_dispatch_id 0
		.amdhsa_user_sgpr_kernarg_preload_length 0
		.amdhsa_user_sgpr_kernarg_preload_offset 0
		.amdhsa_user_sgpr_private_segment_size 0
		.amdhsa_uses_dynamic_stack 0
		.amdhsa_enable_private_segment 0
		.amdhsa_system_sgpr_workgroup_id_x 1
		.amdhsa_system_sgpr_workgroup_id_y 1
		.amdhsa_system_sgpr_workgroup_id_z 1
		.amdhsa_system_sgpr_workgroup_info 0
		.amdhsa_system_vgpr_workitem_id 2
		.amdhsa_next_free_vgpr 108
		.amdhsa_next_free_sgpr 91
		.amdhsa_accum_offset 108
		.amdhsa_reserve_vcc 1
		.amdhsa_float_round_mode_32 0
		.amdhsa_float_round_mode_16_64 0
		.amdhsa_float_denorm_mode_32 3
		.amdhsa_float_denorm_mode_16_64 3
		.amdhsa_dx10_clamp 1
		.amdhsa_ieee_mode 1
		.amdhsa_fp16_overflow 0
		.amdhsa_tg_split 0
		.amdhsa_exception_fp_ieee_invalid_op 0
		.amdhsa_exception_fp_denorm_src 0
		.amdhsa_exception_fp_ieee_div_zero 0
		.amdhsa_exception_fp_ieee_overflow 0
		.amdhsa_exception_fp_ieee_underflow 0
		.amdhsa_exception_fp_ieee_inexact 0
		.amdhsa_exception_int_div_zero 0
	.end_amdhsa_kernel
	.section	.text._ZL9mul_mat_fI7__half2Li64ELi3ELi6ELb1EEvPKT_PKfPKiPfiiiiiiiiiiiiiiii,"axG",@progbits,_ZL9mul_mat_fI7__half2Li64ELi3ELi6ELb1EEvPKT_PKfPKiPfiiiiiiiiiiiiiiii,comdat
.Lfunc_end115:
	.size	_ZL9mul_mat_fI7__half2Li64ELi3ELi6ELb1EEvPKT_PKfPKiPfiiiiiiiiiiiiiiii, .Lfunc_end115-_ZL9mul_mat_fI7__half2Li64ELi3ELi6ELb1EEvPKT_PKfPKiPfiiiiiiiiiiiiiiii
                                        ; -- End function
	.set _ZL9mul_mat_fI7__half2Li64ELi3ELi6ELb1EEvPKT_PKfPKiPfiiiiiiiiiiiiiiii.num_vgpr, 108
	.set _ZL9mul_mat_fI7__half2Li64ELi3ELi6ELb1EEvPKT_PKfPKiPfiiiiiiiiiiiiiiii.num_agpr, 0
	.set _ZL9mul_mat_fI7__half2Li64ELi3ELi6ELb1EEvPKT_PKfPKiPfiiiiiiiiiiiiiiii.numbered_sgpr, 91
	.set _ZL9mul_mat_fI7__half2Li64ELi3ELi6ELb1EEvPKT_PKfPKiPfiiiiiiiiiiiiiiii.num_named_barrier, 0
	.set _ZL9mul_mat_fI7__half2Li64ELi3ELi6ELb1EEvPKT_PKfPKiPfiiiiiiiiiiiiiiii.private_seg_size, 0
	.set _ZL9mul_mat_fI7__half2Li64ELi3ELi6ELb1EEvPKT_PKfPKiPfiiiiiiiiiiiiiiii.uses_vcc, 1
	.set _ZL9mul_mat_fI7__half2Li64ELi3ELi6ELb1EEvPKT_PKfPKiPfiiiiiiiiiiiiiiii.uses_flat_scratch, 0
	.set _ZL9mul_mat_fI7__half2Li64ELi3ELi6ELb1EEvPKT_PKfPKiPfiiiiiiiiiiiiiiii.has_dyn_sized_stack, 0
	.set _ZL9mul_mat_fI7__half2Li64ELi3ELi6ELb1EEvPKT_PKfPKiPfiiiiiiiiiiiiiiii.has_recursion, 0
	.set _ZL9mul_mat_fI7__half2Li64ELi3ELi6ELb1EEvPKT_PKfPKiPfiiiiiiiiiiiiiiii.has_indirect_call, 0
	.section	.AMDGPU.csdata,"",@progbits
; Kernel info:
; codeLenInByte = 5480
; TotalNumSgprs: 97
; NumVgprs: 108
; NumAgprs: 0
; TotalNumVgprs: 108
; ScratchSize: 0
; MemoryBound: 0
; FloatMode: 240
; IeeeMode: 1
; LDSByteSize: 256 bytes/workgroup (compile time only)
; SGPRBlocks: 12
; VGPRBlocks: 13
; NumSGPRsForWavesPerEU: 97
; NumVGPRsForWavesPerEU: 108
; AccumOffset: 108
; Occupancy: 4
; WaveLimiterHint : 0
; COMPUTE_PGM_RSRC2:SCRATCH_EN: 0
; COMPUTE_PGM_RSRC2:USER_SGPR: 2
; COMPUTE_PGM_RSRC2:TRAP_HANDLER: 0
; COMPUTE_PGM_RSRC2:TGID_X_EN: 1
; COMPUTE_PGM_RSRC2:TGID_Y_EN: 1
; COMPUTE_PGM_RSRC2:TGID_Z_EN: 1
; COMPUTE_PGM_RSRC2:TIDIG_COMP_CNT: 2
; COMPUTE_PGM_RSRC3_GFX90A:ACCUM_OFFSET: 26
; COMPUTE_PGM_RSRC3_GFX90A:TG_SPLIT: 0
	.section	.text._ZL9mul_mat_fI7__half2Li64ELi3ELi6ELb0EEvPKT_PKfPKiPfiiiiiiiiiiiiiiii,"axG",@progbits,_ZL9mul_mat_fI7__half2Li64ELi3ELi6ELb0EEvPKT_PKfPKiPfiiiiiiiiiiiiiiii,comdat
	.globl	_ZL9mul_mat_fI7__half2Li64ELi3ELi6ELb0EEvPKT_PKfPKiPfiiiiiiiiiiiiiiii ; -- Begin function _ZL9mul_mat_fI7__half2Li64ELi3ELi6ELb0EEvPKT_PKfPKiPfiiiiiiiiiiiiiiii
	.p2align	8
	.type	_ZL9mul_mat_fI7__half2Li64ELi3ELi6ELb0EEvPKT_PKfPKiPfiiiiiiiiiiiiiiii,@function
_ZL9mul_mat_fI7__half2Li64ELi3ELi6ELb0EEvPKT_PKfPKiPfiiiiiiiiiiiiiiii: ; @_ZL9mul_mat_fI7__half2Li64ELi3ELi6ELb0EEvPKT_PKfPKiPfiiiiiiiiiiiiiiii
; %bb.0:
	s_load_dword s5, s[0:1], 0x20
	s_load_dwordx4 s[16:19], s[0:1], 0x2c
	v_bfe_u32 v84, v0, 10, 10
	v_lshlrev_b32_e32 v86, 6, v84
	v_and_b32_e32 v85, 0x3ff, v0
	v_add_u32_e32 v88, v86, v85
	s_waitcnt lgkmcnt(0)
	s_ashr_i32 s19, s4, 31
	v_cmp_le_i32_e32 vcc, s5, v88
	v_and_b32_e32 v87, 15, v85
	s_and_saveexec_b64 s[6:7], vcc
	s_xor_b64 s[6:7], exec, s[6:7]
; %bb.1:
	v_and_b32_e32 v87, 15, v85
                                        ; implicit-def: $vgpr88
; %bb.2:
	s_or_saveexec_b64 s[24:25], s[6:7]
	s_load_dwordx8 s[8:15], s[0:1], 0x40
	s_load_dwordx2 s[6:7], s[0:1], 0x18
	v_mov_b32_e32 v11, 0
	s_lshl_b32 s2, s2, 6
	v_lshlrev_b32_e32 v16, 2, v85
	v_mov_b32_e32 v10, v11
	v_mov_b32_e32 v9, v11
	;; [unrolled: 1-line block ×15, first 2 shown]
	s_xor_b64 exec, exec, s[24:25]
	s_cbranch_execz .LBB116_6
; %bb.3:
	s_waitcnt lgkmcnt(0)
	s_abs_i32 s26, s8
	v_cvt_f32_u32_e32 v0, s26
	s_abs_i32 s27, s12
	v_cvt_f32_u32_e32 v1, s27
	s_sub_i32 s20, 0, s26
	v_rcp_iflag_f32_e32 v0, v0
	s_abs_i32 s28, s3
	v_rcp_iflag_f32_e32 v1, v1
	s_sub_i32 s21, 0, s27
	v_mul_f32_e32 v0, 0x4f7ffffe, v0
	v_cvt_u32_f32_e32 v0, v0
	v_mul_f32_e32 v1, 0x4f7ffffe, v1
	v_cvt_u32_f32_e32 v1, v1
	s_abs_i32 s29, s4
	v_mul_lo_u32 v2, s20, v0
	v_mul_hi_u32 v2, v0, v2
	v_add_u32_e32 v0, v0, v2
	v_mul_hi_u32 v0, s28, v0
	v_mul_lo_u32 v3, s21, v1
	v_mul_lo_u32 v2, v0, s26
	v_mul_hi_u32 v3, v1, v3
	v_sub_u32_e32 v2, s28, v2
	v_add_u32_e32 v1, v1, v3
	v_add_u32_e32 v3, 1, v0
	v_subrev_u32_e32 v4, s26, v2
	v_cmp_le_u32_e32 vcc, s26, v2
	s_load_dwordx4 s[20:23], s[0:1], 0x0
	s_ashr_i32 s0, s3, 31
	v_cndmask_b32_e32 v0, v0, v3, vcc
	v_cndmask_b32_e32 v2, v2, v4, vcc
	s_ashr_i32 s1, s8, 31
	v_add_u32_e32 v3, 1, v0
	v_cmp_le_u32_e32 vcc, s26, v2
	s_xor_b32 s0, s0, s1
	v_mul_hi_u32 v1, s29, v1
	v_cndmask_b32_e32 v0, v0, v3, vcc
	v_xor_b32_e32 v0, s0, v0
	v_subrev_u32_e32 v2, s0, v0
	v_mul_lo_u32 v0, v1, s27
	v_sub_u32_e32 v0, s29, v0
	v_add_u32_e32 v3, 1, v1
	v_subrev_u32_e32 v4, s27, v0
	v_cmp_le_u32_e32 vcc, s27, v0
	s_ashr_i32 s8, s12, 31
	s_xor_b32 s0, s19, s8
	v_cndmask_b32_e32 v1, v1, v3, vcc
	v_cndmask_b32_e32 v0, v0, v4, vcc
	v_add_u32_e32 v3, 1, v1
	v_cmp_le_u32_e32 vcc, s27, v0
	v_mul_lo_u32 v2, v2, s9
	s_mul_hi_i32 s9, s14, s4
	v_cndmask_b32_e32 v0, v1, v3, vcc
	v_xor_b32_e32 v0, s0, v0
	s_mul_i32 s8, s14, s4
	v_subrev_u32_e32 v0, s0, v0
	s_lshl_b64 s[26:27], s[8:9], 2
	v_mul_hi_i32 v1, v0, s13
	v_mul_lo_u32 v0, v0, s13
	s_mul_i32 s0, s16, s2
	s_waitcnt lgkmcnt(0)
	s_add_u32 s8, s22, s26
	v_ashrrev_i32_e32 v3, 31, v2
	v_lshlrev_b64 v[0:1], 2, v[0:1]
	s_mul_i32 s12, s10, s3
	s_addc_u32 s9, s23, s27
	s_ashr_i32 s1, s0, 31
	v_lshl_add_u64 v[4:5], s[20:21], 0, v[0:1]
	v_lshlrev_b64 v[2:3], 2, v[2:3]
	s_lshl_b64 s[74:75], s[0:1], 2
	s_ashr_i32 s13, s12, 31
	v_lshl_add_u64 v[4:5], v[4:5], 0, v[2:3]
	s_lshl_b64 s[28:29], s[12:13], 2
	v_lshl_add_u64 v[2:3], v[2:3], 0, s[74:75]
	s_add_u32 s0, s8, s28
	s_movk_i32 s8, 0x1080
	v_mov_b32_e32 v21, 0
	v_lshlrev_b32_e32 v20, 8, v84
	v_lshl_add_u64 v[0:1], v[2:3], 0, v[0:1]
	v_lshl_add_u64 v[18:19], v[4:5], 0, s[74:75]
	s_addc_u32 s1, s9, s29
	v_mad_u32_u24 v4, v84, s8, 0
	s_ashr_i32 s9, s16, 31
	s_mov_b32 s8, s16
	s_ashr_i32 s13, s17, 31
	s_mov_b32 s12, s17
	v_lshl_add_u64 v[0:1], v[0:1], 0, v[20:21]
	v_mov_b32_e32 v17, v21
	s_add_i32 s10, s16, s16
	s_add_i32 s14, s17, s17
	s_lshl_b32 s30, s16, 2
	s_lshl_b32 s35, s16, 3
	;; [unrolled: 1-line block ×4, first 2 shown]
	s_lshl_b64 s[8:9], s[8:9], 2
	s_lshl_b64 s[12:13], s[12:13], 3
	v_lshl_add_u64 v[0:1], v[0:1], 0, v[16:17]
	v_lshlrev_b32_e32 v20, 9, v84
	v_lshrrev_b32_e32 v6, 1, v85
	s_add_u32 s22, s22, s28
	v_lshl_add_u64 v[22:23], s[20:21], 0, v[0:1]
	v_lshl_add_u64 v[0:1], s[26:27], 0, v[20:21]
	v_lshlrev_b32_e32 v20, 3, v85
	v_mul_u32_u24_e32 v5, 0x108, v87
	v_and_b32_e32 v6, 0x1f8, v6
	s_addc_u32 s23, s23, s29
	v_lshl_add_u64 v[0:1], v[0:1], 0, v[20:21]
	v_add_u32_e32 v89, v4, v16
	v_add3_u32 v90, v4, v5, v6
	s_mul_i32 s19, s16, 3
	s_mul_i32 s31, s16, 5
	;; [unrolled: 1-line block ×47, first 2 shown]
	v_lshl_add_u64 v[24:25], s[22:23], 0, v[0:1]
	s_mul_i32 s77, s16, 54
	s_mul_i32 s78, s16, 55
	v_mov_b32_e32 v12, 0
	v_mov_b32_e32 v13, v21
	;; [unrolled: 1-line block ×16, first 2 shown]
	s_mul_i32 s79, s16, 56
	s_mul_i32 s80, s16, 57
	;; [unrolled: 1-line block ×8, first 2 shown]
	s_mov_b64 s[16:17], 0
	s_mov_b64 s[20:21], 0x600
	;; [unrolled: 1-line block ×3, first 2 shown]
.LBB116_4:                              ; =>This Inner Loop Header: Depth=1
	v_add_u32_e32 v82, s10, v88
	v_add_u32_e32 v74, s19, v88
	;; [unrolled: 1-line block ×8, first 2 shown]
	v_lshl_add_u64 v[80:81], v[22:23], 0, s[8:9]
	v_add_u32_e32 v78, s30, v88
	v_add_u32_e32 v68, s33, v88
	;; [unrolled: 1-line block ×7, first 2 shown]
	v_ashrrev_i32_e32 v83, 31, v82
	v_ashrrev_i32_e32 v75, 31, v74
	;; [unrolled: 1-line block ×8, first 2 shown]
	v_add_u32_e32 v28, s44, v88
	v_add_u32_e32 v44, s45, v88
	global_load_dword v91, v[80:81], off
	v_lshl_add_u64 v[80:81], v[82:83], 2, v[18:19]
	v_ashrrev_i32_e32 v79, 31, v78
	v_lshl_add_u64 v[74:75], v[74:75], 2, v[18:19]
	v_ashrrev_i32_e32 v69, 31, v68
	;; [unrolled: 2-line block ×5, first 2 shown]
	v_lshl_add_u64 v[32:33], v[32:33], 2, v[18:19]
	v_lshl_add_u64 v[30:31], v[30:31], 2, v[18:19]
	;; [unrolled: 1-line block ×3, first 2 shown]
	v_ashrrev_i32_e32 v27, 31, v26
	v_ashrrev_i32_e32 v39, 31, v38
	v_add_u32_e32 v36, s46, v88
	v_add_u32_e32 v52, s47, v88
	global_load_dword v82, v[80:81], off
	v_lshl_add_u64 v[92:93], v[78:79], 2, v[18:19]
	global_load_dword v78, v[74:75], off
	global_load_dword v79, v[92:93], off
	v_lshl_add_u64 v[68:69], v[68:69], 2, v[18:19]
	global_load_dword v62, v[62:63], off
	s_nop 0
	global_load_dword v63, v[68:69], off
	v_lshl_add_u64 v[56:57], v[56:57], 2, v[18:19]
	global_load_dword v48, v[48:49], off
	s_nop 0
	;; [unrolled: 4-line block ×4, first 2 shown]
	global_load_dword v32, v[42:43], off
	s_nop 0
	global_load_dword v30, v[30:31], off
	s_nop 0
	global_load_dword v31, v[34:35], off
	v_lshl_add_u64 v[26:27], v[26:27], 2, v[18:19]
	v_lshl_add_u64 v[34:35], v[38:39], 2, v[18:19]
	v_ashrrev_i32_e32 v29, 31, v28
	v_ashrrev_i32_e32 v45, 31, v44
	v_add_u32_e32 v46, s48, v88
	v_add_u32_e32 v58, s49, v88
	global_load_dword v27, v[26:27], off
	s_nop 0
	global_load_dword v26, v[34:35], off
	v_lshl_add_u64 v[28:29], v[28:29], 2, v[18:19]
	v_lshl_add_u64 v[34:35], v[44:45], 2, v[18:19]
	v_ashrrev_i32_e32 v37, 31, v36
	v_ashrrev_i32_e32 v53, 31, v52
	v_add_u32_e32 v54, s50, v88
	v_add_u32_e32 v64, s51, v88
	;; [unrolled: 9-line block ×6, first 2 shown]
	global_load_dword v39, v[42:43], off
	global_load_dword v41, v[44:45], off
	v_lshl_add_u64 v[42:43], v[66:67], 2, v[18:19]
	v_lshl_add_u64 v[44:45], v[76:77], 2, v[18:19]
	v_ashrrev_i32_e32 v73, 31, v72
	v_ashrrev_i32_e32 v81, 31, v80
	v_add_u32_e32 v56, s60, v88
	v_add_u32_e32 v50, s61, v88
	global_load_dword v42, v[42:43], off
	s_nop 0
	global_load_dword v43, v[44:45], off
	v_lshl_add_u64 v[44:45], v[72:73], 2, v[18:19]
	v_lshl_add_u64 v[46:47], v[80:81], 2, v[18:19]
	v_ashrrev_i32_e32 v75, 31, v74
	v_ashrrev_i32_e32 v69, 31, v68
	v_add_u32_e32 v92, s62, v88
	v_add_u32_e32 v94, s63, v88
	global_load_dword v44, v[44:45], off
	s_nop 0
	;; [unrolled: 9-line block ×3, first 2 shown]
	global_load_dword v46, v[52:53], off
	v_lshl_add_u64 v[52:53], v[56:57], 2, v[18:19]
	v_lshl_add_u64 v[54:55], v[50:51], 2, v[18:19]
	v_ashrrev_i32_e32 v93, 31, v92
	v_ashrrev_i32_e32 v95, 31, v94
	v_add_u32_e32 v100, s66, v88
	v_add_u32_e32 v58, s67, v88
	;; [unrolled: 1-line block ×3, first 2 shown]
	global_load_dword v50, v[52:53], off
	global_load_dword v51, v[54:55], off
	v_lshl_add_u64 v[52:53], v[92:93], 2, v[18:19]
	v_lshl_add_u64 v[54:55], v[94:95], 2, v[18:19]
	v_ashrrev_i32_e32 v97, 31, v96
	v_ashrrev_i32_e32 v99, 31, v98
	v_add_u32_e32 v60, s69, v88
	v_add_u32_e32 v66, s70, v88
	;; [unrolled: 1-line block ×3, first 2 shown]
	global_load_dword v52, v[52:53], off
	s_nop 0
	global_load_dword v53, v[54:55], off
	v_lshl_add_u64 v[54:55], v[96:97], 2, v[18:19]
	v_lshl_add_u64 v[56:57], v[98:99], 2, v[18:19]
	v_ashrrev_i32_e32 v101, 31, v100
	v_ashrrev_i32_e32 v59, 31, v58
	;; [unrolled: 1-line block ×3, first 2 shown]
	v_add_u32_e32 v68, s72, v88
	v_add_u32_e32 v72, s28, v88
	global_load_dword v54, v[54:55], off
	s_nop 0
	global_load_dword v55, v[56:57], off
	v_lshl_add_u64 v[56:57], v[100:101], 2, v[18:19]
	v_lshl_add_u64 v[58:59], v[58:59], 2, v[18:19]
	v_ashrrev_i32_e32 v61, 31, v60
	v_lshl_add_u64 v[64:65], v[64:65], 2, v[18:19]
	v_ashrrev_i32_e32 v67, 31, v66
	v_ashrrev_i32_e32 v71, 31, v70
	v_add_u32_e32 v74, s29, v88
	global_load_dword v56, v[56:57], off
	s_nop 0
	global_load_dword v57, v[58:59], off
	v_add_u32_e32 v58, s74, v88
	v_lshl_add_u64 v[60:61], v[60:61], 2, v[18:19]
	global_load_dword v80, v[64:65], off
	global_load_dword v81, v[60:61], off
	v_lshl_add_u64 v[64:65], v[66:67], 2, v[18:19]
	v_lshl_add_u64 v[66:67], v[70:71], 2, v[18:19]
	v_ashrrev_i32_e32 v69, 31, v68
	v_ashrrev_i32_e32 v73, 31, v72
	v_add_u32_e32 v76, s73, v88
	v_add_u32_e32 v60, s75, v88
	global_load_dword v83, v[64:65], off
	global_load_dword v92, v[66:67], off
	v_lshl_add_u64 v[66:67], v[68:69], 2, v[18:19]
	v_lshl_add_u64 v[68:69], v[72:73], 2, v[18:19]
	v_ashrrev_i32_e32 v75, 31, v74
	v_ashrrev_i32_e32 v59, 31, v58
	v_add_u32_e32 v64, s76, v88
	global_load_dword v72, v[66:67], off
	global_load_dword v73, v[68:69], off
	v_add_u32_e32 v66, s26, v88
	v_ashrrev_i32_e32 v77, 31, v76
	v_lshl_add_u64 v[68:69], v[74:75], 2, v[18:19]
	v_ashrrev_i32_e32 v61, 31, v60
	v_lshl_add_u64 v[58:59], v[58:59], 2, v[18:19]
	v_lshl_add_u64 v[70:71], v[76:77], 2, v[18:19]
	global_load_dword v74, v[68:69], off
	global_load_dword v75, v[70:71], off
	v_add_u32_e32 v68, s27, v88
	v_lshl_add_u64 v[60:61], v[60:61], 2, v[18:19]
	global_load_dword v76, v[58:59], off
	global_load_dword v77, v[60:61], off
	v_add_u32_e32 v58, s77, v88
	v_ashrrev_i32_e32 v65, 31, v64
	v_ashrrev_i32_e32 v67, 31, v66
	v_lshl_add_u64 v[60:61], v[64:65], 2, v[18:19]
	v_lshl_add_u64 v[64:65], v[66:67], 2, v[18:19]
	v_ashrrev_i32_e32 v69, 31, v68
	v_ashrrev_i32_e32 v59, 31, v58
	global_load_dword v93, v[60:61], off
	global_load_dword v94, v[64:65], off
	v_lshl_add_u64 v[64:65], v[68:69], 2, v[18:19]
	v_lshl_add_u64 v[58:59], v[58:59], 2, v[18:19]
	v_add_u32_e32 v60, s78, v88
	global_load_dword v95, v[64:65], off
	global_load_dword v96, v[58:59], off
	v_add_u32_e32 v58, s79, v88
	v_ashrrev_i32_e32 v61, 31, v60
	v_ashrrev_i32_e32 v59, 31, v58
	v_lshl_add_u64 v[60:61], v[60:61], 2, v[18:19]
	v_lshl_add_u64 v[58:59], v[58:59], 2, v[18:19]
	global_load_dword v97, v[60:61], off
	global_load_dword v98, v[58:59], off
	v_add_u32_e32 v58, s80, v88
	v_ashrrev_i32_e32 v59, 31, v58
	v_lshl_add_u64 v[58:59], v[58:59], 2, v[18:19]
	global_load_dword v99, v[58:59], off
	v_add_u32_e32 v58, s81, v88
	v_ashrrev_i32_e32 v59, 31, v58
	v_lshl_add_u64 v[58:59], v[58:59], 2, v[18:19]
	;; [unrolled: 4-line block ×7, first 2 shown]
	global_load_dword v105, v[58:59], off
	s_nop 0
	global_load_dword v58, v[22:23], off
	s_waitcnt vmcnt(62)
	ds_write_b32 v89, v91 offset:264
	v_lshl_add_u64 v[22:23], v[22:23], 0, s[20:21]
	s_waitcnt vmcnt(0)
	ds_write_b32 v89, v58
	global_load_dwordx2 v[58:59], v[24:25], off
	s_waitcnt vmcnt(0)
	v_cvt_pk_f16_f32 v106, v58, v59
	v_lshl_add_u64 v[58:59], v[24:25], 0, s[12:13]
	global_load_dwordx2 v[58:59], v[58:59], off
	ds_write_b32 v89, v82 offset:528
	ds_write_b32 v89, v78 offset:792
	ds_write_b32 v89, v79 offset:1056
	ds_write_b32 v89, v62 offset:1320
	ds_write_b32 v89, v63 offset:1584
	ds_write_b32 v89, v48 offset:1848
	ds_write_b32 v89, v49 offset:2112
	ds_write_b32 v89, v40 offset:2376
	v_add_u32_e32 v48, s14, v88
	v_ashrrev_i32_e32 v49, 31, v48
	v_lshl_add_u64 v[48:49], v[48:49], 3, s[0:1]
	global_load_dwordx2 v[48:49], v[48:49], off
	ds_write_b32 v89, v17 offset:2640
	ds_write_b32 v89, v20 offset:2904
	;; [unrolled: 1-line block ×6, first 2 shown]
	v_add_u32_e32 v88, 0x180, v88
	v_cmp_le_i32_e32 vcc, s5, v88
	s_or_b64 s[16:17], vcc, s[16:17]
	v_lshl_add_u64 v[24:25], v[24:25], 0, s[22:23]
	s_waitcnt vmcnt(1)
	v_cvt_pk_f16_f32 v91, v58, v59
	s_waitcnt vmcnt(0)
	v_cvt_pk_f16_f32 v17, v48, v49
	ds_read_b64 v[30:31], v90
	ds_read_b64 v[48:49], v90 offset:32
	ds_read_b64 v[58:59], v90 offset:64
	ds_read_b64 v[60:61], v90 offset:96
	ds_read_b64 v[62:63], v90 offset:128
	ds_read_b64 v[64:65], v90 offset:160
	ds_read_b64 v[66:67], v90 offset:192
	ds_read_b64 v[68:69], v90 offset:224
	ds_write_b32 v89, v26
	ds_write_b32 v89, v28 offset:264
	ds_write_b32 v89, v29 offset:528
	ds_write_b32 v89, v33 offset:792
	ds_write_b32 v89, v34 offset:1056
	ds_write_b32 v89, v35 offset:1320
	ds_write_b32 v89, v36 offset:1584
	ds_write_b32 v89, v37 offset:1848
	ds_write_b32 v89, v38 offset:2112
	ds_write_b32 v89, v39 offset:2376
	ds_write_b32 v89, v41 offset:2640
	ds_write_b32 v89, v42 offset:2904
	ds_write_b32 v89, v43 offset:3168
	ds_write_b32 v89, v44 offset:3432
	ds_write_b32 v89, v45 offset:3696
	ds_write_b32 v89, v47 offset:3960
	ds_read_b64 v[26:27], v90
	ds_read_b64 v[28:29], v90 offset:32
	ds_read_b64 v[32:33], v90 offset:64
	ds_read_b64 v[34:35], v90 offset:96
	ds_read_b64 v[36:37], v90 offset:128
	ds_read_b64 v[38:39], v90 offset:160
	ds_read_b64 v[40:41], v90 offset:192
	ds_read_b64 v[42:43], v90 offset:224
	ds_write_b32 v89, v46
	ds_write_b32 v89, v50 offset:264
	ds_write_b32 v89, v51 offset:528
	ds_write_b32 v89, v52 offset:792
	ds_write_b32 v89, v53 offset:1056
	ds_write_b32 v89, v54 offset:1320
	ds_write_b32 v89, v55 offset:1584
	ds_write_b32 v89, v56 offset:1848
	ds_write_b32 v89, v57 offset:2112
	ds_write_b32 v89, v80 offset:2376
	ds_write_b32 v89, v81 offset:2640
	ds_write_b32 v89, v83 offset:2904
	ds_write_b32 v89, v92 offset:3168
	ds_write_b32 v89, v72 offset:3432
	ds_write_b32 v89, v73 offset:3696
	ds_write_b32 v89, v74 offset:3960
	;; [unrolled: 24-line block ×4, first 2 shown]
	ds_read_b64 v[98:99], v90
	s_waitcnt lgkmcnt(0)
	v_mfma_f32_16x16x16_f16 v[4:7], v[26:27], v[98:99], v[4:7]
	ds_read_b64 v[26:27], v90 offset:32
	v_mfma_f32_16x16x16_f16 v[8:11], v[30:31], v[98:99], v[8:11]
	v_mfma_f32_16x16x16_f16 v[0:3], v[44:45], v[98:99], v[0:3]
	;; [unrolled: 1-line block ×3, first 2 shown]
	s_waitcnt lgkmcnt(0)
	v_mfma_f32_16x16x16_f16 v[8:11], v[48:49], v[26:27], v[8:11]
	v_mfma_f32_16x16x16_f16 v[4:7], v[28:29], v[26:27], v[4:7]
	v_mfma_f32_16x16x16_f16 v[0:3], v[46:47], v[26:27], v[0:3]
	v_mfma_f32_16x16x16_f16 v[12:15], v[76:77], v[26:27], v[12:15]
	ds_read_b64 v[26:27], v90 offset:64
	s_waitcnt lgkmcnt(0)
	v_mfma_f32_16x16x16_f16 v[8:11], v[58:59], v[26:27], v[8:11]
	v_mfma_f32_16x16x16_f16 v[4:7], v[32:33], v[26:27], v[4:7]
	v_mfma_f32_16x16x16_f16 v[0:3], v[50:51], v[26:27], v[0:3]
	v_mfma_f32_16x16x16_f16 v[12:15], v[78:79], v[26:27], v[12:15]
	ds_read_b64 v[26:27], v90 offset:96
	;; [unrolled: 6-line block ×6, first 2 shown]
	s_waitcnt lgkmcnt(0)
	v_mfma_f32_16x16x16_f16 v[8:11], v[68:69], v[26:27], v[8:11]
	v_mfma_f32_16x16x16_f16 v[4:7], v[42:43], v[26:27], v[4:7]
	;; [unrolled: 1-line block ×4, first 2 shown]
	s_andn2_b64 exec, exec, s[16:17]
	s_cbranch_execnz .LBB116_4
; %bb.5:
	s_or_b64 exec, exec, s[16:17]
.LBB116_6:
	s_or_b64 exec, exec, s[24:25]
	v_lshl_add_u32 v17, v86, 2, 0
	v_mul_u32_u24_e32 v18, 0x608, v87
	v_and_b32_e32 v19, 0x3f0, v85
	v_add3_u32 v17, v17, v18, v19
	v_cmp_gt_u32_e32 vcc, 3, v84
	s_waitcnt lgkmcnt(0)
	s_barrier
	ds_write2_b32 v17, v8, v9 offset1:1
	ds_write2_b32 v17, v10, v11 offset0:2 offset1:3
	ds_write2_b32 v17, v4, v5 offset0:16 offset1:17
	;; [unrolled: 1-line block ×7, first 2 shown]
	s_waitcnt lgkmcnt(0)
	s_barrier
	s_and_saveexec_b64 s[0:1], vcc
	s_cbranch_execz .LBB116_8
; %bb.7:
	v_mul_u32_u24_e32 v0, 0x608, v84
	v_add3_u32 v4, 0, v16, v0
	ds_read2st64_b32 v[0:1], v4 offset1:1
	ds_read2st64_b32 v[2:3], v4 offset0:2 offset1:3
	ds_read2st64_b32 v[4:5], v4 offset0:4 offset1:5
	s_mul_hi_i32 s1, s15, s4
	s_mul_i32 s0, s15, s4
	s_waitcnt lgkmcnt(2)
	v_add_f32_e32 v0, 0, v0
	s_lshl_b64 s[0:1], s[0:1], 2
	v_add_f32_e32 v0, v0, v1
	s_mul_i32 s4, s11, s3
	s_add_u32 s3, s6, s0
	s_waitcnt lgkmcnt(1)
	v_add_f32_e32 v0, v0, v2
	s_addc_u32 s6, s7, s1
	s_ashr_i32 s5, s4, 31
	v_add_f32_e32 v0, v0, v3
	s_lshl_b64 s[0:1], s[4:5], 2
	s_waitcnt lgkmcnt(0)
	v_add_f32_e32 v0, v0, v4
	s_add_u32 s0, s3, s0
	v_add_f32_e32 v2, v0, v5
	v_mul_lo_u32 v0, v84, s18
	s_addc_u32 s1, s6, s1
	v_add3_u32 v0, s2, v85, v0
	v_mov_b32_e32 v1, 0
	v_lshl_add_u64 v[0:1], v[0:1], 2, s[0:1]
	global_store_dword v[0:1], v2, off
.LBB116_8:
	s_endpgm
	.section	.rodata,"a",@progbits
	.p2align	6, 0x0
	.amdhsa_kernel _ZL9mul_mat_fI7__half2Li64ELi3ELi6ELb0EEvPKT_PKfPKiPfiiiiiiiiiiiiiiii
		.amdhsa_group_segment_fixed_size 0
		.amdhsa_private_segment_fixed_size 0
		.amdhsa_kernarg_size 96
		.amdhsa_user_sgpr_count 2
		.amdhsa_user_sgpr_dispatch_ptr 0
		.amdhsa_user_sgpr_queue_ptr 0
		.amdhsa_user_sgpr_kernarg_segment_ptr 1
		.amdhsa_user_sgpr_dispatch_id 0
		.amdhsa_user_sgpr_kernarg_preload_length 0
		.amdhsa_user_sgpr_kernarg_preload_offset 0
		.amdhsa_user_sgpr_private_segment_size 0
		.amdhsa_uses_dynamic_stack 0
		.amdhsa_enable_private_segment 0
		.amdhsa_system_sgpr_workgroup_id_x 1
		.amdhsa_system_sgpr_workgroup_id_y 1
		.amdhsa_system_sgpr_workgroup_id_z 1
		.amdhsa_system_sgpr_workgroup_info 0
		.amdhsa_system_vgpr_workitem_id 1
		.amdhsa_next_free_vgpr 107
		.amdhsa_next_free_sgpr 87
		.amdhsa_accum_offset 108
		.amdhsa_reserve_vcc 1
		.amdhsa_float_round_mode_32 0
		.amdhsa_float_round_mode_16_64 0
		.amdhsa_float_denorm_mode_32 3
		.amdhsa_float_denorm_mode_16_64 3
		.amdhsa_dx10_clamp 1
		.amdhsa_ieee_mode 1
		.amdhsa_fp16_overflow 0
		.amdhsa_tg_split 0
		.amdhsa_exception_fp_ieee_invalid_op 0
		.amdhsa_exception_fp_denorm_src 0
		.amdhsa_exception_fp_ieee_div_zero 0
		.amdhsa_exception_fp_ieee_overflow 0
		.amdhsa_exception_fp_ieee_underflow 0
		.amdhsa_exception_fp_ieee_inexact 0
		.amdhsa_exception_int_div_zero 0
	.end_amdhsa_kernel
	.section	.text._ZL9mul_mat_fI7__half2Li64ELi3ELi6ELb0EEvPKT_PKfPKiPfiiiiiiiiiiiiiiii,"axG",@progbits,_ZL9mul_mat_fI7__half2Li64ELi3ELi6ELb0EEvPKT_PKfPKiPfiiiiiiiiiiiiiiii,comdat
.Lfunc_end116:
	.size	_ZL9mul_mat_fI7__half2Li64ELi3ELi6ELb0EEvPKT_PKfPKiPfiiiiiiiiiiiiiiii, .Lfunc_end116-_ZL9mul_mat_fI7__half2Li64ELi3ELi6ELb0EEvPKT_PKfPKiPfiiiiiiiiiiiiiiii
                                        ; -- End function
	.set _ZL9mul_mat_fI7__half2Li64ELi3ELi6ELb0EEvPKT_PKfPKiPfiiiiiiiiiiiiiiii.num_vgpr, 107
	.set _ZL9mul_mat_fI7__half2Li64ELi3ELi6ELb0EEvPKT_PKfPKiPfiiiiiiiiiiiiiiii.num_agpr, 0
	.set _ZL9mul_mat_fI7__half2Li64ELi3ELi6ELb0EEvPKT_PKfPKiPfiiiiiiiiiiiiiiii.numbered_sgpr, 87
	.set _ZL9mul_mat_fI7__half2Li64ELi3ELi6ELb0EEvPKT_PKfPKiPfiiiiiiiiiiiiiiii.num_named_barrier, 0
	.set _ZL9mul_mat_fI7__half2Li64ELi3ELi6ELb0EEvPKT_PKfPKiPfiiiiiiiiiiiiiiii.private_seg_size, 0
	.set _ZL9mul_mat_fI7__half2Li64ELi3ELi6ELb0EEvPKT_PKfPKiPfiiiiiiiiiiiiiiii.uses_vcc, 1
	.set _ZL9mul_mat_fI7__half2Li64ELi3ELi6ELb0EEvPKT_PKfPKiPfiiiiiiiiiiiiiiii.uses_flat_scratch, 0
	.set _ZL9mul_mat_fI7__half2Li64ELi3ELi6ELb0EEvPKT_PKfPKiPfiiiiiiiiiiiiiiii.has_dyn_sized_stack, 0
	.set _ZL9mul_mat_fI7__half2Li64ELi3ELi6ELb0EEvPKT_PKfPKiPfiiiiiiiiiiiiiiii.has_recursion, 0
	.set _ZL9mul_mat_fI7__half2Li64ELi3ELi6ELb0EEvPKT_PKfPKiPfiiiiiiiiiiiiiiii.has_indirect_call, 0
	.section	.AMDGPU.csdata,"",@progbits
; Kernel info:
; codeLenInByte = 4296
; TotalNumSgprs: 93
; NumVgprs: 107
; NumAgprs: 0
; TotalNumVgprs: 107
; ScratchSize: 0
; MemoryBound: 0
; FloatMode: 240
; IeeeMode: 1
; LDSByteSize: 0 bytes/workgroup (compile time only)
; SGPRBlocks: 11
; VGPRBlocks: 13
; NumSGPRsForWavesPerEU: 93
; NumVGPRsForWavesPerEU: 107
; AccumOffset: 108
; Occupancy: 4
; WaveLimiterHint : 0
; COMPUTE_PGM_RSRC2:SCRATCH_EN: 0
; COMPUTE_PGM_RSRC2:USER_SGPR: 2
; COMPUTE_PGM_RSRC2:TRAP_HANDLER: 0
; COMPUTE_PGM_RSRC2:TGID_X_EN: 1
; COMPUTE_PGM_RSRC2:TGID_Y_EN: 1
; COMPUTE_PGM_RSRC2:TGID_Z_EN: 1
; COMPUTE_PGM_RSRC2:TIDIG_COMP_CNT: 1
; COMPUTE_PGM_RSRC3_GFX90A:ACCUM_OFFSET: 26
; COMPUTE_PGM_RSRC3_GFX90A:TG_SPLIT: 0
	.section	.text._ZL13mul_mat_f_idsI7__half2Li64ELi3ELi7EEvPKT_PKfPKiS7_S7_Pfiiiiiiiiiiiiii15HIP_vector_typeIjLj3EESA_,"axG",@progbits,_ZL13mul_mat_f_idsI7__half2Li64ELi3ELi7EEvPKT_PKfPKiS7_S7_Pfiiiiiiiiiiiiii15HIP_vector_typeIjLj3EESA_,comdat
	.globl	_ZL13mul_mat_f_idsI7__half2Li64ELi3ELi7EEvPKT_PKfPKiS7_S7_Pfiiiiiiiiiiiiii15HIP_vector_typeIjLj3EESA_ ; -- Begin function _ZL13mul_mat_f_idsI7__half2Li64ELi3ELi7EEvPKT_PKfPKiS7_S7_Pfiiiiiiiiiiiiii15HIP_vector_typeIjLj3EESA_
	.p2align	8
	.type	_ZL13mul_mat_f_idsI7__half2Li64ELi3ELi7EEvPKT_PKfPKiS7_S7_Pfiiiiiiiiiiiiii15HIP_vector_typeIjLj3EESA_,@function
_ZL13mul_mat_f_idsI7__half2Li64ELi3ELi7EEvPKT_PKfPKiS7_S7_Pfiiiiiiiiiiiiii15HIP_vector_typeIjLj3EESA_: ; @_ZL13mul_mat_f_idsI7__half2Li64ELi3ELi7EEvPKT_PKfPKiS7_S7_Pfiiiiiiiiiiiiii15HIP_vector_typeIjLj3EESA_
; %bb.0:
	s_load_dwordx2 s[6:7], s[0:1], 0x20
	s_mov_b32 s34, s3
	s_ashr_i32 s35, s3, 31
	s_lshl_b64 s[8:9], s[34:35], 2
	s_waitcnt lgkmcnt(0)
	s_add_u32 s6, s6, s8
	s_addc_u32 s7, s7, s9
	s_load_dwordx2 s[26:27], s[6:7], 0x0
	s_waitcnt lgkmcnt(0)
	s_sub_i32 s33, s27, s26
	s_add_i32 s3, s33, 2
	s_mul_hi_i32 s3, s3, 0x55555556
	s_lshr_b32 s5, s3, 31
	s_add_i32 s3, s3, s5
	s_cmp_ge_i32 s4, s3
	s_cbranch_scc1 .LBB117_20
; %bb.1:
	v_bfe_u32 v85, v0, 10, 10
	v_lshlrev_b32_e32 v86, 6, v85
	v_and_b32_e32 v84, 0x3ff, v0
	s_load_dwordx4 s[12:15], s[0:1], 0x30
	s_load_dwordx2 s[20:21], s[0:1], 0x40
	s_load_dwordx4 s[8:11], s[0:1], 0x4c
	s_load_dwordx4 s[16:19], s[0:1], 0x68
	s_load_dwordx2 s[24:25], s[0:1], 0x78
	v_add_u32_e32 v88, v86, v84
	s_ashr_i32 s27, s26, 31
	s_waitcnt lgkmcnt(0)
	v_cmp_le_i32_e32 vcc, s12, v88
	v_and_b32_e32 v87, 15, v84
	s_and_saveexec_b64 s[6:7], vcc
	s_xor_b64 s[6:7], exec, s[6:7]
; %bb.2:
	v_and_b32_e32 v87, 15, v84
                                        ; implicit-def: $vgpr88
; %bb.3:
	s_or_saveexec_b64 s[30:31], s[6:7]
	s_load_dwordx2 s[6:7], s[0:1], 0x18
                                        ; implicit-def: $vgpr101 : SGPR spill to VGPR lane
	v_mov_b32_e32 v15, 0
	s_lshl_b32 s11, s2, 6
	s_mul_i32 s2, s4, 3
	v_mov_b32_e32 v14, v15
	s_waitcnt lgkmcnt(0)
	v_writelane_b32 v101, s6, 0
	v_mov_b32_e32 v13, v15
	v_mov_b32_e32 v12, v15
	v_writelane_b32 v101, s7, 1
	s_load_dwordx2 s[6:7], s[0:1], 0x28
	v_mov_b32_e32 v7, v15
	v_mov_b32_e32 v6, v15
	;; [unrolled: 1-line block ×4, first 2 shown]
	s_waitcnt lgkmcnt(0)
	v_writelane_b32 v101, s6, 2
	v_mov_b32_e32 v3, v15
	v_mov_b32_e32 v2, v15
	;; [unrolled: 1-line block ×8, first 2 shown]
	v_writelane_b32 v101, s7, 3
	s_xor_b64 exec, exec, s[30:31]
	s_cbranch_execz .LBB117_16
; %bb.4:
	s_load_dwordx4 s[4:7], s[0:1], 0x0
	s_load_dwordx2 s[22:23], s[0:1], 0x10
	s_mul_i32 s0, s8, s34
	s_ashr_i32 s1, s0, 31
	v_writelane_b32 v101, s24, 4
	s_lshl_b64 s[44:45], s[0:1], 2
	s_waitcnt lgkmcnt(0)
	s_add_u32 s0, s4, s44
	v_writelane_b32 v101, s25, 5
	s_mul_i32 s24, s15, s11
	s_addc_u32 s1, s5, s45
	s_ashr_i32 s25, s24, 31
	s_lshl_b64 s[46:47], s[24:25], 2
	s_add_u32 s0, s0, s46
	s_addc_u32 s1, s1, s47
	s_lshl_b64 s[24:25], s[26:27], 2
	s_add_u32 s8, s22, s24
	s_addc_u32 s24, s23, s25
	s_movk_i32 s3, 0x1080
	s_cmp_lt_i32 s2, s33
	v_mad_u32_u24 v1, v85, s3, 0
	s_cselect_b64 s[34:35], -1, 0
	s_ashr_i32 s3, s2, 31
	s_lshl_b64 s[22:23], s[2:3], 2
	s_add_u32 s36, s8, s22
	s_addc_u32 s37, s24, s23
	s_add_i32 s3, s2, 1
	s_cmp_lt_i32 s3, s33
	s_cselect_b64 s[38:39], -1, 0
	s_add_i32 s3, s2, 2
	s_cmp_lt_i32 s3, s33
	s_cselect_b64 s[40:41], -1, 0
	s_ashr_i32 s23, s15, 31
	s_mov_b32 s22, s15
	s_add_i32 s3, s15, s15
	s_lshl_b32 s48, s15, 2
	s_lshl_b32 s52, s15, 3
	;; [unrolled: 1-line block ×4, first 2 shown]
	s_lshl_b64 s[42:43], s[22:23], 2
	v_lshrrev_b32_e32 v3, 1, v84
	s_add_u32 s22, s44, s46
	v_mov_b32_e32 v17, 0
	v_lshlrev_b32_e32 v0, 2, v84
	v_mul_u32_u24_e32 v2, 0x108, v87
	v_and_b32_e32 v3, 0x1f8, v3
	s_addc_u32 s23, s45, s47
	v_lshlrev_b32_e32 v16, 8, v85
	v_add_u32_e32 v89, v1, v0
	v_add3_u32 v90, v1, v2, v3
	v_lshl_add_u64 v[2:3], s[22:23], 0, v[16:17]
	v_mov_b32_e32 v1, v17
	v_lshl_add_u64 v[0:1], v[2:3], 0, v[0:1]
	s_mul_i32 s8, s15, 3
	s_mul_i32 s49, s15, 5
	;; [unrolled: 1-line block ×43, first 2 shown]
	v_lshl_add_u64 v[18:19], s[4:5], 0, v[0:1]
	v_mov_b32_e32 v8, 0
	v_mov_b32_e32 v9, v17
	;; [unrolled: 1-line block ×16, first 2 shown]
	s_mul_i32 s90, s15, 50
	s_mul_i32 s91, s15, 51
	s_mul_i32 s92, s15, 52
	s_mul_i32 s93, s15, 53
	s_mul_i32 s94, s15, 54
	s_mul_i32 s95, s15, 55
	s_mul_i32 s96, s15, 56
	s_mul_i32 s97, s15, 57
	s_mul_i32 s98, s15, 58
	s_mul_i32 s99, s15, 59
	s_mul_i32 s24, s15, 60
	s_mul_i32 s25, s15, 61
	s_mul_i32 s22, s15, 62
	s_mul_i32 s15, s15, 63
	s_mov_b32 s23, 0x5040100
	s_mov_b64 s[4:5], 0
	s_branch .LBB117_6
.LBB117_5:                              ;   in Loop: Header=BB117_6 Depth=1
	v_perm_b32 v16, v16, v91, s23
	v_perm_b32 v91, v93, v94, s23
	ds_write2_b32 v89, v16, v91 offset1:66
	v_perm_b32 v16, v95, v92, s23
	ds_write2_b32 v89, v16, v17 offset0:132 offset1:198
	v_add_u32_e32 v16, 0x400, v89
	ds_write2_b32 v16, v17, v17 offset0:8 offset1:74
	ds_write2_b32 v16, v17, v17 offset0:140 offset1:206
	v_add_u32_e32 v16, 0x800, v89
	ds_write2_b32 v16, v17, v17 offset0:16 offset1:82
	;; [unrolled: 3-line block ×3, first 2 shown]
	ds_write2_b32 v16, v17, v17 offset0:156 offset1:222
	ds_read2_b64 v[92:95], v90 offset1:4
	s_waitcnt lgkmcnt(0)
	v_mfma_f32_16x16x16_f16 v[0:3], v[52:53], v[92:93], v[0:3]
	v_add_u32_e32 v88, 0x1c0, v88
	s_mov_b64 vcc, 0x700
	v_lshl_add_u64 v[18:19], v[18:19], 0, vcc
	v_mfma_f32_16x16x16_f16 v[8:11], v[36:37], v[92:93], v[8:11]
	v_cmp_le_i32_e32 vcc, s12, v88
	s_or_b64 s[4:5], vcc, s[4:5]
	v_mfma_f32_16x16x16_f16 v[4:7], v[68:69], v[92:93], v[4:7]
	v_mfma_f32_16x16x16_f16 v[12:15], v[82:83], v[92:93], v[12:15]
	v_mfma_f32_16x16x16_f16 v[0:3], v[50:51], v[94:95], v[0:3]
	ds_read2_b64 v[50:53], v90 offset0:8 offset1:12
	v_mfma_f32_16x16x16_f16 v[8:11], v[32:33], v[94:95], v[8:11]
	v_mfma_f32_16x16x16_f16 v[4:7], v[66:67], v[94:95], v[4:7]
	v_mfma_f32_16x16x16_f16 v[12:15], v[80:81], v[94:95], v[12:15]
	s_waitcnt lgkmcnt(0)
	v_mfma_f32_16x16x16_f16 v[8:11], v[30:31], v[50:51], v[8:11]
	v_mfma_f32_16x16x16_f16 v[0:3], v[46:47], v[50:51], v[0:3]
	v_mfma_f32_16x16x16_f16 v[4:7], v[64:65], v[50:51], v[4:7]
	v_mfma_f32_16x16x16_f16 v[12:15], v[76:77], v[50:51], v[12:15]
	v_mfma_f32_16x16x16_f16 v[8:11], v[28:29], v[52:53], v[8:11]
	ds_read2_b64 v[28:31], v90 offset0:16 offset1:20
	v_mfma_f32_16x16x16_f16 v[0:3], v[44:45], v[52:53], v[0:3]
	v_mfma_f32_16x16x16_f16 v[4:7], v[62:63], v[52:53], v[4:7]
	v_mfma_f32_16x16x16_f16 v[12:15], v[72:73], v[52:53], v[12:15]
	s_waitcnt lgkmcnt(0)
	v_mfma_f32_16x16x16_f16 v[8:11], v[26:27], v[28:29], v[8:11]
	v_mfma_f32_16x16x16_f16 v[0:3], v[42:43], v[28:29], v[0:3]
	;; [unrolled: 10-line block ×3, first 2 shown]
	v_mfma_f32_16x16x16_f16 v[4:7], v[54:55], v[24:25], v[4:7]
	v_mfma_f32_16x16x16_f16 v[12:15], v[70:71], v[24:25], v[12:15]
	;; [unrolled: 1-line block ×6, first 2 shown]
	s_andn2_b64 exec, exec, s[4:5]
	s_cbranch_execz .LBB117_15
.LBB117_6:                              ; =>This Inner Loop Header: Depth=1
	v_lshl_add_u64 v[20:21], v[18:19], 0, s[42:43]
	global_load_dword v16, v[18:19], off
	global_load_dword v46, v[20:21], off
	v_add_u32_e32 v20, s3, v88
	v_ashrrev_i32_e32 v21, 31, v20
	v_add_u32_e32 v22, s8, v88
	v_add_u32_e32 v24, s48, v88
	v_add_u32_e32 v26, s49, v88
	v_add_u32_e32 v28, s50, v88
	v_add_u32_e32 v30, s51, v88
	v_lshl_add_u64 v[20:21], v[20:21], 2, s[0:1]
	v_ashrrev_i32_e32 v23, 31, v22
	v_ashrrev_i32_e32 v25, 31, v24
	;; [unrolled: 1-line block ×5, first 2 shown]
	v_lshl_add_u64 v[22:23], v[22:23], 2, s[0:1]
	v_lshl_add_u64 v[24:25], v[24:25], 2, s[0:1]
	;; [unrolled: 1-line block ×5, first 2 shown]
	global_load_dword v47, v[20:21], off
	global_load_dword v48, v[22:23], off
	global_load_dword v49, v[24:25], off
	global_load_dword v50, v[26:27], off
	global_load_dword v51, v[28:29], off
	global_load_dword v52, v[30:31], off
	v_add_u32_e32 v20, s52, v88
	v_add_u32_e32 v38, s61, v88
	;; [unrolled: 1-line block ×10, first 2 shown]
	v_ashrrev_i32_e32 v21, 31, v20
	v_ashrrev_i32_e32 v39, 31, v38
	;; [unrolled: 1-line block ×10, first 2 shown]
	v_lshl_add_u64 v[20:21], v[20:21], 2, s[0:1]
	v_lshl_add_u64 v[38:39], v[38:39], 2, s[0:1]
	v_add_u32_e32 v40, s62, v88
	v_add_u32_e32 v42, s63, v88
	;; [unrolled: 1-line block ×3, first 2 shown]
	v_lshl_add_u64 v[22:23], v[22:23], 2, s[0:1]
	v_lshl_add_u64 v[24:25], v[24:25], 2, s[0:1]
	;; [unrolled: 1-line block ×8, first 2 shown]
	global_load_dword v53, v[20:21], off
	global_load_dword v54, v[22:23], off
	global_load_dword v55, v[24:25], off
	global_load_dword v56, v[26:27], off
	global_load_dword v57, v[28:29], off
	global_load_dword v58, v[30:31], off
	global_load_dword v59, v[32:33], off
	global_load_dword v60, v[34:35], off
	global_load_dword v61, v[36:37], off
	s_nop 0
	global_load_dword v38, v[38:39], off
	v_add_u32_e32 v20, s65, v88
	v_ashrrev_i32_e32 v41, 31, v40
	v_ashrrev_i32_e32 v43, 31, v42
	;; [unrolled: 1-line block ×4, first 2 shown]
	v_add_u32_e32 v22, s66, v88
	v_add_u32_e32 v24, s67, v88
	;; [unrolled: 1-line block ×4, first 2 shown]
	v_lshl_add_u64 v[40:41], v[40:41], 2, s[0:1]
	v_lshl_add_u64 v[42:43], v[42:43], 2, s[0:1]
	;; [unrolled: 1-line block ×4, first 2 shown]
	v_ashrrev_i32_e32 v23, 31, v22
	v_ashrrev_i32_e32 v25, 31, v24
	;; [unrolled: 1-line block ×4, first 2 shown]
	v_lshl_add_u64 v[22:23], v[22:23], 2, s[0:1]
	v_lshl_add_u64 v[24:25], v[24:25], 2, s[0:1]
	;; [unrolled: 1-line block ×4, first 2 shown]
	v_add_u32_e32 v30, s75, v88
	v_add_u32_e32 v32, s76, v88
	;; [unrolled: 1-line block ×3, first 2 shown]
	v_ashrrev_i32_e32 v31, 31, v30
	v_ashrrev_i32_e32 v33, 31, v32
	;; [unrolled: 1-line block ×3, first 2 shown]
	v_lshl_add_u64 v[30:31], v[30:31], 2, s[0:1]
	s_waitcnt vmcnt(17)
	ds_write_b32 v89, v16
	s_waitcnt vmcnt(16)
	ds_write_b32 v89, v46 offset:264
	s_waitcnt vmcnt(15)
	ds_write_b32 v89, v47 offset:528
	;; [unrolled: 2-line block ×7, first 2 shown]
	global_load_dword v16, v[40:41], off
	global_load_dword v39, v[42:43], off
	s_nop 0
	global_load_dword v40, v[44:45], off
	global_load_dword v41, v[20:21], off
	;; [unrolled: 1-line block ×4, first 2 shown]
	s_nop 0
	global_load_dword v44, v[26:27], off
	global_load_dword v45, v[28:29], off
	v_add_u32_e32 v20, s70, v88
	v_ashrrev_i32_e32 v21, 31, v20
	v_add_u32_e32 v22, s71, v88
	v_add_u32_e32 v24, s72, v88
	;; [unrolled: 1-line block ×4, first 2 shown]
	v_lshl_add_u64 v[20:21], v[20:21], 2, s[0:1]
	v_ashrrev_i32_e32 v23, 31, v22
	v_ashrrev_i32_e32 v25, 31, v24
	v_ashrrev_i32_e32 v27, 31, v26
	v_ashrrev_i32_e32 v29, 31, v28
	v_lshl_add_u64 v[22:23], v[22:23], 2, s[0:1]
	v_lshl_add_u64 v[24:25], v[24:25], 2, s[0:1]
	v_lshl_add_u64 v[26:27], v[26:27], 2, s[0:1]
	v_lshl_add_u64 v[28:29], v[28:29], 2, s[0:1]
	v_lshl_add_u64 v[32:33], v[32:33], 2, s[0:1]
	v_lshl_add_u64 v[34:35], v[34:35], 2, s[0:1]
	global_load_dword v46, v[20:21], off
	global_load_dword v47, v[22:23], off
	global_load_dword v48, v[24:25], off
	global_load_dword v49, v[26:27], off
	global_load_dword v50, v[28:29], off
	global_load_dword v51, v[30:31], off
	global_load_dword v62, v[32:33], off
	global_load_dword v63, v[34:35], off
	v_add_u32_e32 v20, s78, v88
	v_ashrrev_i32_e32 v21, 31, v20
	v_add_u32_e32 v22, s79, v88
	v_add_u32_e32 v24, s80, v88
	v_add_u32_e32 v26, s81, v88
	v_add_u32_e32 v28, s82, v88
	v_add_u32_e32 v30, s83, v88
	v_add_u32_e32 v32, s84, v88
	v_add_u32_e32 v34, s85, v88
	v_lshl_add_u64 v[20:21], v[20:21], 2, s[0:1]
	v_ashrrev_i32_e32 v23, 31, v22
	v_ashrrev_i32_e32 v25, 31, v24
	v_ashrrev_i32_e32 v27, 31, v26
	v_ashrrev_i32_e32 v29, 31, v28
	v_ashrrev_i32_e32 v31, 31, v30
	v_ashrrev_i32_e32 v33, 31, v32
	v_ashrrev_i32_e32 v35, 31, v34
	v_lshl_add_u64 v[22:23], v[22:23], 2, s[0:1]
	v_lshl_add_u64 v[24:25], v[24:25], 2, s[0:1]
	v_lshl_add_u64 v[26:27], v[26:27], 2, s[0:1]
	v_lshl_add_u64 v[28:29], v[28:29], 2, s[0:1]
	v_lshl_add_u64 v[30:31], v[30:31], 2, s[0:1]
	v_lshl_add_u64 v[32:33], v[32:33], 2, s[0:1]
	v_lshl_add_u64 v[34:35], v[34:35], 2, s[0:1]
	global_load_dword v64, v[20:21], off
	global_load_dword v65, v[22:23], off
	global_load_dword v66, v[24:25], off
	global_load_dword v67, v[26:27], off
	global_load_dword v68, v[28:29], off
	global_load_dword v69, v[30:31], off
	global_load_dword v70, v[32:33], off
	global_load_dword v71, v[34:35], off
	v_add_u32_e32 v20, s44, v88
	v_ashrrev_i32_e32 v21, 31, v20
	v_add_u32_e32 v22, s45, v88
	v_add_u32_e32 v24, s46, v88
	v_add_u32_e32 v26, s47, v88
	v_add_u32_e32 v28, s86, v88
	v_add_u32_e32 v30, s87, v88
	v_add_u32_e32 v32, s88, v88
	v_add_u32_e32 v34, s89, v88
	v_lshl_add_u64 v[20:21], v[20:21], 2, s[0:1]
	v_ashrrev_i32_e32 v23, 31, v22
	v_ashrrev_i32_e32 v25, 31, v24
	v_ashrrev_i32_e32 v27, 31, v26
	v_ashrrev_i32_e32 v29, 31, v28
	v_ashrrev_i32_e32 v31, 31, v30
	v_ashrrev_i32_e32 v33, 31, v32
	v_ashrrev_i32_e32 v35, 31, v34
	v_lshl_add_u64 v[22:23], v[22:23], 2, s[0:1]
	;; [unrolled: 32-line block ×3, first 2 shown]
	v_lshl_add_u64 v[24:25], v[24:25], 2, s[0:1]
	v_lshl_add_u64 v[26:27], v[26:27], 2, s[0:1]
	;; [unrolled: 1-line block ×6, first 2 shown]
	global_load_dword v80, v[20:21], off
	global_load_dword v81, v[22:23], off
	;; [unrolled: 1-line block ×8, first 2 shown]
	v_add_u32_e32 v20, s98, v88
	v_ashrrev_i32_e32 v21, 31, v20
	v_add_u32_e32 v22, s99, v88
	v_add_u32_e32 v24, s24, v88
	;; [unrolled: 1-line block ×5, first 2 shown]
	v_lshl_add_u64 v[20:21], v[20:21], 2, s[0:1]
	v_ashrrev_i32_e32 v23, 31, v22
	v_ashrrev_i32_e32 v25, 31, v24
	v_ashrrev_i32_e32 v27, 31, v26
	v_ashrrev_i32_e32 v29, 31, v28
	v_ashrrev_i32_e32 v31, 31, v30
	v_lshl_add_u64 v[22:23], v[22:23], 2, s[0:1]
	v_lshl_add_u64 v[24:25], v[24:25], 2, s[0:1]
	;; [unrolled: 1-line block ×5, first 2 shown]
	global_load_dword v95, v[20:21], off
	global_load_dword v96, v[22:23], off
	;; [unrolled: 1-line block ×6, first 2 shown]
	s_waitcnt vmcnt(55)
	ds_write_b32 v89, v53 offset:2112
	s_waitcnt vmcnt(54)
	ds_write_b32 v89, v54 offset:2376
	s_waitcnt vmcnt(53)
	ds_write_b32 v89, v55 offset:2640
	s_waitcnt vmcnt(52)
	ds_write_b32 v89, v56 offset:2904
	s_waitcnt vmcnt(51)
	ds_write_b32 v89, v57 offset:3168
	s_waitcnt vmcnt(50)
	ds_write_b32 v89, v58 offset:3432
	s_waitcnt vmcnt(49)
	ds_write_b32 v89, v59 offset:3696
	s_waitcnt vmcnt(48)
	ds_write_b32 v89, v60 offset:3960
	ds_read_b64 v[36:37], v90
	ds_read_b64 v[32:33], v90 offset:32
	ds_read_b64 v[30:31], v90 offset:64
	ds_read_b64 v[28:29], v90 offset:96
	ds_read_b64 v[26:27], v90 offset:128
	ds_read_b64 v[24:25], v90 offset:160
	ds_read_b64 v[22:23], v90 offset:192
	ds_read_b64 v[20:21], v90 offset:224
	s_waitcnt vmcnt(47)
	ds_write_b32 v89, v61
	s_waitcnt vmcnt(46)
	ds_write_b32 v89, v38 offset:264
	s_waitcnt vmcnt(45)
	ds_write_b32 v89, v16 offset:528
	s_waitcnt vmcnt(44)
	ds_write_b32 v89, v39 offset:792
	s_waitcnt vmcnt(43)
	ds_write_b32 v89, v40 offset:1056
	s_waitcnt vmcnt(42)
	ds_write_b32 v89, v41 offset:1320
	s_waitcnt vmcnt(41)
	ds_write_b32 v89, v42 offset:1584
	s_waitcnt vmcnt(40)
	ds_write_b32 v89, v43 offset:1848
	s_waitcnt vmcnt(39)
	ds_write_b32 v89, v44 offset:2112
	s_waitcnt vmcnt(38)
	ds_write_b32 v89, v45 offset:2376
	s_waitcnt vmcnt(37)
	ds_write_b32 v89, v46 offset:2640
	s_waitcnt vmcnt(36)
	ds_write_b32 v89, v47 offset:2904
	s_waitcnt vmcnt(35)
	ds_write_b32 v89, v48 offset:3168
	s_waitcnt vmcnt(34)
	ds_write_b32 v89, v49 offset:3432
	s_waitcnt vmcnt(33)
	ds_write_b32 v89, v50 offset:3696
	s_waitcnt vmcnt(32)
	ds_write_b32 v89, v51 offset:3960
	ds_read_b64 v[52:53], v90
	ds_read_b64 v[50:51], v90 offset:32
	ds_read_b64 v[46:47], v90 offset:64
	ds_read_b64 v[44:45], v90 offset:96
	ds_read_b64 v[42:43], v90 offset:128
	ds_read_b64 v[40:41], v90 offset:160
	ds_read_b64 v[38:39], v90 offset:192
	ds_read_b64 v[34:35], v90 offset:224
	s_waitcnt vmcnt(31)
	ds_write_b32 v89, v62
	s_waitcnt vmcnt(30)
	ds_write_b32 v89, v63 offset:264
	s_waitcnt vmcnt(29)
	ds_write_b32 v89, v64 offset:528
	s_waitcnt vmcnt(28)
	ds_write_b32 v89, v65 offset:792
	s_waitcnt vmcnt(27)
	ds_write_b32 v89, v66 offset:1056
	s_waitcnt vmcnt(26)
	ds_write_b32 v89, v67 offset:1320
	s_waitcnt vmcnt(25)
	ds_write_b32 v89, v68 offset:1584
	s_waitcnt vmcnt(24)
	ds_write_b32 v89, v69 offset:1848
	;; [unrolled: 40-line block ×3, first 2 shown]
	s_waitcnt vmcnt(7)
	ds_write_b32 v89, v93 offset:2112
	s_waitcnt vmcnt(6)
	ds_write_b32 v89, v94 offset:2376
	;; [unrolled: 2-line block ×8, first 2 shown]
	ds_read_b64 v[82:83], v90
	ds_read_b64 v[80:81], v90 offset:32
	ds_read_b64 v[76:77], v90 offset:64
	;; [unrolled: 1-line block ×7, first 2 shown]
	s_andn2_b64 vcc, exec, s[34:35]
	v_mov_b32_e32 v91, 0
	v_mov_b32_e32 v16, 0
	s_cbranch_vccnz .LBB117_9
; %bb.7:                                ;   in Loop: Header=BB117_6 Depth=1
	s_load_dword vcc_lo, s[36:37], 0x0
	v_mov_b32_e32 v16, 0
	v_mov_b32_e32 v91, 0
	s_waitcnt lgkmcnt(0)
	s_mul_hi_u32 vcc_hi, vcc_lo, s16
	s_add_i32 vcc_hi, vcc_lo, vcc_hi
	s_lshr_b32 s28, vcc_hi, s17
	s_cmp_ge_i32 s28, s13
	s_cbranch_scc1 .LBB117_9
; %bb.8:                                ;   in Loop: Header=BB117_6 Depth=1
	s_mul_i32 vcc_hi, s28, s18
	s_sub_i32 s29, vcc_lo, vcc_hi
	s_mul_i32 s28, s28, s20
	s_mul_i32 s29, s29, s9
	v_add_u32_e32 v16, s28, v88
	v_lshl_add_u32 v92, v16, 1, s29
	v_ashrrev_i32_e32 v93, 31, v92
	v_lshl_add_u64 v[92:93], v[92:93], 2, s[6:7]
	global_load_dwordx2 v[92:93], v[92:93], off
	s_waitcnt vmcnt(0)
	v_cvt_f16_f32_e32 v91, v92
	v_cvt_f16_f32_e32 v16, v93
.LBB117_9:                              ;   in Loop: Header=BB117_6 Depth=1
	v_mov_b32_e32 v92, 0
	s_andn2_b64 vcc, exec, s[38:39]
	v_mov_b32_e32 v94, 0
	v_mov_b32_e32 v93, 0
	s_cbranch_vccnz .LBB117_12
; %bb.10:                               ;   in Loop: Header=BB117_6 Depth=1
	s_load_dword vcc_lo, s[36:37], 0x4
	v_mov_b32_e32 v93, 0
	v_mov_b32_e32 v94, 0
	s_waitcnt lgkmcnt(0)
	s_mul_hi_u32 s28, vcc_lo, s16
	s_add_i32 s28, vcc_lo, s28
	s_lshr_b32 vcc_hi, s28, s17
	s_cmp_ge_i32 vcc_hi, s13
	s_cbranch_scc1 .LBB117_12
; %bb.11:                               ;   in Loop: Header=BB117_6 Depth=1
	s_mul_i32 s28, vcc_hi, s18
	s_sub_i32 s28, vcc_lo, s28
	s_mul_i32 vcc_hi, vcc_hi, s20
	s_mul_i32 s28, s28, s9
	v_add_u32_e32 v93, vcc_hi, v88
	v_lshl_add_u32 v94, v93, 1, s28
	v_ashrrev_i32_e32 v95, 31, v94
	v_lshl_add_u64 v[94:95], v[94:95], 2, s[6:7]
	global_load_dwordx2 v[94:95], v[94:95], off
	s_waitcnt vmcnt(0)
	v_cvt_f16_f32_e32 v94, v94
	v_cvt_f16_f32_e32 v93, v95
.LBB117_12:                             ;   in Loop: Header=BB117_6 Depth=1
	s_andn2_b64 vcc, exec, s[40:41]
	v_mov_b32_e32 v95, 0
	s_cbranch_vccnz .LBB117_5
; %bb.13:                               ;   in Loop: Header=BB117_6 Depth=1
	s_load_dword vcc_lo, s[36:37], 0x8
	v_mov_b32_e32 v95, 0
	v_mov_b32_e32 v92, 0
	s_waitcnt lgkmcnt(0)
	s_mul_hi_u32 s28, vcc_lo, s16
	s_add_i32 s28, vcc_lo, s28
	s_lshr_b32 vcc_hi, s28, s17
	s_cmp_ge_i32 vcc_hi, s13
	s_cbranch_scc1 .LBB117_5
; %bb.14:                               ;   in Loop: Header=BB117_6 Depth=1
	s_mul_i32 s28, vcc_hi, s18
	s_sub_i32 s28, vcc_lo, s28
	s_mul_i32 vcc_hi, vcc_hi, s20
	s_mul_i32 s28, s28, s9
	v_add_u32_e32 v92, vcc_hi, v88
	v_lshl_add_u32 v96, v92, 1, s28
	v_ashrrev_i32_e32 v97, 31, v96
	v_lshl_add_u64 v[96:97], v[96:97], 2, s[6:7]
	global_load_dwordx2 v[96:97], v[96:97], off
	s_waitcnt vmcnt(0)
	v_cvt_f16_f32_e32 v92, v96
	v_cvt_f16_f32_e32 v95, v97
	s_branch .LBB117_5
.LBB117_15:
	s_or_b64 exec, exec, s[4:5]
	v_readlane_b32 s24, v101, 4
	v_readlane_b32 s25, v101, 5
.LBB117_16:
	s_or_b64 exec, exec, s[30:31]
	v_lshl_add_u32 v16, v86, 2, 0
	v_mul_u32_u24_e32 v17, 0x708, v87
	v_and_b32_e32 v18, 0x3f0, v84
	v_add3_u32 v16, v16, v17, v18
	v_cmp_gt_u32_e32 vcc, 3, v85
	s_barrier
	ds_write2_b32 v16, v8, v9 offset1:1
	ds_write2_b32 v16, v10, v11 offset0:2 offset1:3
	ds_write2_b32 v16, v0, v1 offset0:16 offset1:17
	;; [unrolled: 1-line block ×7, first 2 shown]
	s_waitcnt lgkmcnt(0)
	s_barrier
	s_and_saveexec_b64 s[0:1], vcc
	s_cbranch_execz .LBB117_20
; %bb.17:
	s_cmp_gt_i32 s14, 0
	v_add_u32_e32 v0, s2, v85
	s_cselect_b64 s[0:1], -1, 0
	v_cmp_gt_i32_e32 vcc, s33, v0
	s_and_b64 s[0:1], s[0:1], vcc
	s_and_b64 exec, exec, s[0:1]
	s_cbranch_execz .LBB117_20
; %bb.18:
	s_lshl_b64 s[0:1], s[26:27], 2
	v_readlane_b32 s2, v101, 0
	v_readlane_b32 s3, v101, 1
	s_add_u32 s0, s2, s0
	s_addc_u32 s1, s3, s1
	v_ashrrev_i32_e32 v1, 31, v0
	v_lshl_add_u64 v[0:1], v[0:1], 2, s[0:1]
	global_load_dword v0, v[0:1], off
	s_waitcnt vmcnt(0)
	v_mul_hi_u32 v1, v0, s19
	v_add_u32_e32 v1, v0, v1
	v_lshrrev_b32_e32 v1, s24, v1
	v_cmp_gt_i32_e32 vcc, s13, v1
	s_and_b64 exec, exec, vcc
	s_cbranch_execz .LBB117_20
; %bb.19:
	v_lshlrev_b32_e32 v2, 2, v84
	v_mul_u32_u24_e32 v3, 0x708, v85
	v_add3_u32 v8, 0, v2, v3
	ds_read2st64_b32 v[2:3], v8 offset1:1
	ds_read2st64_b32 v[4:5], v8 offset0:2 offset1:3
	ds_read2st64_b32 v[6:7], v8 offset0:4 offset1:5
	ds_read_b32 v8, v8 offset:1536
	v_readlane_b32 s0, v101, 2
	s_waitcnt lgkmcnt(3)
	v_add_f32_e32 v2, 0, v2
	v_add_f32_e32 v2, v2, v3
	s_waitcnt lgkmcnt(2)
	v_add_f32_e32 v2, v2, v4
	v_mul_lo_u32 v4, v1, s25
	v_add_f32_e32 v2, v2, v5
	v_sub_u32_e32 v0, v0, v4
	s_waitcnt lgkmcnt(1)
	v_add_f32_e32 v2, v2, v6
	v_add_u32_e32 v3, s11, v84
	v_mul_lo_u32 v0, v0, s10
	v_mul_lo_u32 v1, v1, s21
	v_add_f32_e32 v2, v2, v7
	v_add3_u32 v0, v3, v1, v0
	v_mov_b32_e32 v1, 0
	v_readlane_b32 s1, v101, 3
	s_waitcnt lgkmcnt(0)
	v_add_f32_e32 v2, v2, v8
	v_lshl_add_u64 v[0:1], v[0:1], 2, s[0:1]
	global_store_dword v[0:1], v2, off
.LBB117_20:
	s_endpgm
	.section	.rodata,"a",@progbits
	.p2align	6, 0x0
	.amdhsa_kernel _ZL13mul_mat_f_idsI7__half2Li64ELi3ELi7EEvPKT_PKfPKiS7_S7_Pfiiiiiiiiiiiiii15HIP_vector_typeIjLj3EESA_
		.amdhsa_group_segment_fixed_size 0
		.amdhsa_private_segment_fixed_size 0
		.amdhsa_kernarg_size 128
		.amdhsa_user_sgpr_count 2
		.amdhsa_user_sgpr_dispatch_ptr 0
		.amdhsa_user_sgpr_queue_ptr 0
		.amdhsa_user_sgpr_kernarg_segment_ptr 1
		.amdhsa_user_sgpr_dispatch_id 0
		.amdhsa_user_sgpr_kernarg_preload_length 0
		.amdhsa_user_sgpr_kernarg_preload_offset 0
		.amdhsa_user_sgpr_private_segment_size 0
		.amdhsa_uses_dynamic_stack 0
		.amdhsa_enable_private_segment 0
		.amdhsa_system_sgpr_workgroup_id_x 1
		.amdhsa_system_sgpr_workgroup_id_y 1
		.amdhsa_system_sgpr_workgroup_id_z 1
		.amdhsa_system_sgpr_workgroup_info 0
		.amdhsa_system_vgpr_workitem_id 1
		.amdhsa_next_free_vgpr 102
		.amdhsa_next_free_sgpr 100
		.amdhsa_accum_offset 104
		.amdhsa_reserve_vcc 1
		.amdhsa_float_round_mode_32 0
		.amdhsa_float_round_mode_16_64 0
		.amdhsa_float_denorm_mode_32 3
		.amdhsa_float_denorm_mode_16_64 3
		.amdhsa_dx10_clamp 1
		.amdhsa_ieee_mode 1
		.amdhsa_fp16_overflow 0
		.amdhsa_tg_split 0
		.amdhsa_exception_fp_ieee_invalid_op 0
		.amdhsa_exception_fp_denorm_src 0
		.amdhsa_exception_fp_ieee_div_zero 0
		.amdhsa_exception_fp_ieee_overflow 0
		.amdhsa_exception_fp_ieee_underflow 0
		.amdhsa_exception_fp_ieee_inexact 0
		.amdhsa_exception_int_div_zero 0
	.end_amdhsa_kernel
	.section	.text._ZL13mul_mat_f_idsI7__half2Li64ELi3ELi7EEvPKT_PKfPKiS7_S7_Pfiiiiiiiiiiiiii15HIP_vector_typeIjLj3EESA_,"axG",@progbits,_ZL13mul_mat_f_idsI7__half2Li64ELi3ELi7EEvPKT_PKfPKiS7_S7_Pfiiiiiiiiiiiiii15HIP_vector_typeIjLj3EESA_,comdat
.Lfunc_end117:
	.size	_ZL13mul_mat_f_idsI7__half2Li64ELi3ELi7EEvPKT_PKfPKiS7_S7_Pfiiiiiiiiiiiiii15HIP_vector_typeIjLj3EESA_, .Lfunc_end117-_ZL13mul_mat_f_idsI7__half2Li64ELi3ELi7EEvPKT_PKfPKiS7_S7_Pfiiiiiiiiiiiiii15HIP_vector_typeIjLj3EESA_
                                        ; -- End function
	.set _ZL13mul_mat_f_idsI7__half2Li64ELi3ELi7EEvPKT_PKfPKiS7_S7_Pfiiiiiiiiiiiiii15HIP_vector_typeIjLj3EESA_.num_vgpr, 102
	.set _ZL13mul_mat_f_idsI7__half2Li64ELi3ELi7EEvPKT_PKfPKiS7_S7_Pfiiiiiiiiiiiiii15HIP_vector_typeIjLj3EESA_.num_agpr, 0
	.set _ZL13mul_mat_f_idsI7__half2Li64ELi3ELi7EEvPKT_PKfPKiS7_S7_Pfiiiiiiiiiiiiii15HIP_vector_typeIjLj3EESA_.numbered_sgpr, 100
	.set _ZL13mul_mat_f_idsI7__half2Li64ELi3ELi7EEvPKT_PKfPKiS7_S7_Pfiiiiiiiiiiiiii15HIP_vector_typeIjLj3EESA_.num_named_barrier, 0
	.set _ZL13mul_mat_f_idsI7__half2Li64ELi3ELi7EEvPKT_PKfPKiS7_S7_Pfiiiiiiiiiiiiii15HIP_vector_typeIjLj3EESA_.private_seg_size, 0
	.set _ZL13mul_mat_f_idsI7__half2Li64ELi3ELi7EEvPKT_PKfPKiS7_S7_Pfiiiiiiiiiiiiii15HIP_vector_typeIjLj3EESA_.uses_vcc, 1
	.set _ZL13mul_mat_f_idsI7__half2Li64ELi3ELi7EEvPKT_PKfPKiS7_S7_Pfiiiiiiiiiiiiii15HIP_vector_typeIjLj3EESA_.uses_flat_scratch, 0
	.set _ZL13mul_mat_f_idsI7__half2Li64ELi3ELi7EEvPKT_PKfPKiS7_S7_Pfiiiiiiiiiiiiii15HIP_vector_typeIjLj3EESA_.has_dyn_sized_stack, 0
	.set _ZL13mul_mat_f_idsI7__half2Li64ELi3ELi7EEvPKT_PKfPKiS7_S7_Pfiiiiiiiiiiiiii15HIP_vector_typeIjLj3EESA_.has_recursion, 0
	.set _ZL13mul_mat_f_idsI7__half2Li64ELi3ELi7EEvPKT_PKfPKiS7_S7_Pfiiiiiiiiiiiiii15HIP_vector_typeIjLj3EESA_.has_indirect_call, 0
	.section	.AMDGPU.csdata,"",@progbits
; Kernel info:
; codeLenInByte = 4660
; TotalNumSgprs: 106
; NumVgprs: 102
; NumAgprs: 0
; TotalNumVgprs: 102
; ScratchSize: 0
; MemoryBound: 0
; FloatMode: 240
; IeeeMode: 1
; LDSByteSize: 0 bytes/workgroup (compile time only)
; SGPRBlocks: 13
; VGPRBlocks: 12
; NumSGPRsForWavesPerEU: 106
; NumVGPRsForWavesPerEU: 102
; AccumOffset: 104
; Occupancy: 4
; WaveLimiterHint : 1
; COMPUTE_PGM_RSRC2:SCRATCH_EN: 0
; COMPUTE_PGM_RSRC2:USER_SGPR: 2
; COMPUTE_PGM_RSRC2:TRAP_HANDLER: 0
; COMPUTE_PGM_RSRC2:TGID_X_EN: 1
; COMPUTE_PGM_RSRC2:TGID_Y_EN: 1
; COMPUTE_PGM_RSRC2:TGID_Z_EN: 1
; COMPUTE_PGM_RSRC2:TIDIG_COMP_CNT: 1
; COMPUTE_PGM_RSRC3_GFX90A:ACCUM_OFFSET: 25
; COMPUTE_PGM_RSRC3_GFX90A:TG_SPLIT: 0
	.section	.text._ZL9mul_mat_fI7__half2Li64ELi3ELi7ELb1EEvPKT_PKfPKiPfiiiiiiiiiiiiiiii,"axG",@progbits,_ZL9mul_mat_fI7__half2Li64ELi3ELi7ELb1EEvPKT_PKfPKiPfiiiiiiiiiiiiiiii,comdat
	.globl	_ZL9mul_mat_fI7__half2Li64ELi3ELi7ELb1EEvPKT_PKfPKiPfiiiiiiiiiiiiiiii ; -- Begin function _ZL9mul_mat_fI7__half2Li64ELi3ELi7ELb1EEvPKT_PKfPKiPfiiiiiiiiiiiiiiii
	.p2align	8
	.type	_ZL9mul_mat_fI7__half2Li64ELi3ELi7ELb1EEvPKT_PKfPKiPfiiiiiiiiiiiiiiii,@function
_ZL9mul_mat_fI7__half2Li64ELi3ELi7ELb1EEvPKT_PKfPKiPfiiiiiiiiiiiiiiii: ; @_ZL9mul_mat_fI7__half2Li64ELi3ELi7ELb1EEvPKT_PKfPKiPfiiiiiiiiiiiiiiii
; %bb.0:
	s_load_dwordx8 s[12:19], s[0:1], 0x20
	v_and_b32_e32 v16, 0x3ff, v0
	v_bfe_u32 v17, v0, 10, 10
	s_waitcnt lgkmcnt(0)
	s_add_i32 s5, s13, 2
	s_mul_hi_i32 s5, s5, 0x55555556
	s_lshr_b32 s6, s5, 31
	s_add_i32 s5, s5, s6
	v_cvt_f32_u32_e32 v1, s5
	s_load_dwordx4 s[20:23], s[0:1], 0x44
	s_load_dword s6, s[0:1], 0x64
	s_add_u32 s30, s0, 0x60
	s_addc_u32 s31, s1, 0
	v_rcp_iflag_f32_e32 v1, v1
	s_sub_i32 s7, 0, s5
	s_waitcnt lgkmcnt(0)
	s_abs_i32 s33, s23
	v_mul_f32_e32 v1, 0x4f7ffffe, v1
	v_cvt_u32_f32_e32 v1, v1
	v_mul_lo_u32 v2, s7, v1
	v_mul_hi_u32 v2, v1, v2
	v_add_u32_e32 v1, v1, v2
	v_mul_hi_u32 v1, s6, v1
	v_mul_lo_u32 v2, v1, s5
	v_sub_u32_e32 v2, s6, v2
	v_add_u32_e32 v3, 1, v1
	v_subrev_u32_e32 v4, s5, v2
	v_cmp_le_u32_e32 vcc, s5, v2
	s_nop 1
	v_cndmask_b32_e32 v1, v1, v3, vcc
	v_cndmask_b32_e32 v2, v2, v4, vcc
	v_add_u32_e32 v3, 1, v1
	v_cmp_le_u32_e32 vcc, s5, v2
	v_cvt_f32_u32_e32 v4, s33
	s_sub_i32 s5, 0, s33
	v_cndmask_b32_e32 v2, v1, v3, vcc
	v_cvt_f32_u32_e32 v1, v2
	v_rcp_iflag_f32_e32 v3, v4
	v_sub_u32_e32 v5, 0, v2
	v_cmp_eq_u32_e32 vcc, 0, v16
	v_rcp_iflag_f32_e32 v4, v1
	v_mul_f32_e32 v1, 0x4f7ffffe, v3
	v_cvt_u32_f32_e32 v1, v1
	v_mul_f32_e32 v3, 0x4f7ffffe, v4
	v_cvt_u32_f32_e32 v3, v3
	v_mul_lo_u32 v4, s5, v1
	v_mul_hi_u32 v4, v1, v4
	v_mul_lo_u32 v5, v5, v3
	v_mul_hi_u32 v5, v3, v5
	v_add_u32_e32 v3, v3, v5
	v_mul_hi_u32 v3, s3, v3
	s_and_saveexec_b64 s[6:7], vcc
; %bb.1:
	v_mov_b32_e32 v5, 0x100
	v_lshl_add_u32 v5, v17, 2, v5
	v_mov_b32_e32 v6, -1
	ds_write_b32 v5, v6
; %bb.2:
	s_or_b64 exec, exec, s[6:7]
	v_add_u32_e32 v1, v1, v4
	v_mul_lo_u32 v4, v3, v2
	v_sub_u32_e32 v4, s3, v4
	v_add_u32_e32 v5, 1, v3
	v_sub_u32_e32 v6, v4, v2
	v_cmp_ge_u32_e32 vcc, v4, v2
	s_load_dwordx4 s[24:27], s[0:1], 0x54
	s_waitcnt lgkmcnt(0)
	s_abs_i32 s27, s4
	v_cndmask_b32_e32 v3, v3, v5, vcc
	v_cndmask_b32_e32 v4, v4, v6, vcc
	v_add_u32_e32 v5, 1, v3
	v_cmp_ge_u32_e32 vcc, v4, v2
	v_mov_b32_e32 v6, 0
	s_nop 0
	v_cndmask_b32_e32 v3, v3, v5, vcc
	v_mul_lo_u32 v2, v3, v2
	v_mul_lo_u32 v94, v3, 3
	v_sub_u32_e32 v18, s3, v2
	v_add_u32_e32 v2, v17, v94
	v_cmp_gt_i32_e64 s[8:9], s13, v2
	s_and_saveexec_b64 s[10:11], s[8:9]
	s_cbranch_execz .LBB118_10
; %bb.3:
	v_cmp_gt_i32_e32 vcc, s14, v16
	v_mov_b32_e32 v6, 0
	s_and_saveexec_b64 s[28:29], vcc
	s_cbranch_execz .LBB118_9
; %bb.4:
	s_load_dwordx2 s[6:7], s[0:1], 0x10
	v_mul_hi_i32 v3, v94, s19
	v_mul_lo_u32 v2, v94, s19
	v_mul_lo_u32 v4, v17, s19
	v_lshlrev_b64 v[2:3], 2, v[2:3]
	s_waitcnt lgkmcnt(0)
	v_lshl_add_u64 v[2:3], s[6:7], 0, v[2:3]
	v_ashrrev_i32_e32 v5, 31, v4
	v_lshl_add_u64 v[2:3], v[4:5], 2, v[2:3]
	v_mov_b32_e32 v4, 0x100
	v_lshl_add_u32 v7, v17, 2, v4
	v_mul_lo_u32 v4, v16, s18
	s_lshl_b32 s3, s18, 6
	v_mov_b32_e32 v6, 0
	s_mov_b64 s[18:19], 0
	v_mov_b32_e32 v8, v16
	s_branch .LBB118_6
.LBB118_5:                              ;   in Loop: Header=BB118_6 Depth=1
	s_or_b64 exec, exec, s[34:35]
	v_add_u32_e32 v8, 64, v8
	v_cmp_le_i32_e64 s[6:7], s14, v8
	s_xor_b64 s[34:35], vcc, -1
	s_or_b64 s[6:7], s[34:35], s[6:7]
	s_and_b64 s[6:7], exec, s[6:7]
	s_or_b64 s[18:19], s[6:7], s[18:19]
	v_add_u32_e32 v4, s3, v4
	s_andn2_b64 exec, exec, s[18:19]
	s_cbranch_execz .LBB118_8
.LBB118_6:                              ; =>This Inner Loop Header: Depth=1
	v_ashrrev_i32_e32 v5, 31, v4
	v_lshl_add_u64 v[10:11], v[4:5], 2, v[2:3]
	global_load_dword v5, v[10:11], off
	s_waitcnt vmcnt(0)
	v_cmp_ne_u32_e32 vcc, v5, v18
	v_cmp_eq_u32_e64 s[6:7], v5, v18
	s_and_saveexec_b64 s[34:35], s[6:7]
	s_cbranch_execz .LBB118_5
; %bb.7:                                ;   in Loop: Header=BB118_6 Depth=1
	v_mov_b32_e32 v6, 1
	ds_write_b32 v7, v8
	s_branch .LBB118_5
.LBB118_8:
	s_or_b64 exec, exec, s[18:19]
.LBB118_9:
	s_or_b64 exec, exec, s[28:29]
.LBB118_10:
	s_or_b64 exec, exec, s[10:11]
	s_load_dwordx2 s[18:19], s[30:31], 0xc
	s_load_dwordx2 s[28:29], s[0:1], 0x8
	;; [unrolled: 1-line block ×3, first 2 shown]
	v_mul_hi_u32 v19, s27, v1
	v_or_b32_dpp v1, v6, v6 row_shl:1 row_mask:0xf bank_mask:0xf bound_ctrl:1
	s_waitcnt lgkmcnt(0)
	s_lshr_b32 s6, s18, 16
	s_and_b32 s5, s18, 0xffff
	v_or_b32_dpp v1, v1, v1 row_shl:2 row_mask:0xf bank_mask:0xf bound_ctrl:1
	s_mul_i32 s7, s6, s5
	s_and_b32 s3, s19, 0xffff
	v_or_b32_dpp v1, v1, v1 row_shl:4 row_mask:0xf bank_mask:0xf bound_ctrl:1
	s_bfe_i32 s7, s7, 0x180000
	s_mul_i32 s3, s7, s3
	v_or_b32_dpp v1, v1, v1 row_shl:8 row_mask:0xf bank_mask:0xf bound_ctrl:1
	s_add_i32 s7, s3, 63
	s_bitcmp1_b32 exec_hi, 0
	v_mov_b32_dpp v2, v1 wave_shl:1 row_mask:0xf bank_mask:0xf bound_ctrl:1
	s_nop 1
	v_or_b32_dpp v1, v2, v1 row_mirror row_mask:0xf bank_mask:0xf bound_ctrl:1
	s_nop 0
	v_readlane_b32 s3, v1, 32
	s_cselect_b32 s3, s3, 0
	v_readlane_b32 s14, v1, 0
	s_or_b32 s3, s3, s14
	s_andn2_b32 s7, s7, 63
	s_cmp_lg_u32 s7, 64
	v_mov_b32_e32 v1, s3
	s_cbranch_scc0 .LBB118_17
; %bb.11:
	v_bfe_u32 v0, v0, 20, 10
	v_mbcnt_lo_u32_b32 v1, -1, 0
	v_mad_u32_u24 v0, v0, s6, v17
	v_mbcnt_hi_u32_b32 v2, -1, v1
	v_mad_u64_u32 v[0:1], s[6:7], v0, s5, v[16:17]
	v_lshrrev_b32_e32 v1, 6, v0
	v_or_b32_e32 v1, v2, v1
	v_cmp_eq_u32_e32 vcc, 0, v1
	s_and_saveexec_b64 s[6:7], vcc
; %bb.12:
	v_mov_b32_e32 v1, 0
	v_mov_b32_e32 v3, s3
	ds_write_b32 v1, v3
; %bb.13:
	s_or_b64 exec, exec, s[6:7]
	v_cmp_eq_u32_e32 vcc, 0, v2
	v_cmp_lt_u32_e64 s[6:7], 63, v0
	s_and_b64 s[18:19], s[6:7], vcc
	s_waitcnt lgkmcnt(0)
	s_barrier
	s_and_saveexec_b64 s[6:7], s[18:19]
	s_cbranch_execz .LBB118_16
; %bb.14:
	v_mbcnt_lo_u32_b32 v0, exec_lo, 0
	v_mbcnt_hi_u32_b32 v0, exec_hi, v0
	v_cmp_eq_u32_e32 vcc, 0, v0
	s_and_b64 exec, exec, vcc
; %bb.15:
	v_mov_b32_e32 v0, 0
	v_mov_b32_e32 v1, s3
	ds_or_b32 v0, v1
.LBB118_16:
	s_or_b64 exec, exec, s[6:7]
	v_mov_b32_e32 v0, 0
	s_waitcnt lgkmcnt(0)
	s_barrier
	ds_read_b32 v1, v0
	s_waitcnt lgkmcnt(0)
	s_barrier
.LBB118_17:
	s_load_dwordx2 s[0:1], s[0:1], 0x0
	v_cmp_ne_u32_e32 vcc, 0, v1
	s_ashr_i32 s3, s4, 31
	s_ashr_i32 s14, s23, 31
	s_cbranch_vccz .LBB118_39
; %bb.18:
	v_lshlrev_b32_e32 v95, 6, v17
	v_add_u32_e32 v97, v95, v16
	v_cmp_le_i32_e32 vcc, s12, v97
	v_and_b32_e32 v96, 15, v16
	s_and_saveexec_b64 s[6:7], vcc
	s_xor_b64 s[6:7], exec, s[6:7]
; %bb.19:
	v_and_b32_e32 v96, 15, v16
                                        ; implicit-def: $vgpr97
                                        ; implicit-def: $vgpr19
                                        ; implicit-def: $vgpr18
; %bb.20:
	s_or_saveexec_b64 s[18:19], s[6:7]
	v_mov_b32_e32 v11, 0
	s_lshl_b32 s5, s2, 6
	v_mov_b32_e32 v10, v11
	v_mov_b32_e32 v9, v11
	;; [unrolled: 1-line block ×15, first 2 shown]
	s_xor_b64 exec, exec, s[18:19]
	s_cbranch_execz .LBB118_36
; %bb.21:
	v_mul_lo_u32 v0, v19, s33
	v_sub_u32_e32 v0, s27, v0
	v_add_u32_e32 v1, 1, v19
	v_subrev_u32_e32 v2, s33, v0
	v_cmp_le_u32_e32 vcc, s33, v0
	s_xor_b32 s2, s3, s14
	s_movk_i32 s6, 0x1080
	v_cndmask_b32_e32 v1, v19, v1, vcc
	v_cndmask_b32_e32 v0, v0, v2, vcc
	v_add_u32_e32 v2, 1, v1
	v_cmp_le_u32_e32 vcc, s33, v0
	v_mov_b32_e32 v98, 0x100
	v_mad_u32_u24 v6, v17, s6, v98
	v_cndmask_b32_e32 v0, v1, v2, vcc
	v_xor_b32_e32 v0, s2, v0
	v_subrev_u32_e32 v0, s2, v0
	v_mul_hi_i32 v1, v0, s24
	v_mul_lo_u32 v0, v0, s24
	v_mul_lo_u32 v2, v18, s20
	v_ashrrev_i32_e32 v3, 31, v2
	s_mul_i32 s2, s15, s5
	v_lshlrev_b64 v[0:1], 2, v[0:1]
	s_waitcnt lgkmcnt(0)
	v_lshl_add_u64 v[4:5], s[0:1], 0, v[0:1]
	v_lshlrev_b64 v[2:3], 2, v[2:3]
	s_ashr_i32 s3, s2, 31
	s_mul_hi_i32 s7, s25, s4
	s_mul_i32 s6, s25, s4
	v_lshl_add_u64 v[4:5], v[4:5], 0, v[2:3]
	s_lshl_b64 s[2:3], s[2:3], 2
	s_lshl_b64 s[6:7], s[6:7], 2
	v_lshl_add_u64 v[18:19], v[4:5], 0, s[2:3]
	v_mul_hi_i32 v5, s16, v94
	v_mul_lo_u32 v4, s16, v94
	s_add_u32 s6, s28, s6
	v_lshlrev_b64 v[4:5], 3, v[4:5]
	s_addc_u32 s7, s29, s7
	v_lshl_add_u64 v[0:1], v[0:1], 0, s[2:3]
	v_lshl_add_u64 v[20:21], s[6:7], 0, v[4:5]
	v_lshrrev_b32_e32 v5, 1, v16
	v_lshl_add_u64 v[0:1], v[0:1], 0, v[2:3]
	v_mul_u32_u24_e32 v4, 0x108, v96
	v_and_b32_e32 v5, 0x1f8, v5
	v_add_u32_e32 v26, 1, v94
	v_add_u32_e32 v27, 2, v94
	s_ashr_i32 s7, s15, 31
	s_mov_b32 s6, s15
	v_lshl_add_u64 v[0:1], s[0:1], 0, v[0:1]
	v_lshlrev_b32_e32 v2, 1, v16
	v_lshlrev_b32_e32 v22, 2, v97
	v_mov_b32_e32 v23, 0
	v_lshl_add_u32 v99, v16, 2, v6
	v_add3_u32 v100, v6, v4, v5
	s_lshl_b32 s20, s16, 2
	s_add_i32 s23, s15, s15
	s_mul_i32 s27, s15, 3
	s_lshl_b32 s30, s15, 2
	s_mul_i32 s31, s15, 5
	s_mul_i32 s33, s15, 6
	;; [unrolled: 1-line block ×3, first 2 shown]
	s_lshl_b32 s35, s15, 3
	s_mul_i32 s36, s15, 9
	s_mul_i32 s37, s15, 10
	;; [unrolled: 1-line block ×7, first 2 shown]
	s_lshl_b32 s43, s15, 4
	s_mul_i32 s44, s15, 17
	s_mul_i32 s45, s15, 18
	s_mul_i32 s46, s15, 19
	s_mul_i32 s47, s15, 20
	s_mul_i32 s48, s15, 21
	s_mul_i32 s49, s15, 22
	s_mul_i32 s50, s15, 23
	s_mul_i32 s51, s15, 24
	s_mul_i32 s52, s15, 25
	s_mul_i32 s53, s15, 26
	s_mul_i32 s54, s15, 27
	s_mul_i32 s55, s15, 28
	s_mul_i32 s56, s15, 29
	s_mul_i32 s57, s15, 30
	s_mul_i32 s58, s15, 31
	s_lshl_b32 s59, s15, 5
	s_mul_i32 s60, s15, 33
	s_mul_i32 s61, s15, 34
	;; [unrolled: 1-line block ×22, first 2 shown]
	v_cmp_gt_i32_e64 s[2:3], s13, v94
	s_mul_i32 s82, s15, 55
	s_mul_i32 s83, s15, 56
	v_lshl_add_u32 v101, v17, 7, v2
	s_lshl_b64 s[24:25], s[6:7], 2
	v_lshl_add_u64 v[24:25], v[0:1], 0, v[22:23]
	v_mov_b32_e32 v12, 0
	v_mov_b32_e32 v13, v23
	;; [unrolled: 1-line block ×16, first 2 shown]
	s_mul_i32 s84, s15, 57
	s_mul_i32 s85, s15, 58
	;; [unrolled: 1-line block ×7, first 2 shown]
	s_lshl_b32 s16, s16, 1
	v_cmp_gt_i32_e64 s[0:1], s13, v26
	v_cmp_gt_i32_e64 s[6:7], s13, v27
	s_mov_b64 s[14:15], 0
	s_mov_b64 s[28:29], 0x700
	s_branch .LBB118_24
.LBB118_22:                             ;   in Loop: Header=BB118_24 Depth=1
	v_mul_lo_u32 v22, v22, s21
	v_add_u32_e32 v22, s20, v22
	v_add_u32_e32 v90, v22, v101
	v_ashrrev_i32_e32 v91, 31, v90
	v_lshl_add_u64 v[90:91], v[90:91], 2, v[20:21]
	global_load_dwordx2 v[90:91], v[90:91], off
.LBB118_23:                             ;   in Loop: Header=BB118_24 Depth=1
	s_waitcnt vmcnt(0)
	v_cvt_pk_f16_f32 v22, v90, v91
	ds_write2_b32 v99, v22, v23 offset0:148 offset1:214
	v_add_u32_e32 v22, 0x400, v99
	ds_write2_b32 v22, v23, v23 offset0:24 offset1:90
	ds_write2_b32 v22, v23, v23 offset0:156 offset1:222
	v_add_u32_e32 v22, 0x800, v99
	ds_write2_b32 v22, v23, v23 offset0:32 offset1:98
	;; [unrolled: 3-line block ×3, first 2 shown]
	ds_write2_b32 v22, v23, v23 offset0:172 offset1:238
	ds_read2_b64 v[90:93], v100 offset0:8 offset1:12
	v_add_u32_e32 v97, 0x1c0, v97
	s_waitcnt lgkmcnt(0)
	v_mfma_f32_16x16x16_f16 v[0:3], v[58:59], v[90:91], v[0:3]
	v_cmp_le_i32_e32 vcc, s12, v97
	v_add_u32_e32 v101, 0x380, v101
	v_lshl_add_u64 v[24:25], v[24:25], 0, s[28:29]
	v_mfma_f32_16x16x16_f16 v[8:11], v[42:43], v[90:91], v[8:11]
	s_or_b64 s[14:15], vcc, s[14:15]
	v_mfma_f32_16x16x16_f16 v[4:7], v[74:75], v[90:91], v[4:7]
	v_mfma_f32_16x16x16_f16 v[12:15], v[88:89], v[90:91], v[12:15]
	v_mfma_f32_16x16x16_f16 v[0:3], v[56:57], v[92:93], v[0:3]
	ds_read2_b64 v[56:59], v100 offset0:16 offset1:20
	v_mfma_f32_16x16x16_f16 v[8:11], v[38:39], v[92:93], v[8:11]
	v_mfma_f32_16x16x16_f16 v[4:7], v[72:73], v[92:93], v[4:7]
	v_mfma_f32_16x16x16_f16 v[12:15], v[86:87], v[92:93], v[12:15]
	s_waitcnt lgkmcnt(0)
	v_mfma_f32_16x16x16_f16 v[8:11], v[36:37], v[56:57], v[8:11]
	v_mfma_f32_16x16x16_f16 v[0:3], v[52:53], v[56:57], v[0:3]
	v_mfma_f32_16x16x16_f16 v[4:7], v[70:71], v[56:57], v[4:7]
	v_mfma_f32_16x16x16_f16 v[12:15], v[84:85], v[56:57], v[12:15]
	v_mfma_f32_16x16x16_f16 v[8:11], v[34:35], v[58:59], v[8:11]
	ds_read2_b64 v[34:37], v100 offset0:24 offset1:28
	v_mfma_f32_16x16x16_f16 v[0:3], v[50:51], v[58:59], v[0:3]
	v_mfma_f32_16x16x16_f16 v[4:7], v[68:69], v[58:59], v[4:7]
	v_mfma_f32_16x16x16_f16 v[12:15], v[82:83], v[58:59], v[12:15]
	s_waitcnt lgkmcnt(0)
	v_mfma_f32_16x16x16_f16 v[8:11], v[32:33], v[34:35], v[8:11]
	v_mfma_f32_16x16x16_f16 v[0:3], v[48:49], v[34:35], v[0:3]
	;; [unrolled: 10-line block ×3, first 2 shown]
	v_mfma_f32_16x16x16_f16 v[4:7], v[60:61], v[30:31], v[4:7]
	v_mfma_f32_16x16x16_f16 v[12:15], v[76:77], v[30:31], v[12:15]
	;; [unrolled: 1-line block ×6, first 2 shown]
	s_andn2_b64 exec, exec, s[14:15]
	s_cbranch_execz .LBB118_35
.LBB118_24:                             ; =>This Inner Loop Header: Depth=1
	v_lshl_add_u64 v[26:27], v[24:25], 0, s[24:25]
	global_load_dword v22, v[24:25], off
	global_load_dword v52, v[26:27], off
	v_add_u32_e32 v26, s23, v97
	v_ashrrev_i32_e32 v27, 31, v26
	v_add_u32_e32 v28, s27, v97
	v_add_u32_e32 v30, s30, v97
	;; [unrolled: 1-line block ×5, first 2 shown]
	v_lshl_add_u64 v[26:27], v[26:27], 2, v[18:19]
	v_ashrrev_i32_e32 v29, 31, v28
	v_ashrrev_i32_e32 v31, 31, v30
	v_ashrrev_i32_e32 v33, 31, v32
	v_ashrrev_i32_e32 v35, 31, v34
	v_ashrrev_i32_e32 v37, 31, v36
	v_lshl_add_u64 v[28:29], v[28:29], 2, v[18:19]
	v_lshl_add_u64 v[30:31], v[30:31], 2, v[18:19]
	;; [unrolled: 1-line block ×5, first 2 shown]
	global_load_dword v53, v[26:27], off
	global_load_dword v54, v[28:29], off
	;; [unrolled: 1-line block ×6, first 2 shown]
	v_add_u32_e32 v26, s35, v97
	v_add_u32_e32 v44, s44, v97
	;; [unrolled: 1-line block ×10, first 2 shown]
	v_ashrrev_i32_e32 v27, 31, v26
	v_ashrrev_i32_e32 v45, 31, v44
	;; [unrolled: 1-line block ×10, first 2 shown]
	v_lshl_add_u64 v[26:27], v[26:27], 2, v[18:19]
	v_lshl_add_u64 v[44:45], v[44:45], 2, v[18:19]
	v_add_u32_e32 v46, s45, v97
	v_add_u32_e32 v48, s46, v97
	;; [unrolled: 1-line block ×3, first 2 shown]
	v_lshl_add_u64 v[28:29], v[28:29], 2, v[18:19]
	v_lshl_add_u64 v[30:31], v[30:31], 2, v[18:19]
	;; [unrolled: 1-line block ×8, first 2 shown]
	global_load_dword v59, v[26:27], off
	global_load_dword v60, v[28:29], off
	;; [unrolled: 1-line block ×9, first 2 shown]
	s_nop 0
	global_load_dword v44, v[44:45], off
	v_add_u32_e32 v26, s48, v97
	v_ashrrev_i32_e32 v47, 31, v46
	v_ashrrev_i32_e32 v49, 31, v48
	;; [unrolled: 1-line block ×4, first 2 shown]
	v_add_u32_e32 v28, s49, v97
	v_add_u32_e32 v30, s50, v97
	;; [unrolled: 1-line block ×4, first 2 shown]
	v_lshl_add_u64 v[46:47], v[46:47], 2, v[18:19]
	v_lshl_add_u64 v[48:49], v[48:49], 2, v[18:19]
	;; [unrolled: 1-line block ×4, first 2 shown]
	v_ashrrev_i32_e32 v29, 31, v28
	v_ashrrev_i32_e32 v31, 31, v30
	;; [unrolled: 1-line block ×4, first 2 shown]
	v_lshl_add_u64 v[28:29], v[28:29], 2, v[18:19]
	v_lshl_add_u64 v[30:31], v[30:31], 2, v[18:19]
	;; [unrolled: 1-line block ×4, first 2 shown]
	v_add_u32_e32 v36, s58, v97
	v_add_u32_e32 v38, s59, v97
	;; [unrolled: 1-line block ×3, first 2 shown]
	v_ashrrev_i32_e32 v37, 31, v36
	v_ashrrev_i32_e32 v39, 31, v38
	;; [unrolled: 1-line block ×3, first 2 shown]
	v_lshl_add_u64 v[36:37], v[36:37], 2, v[18:19]
	s_waitcnt vmcnt(17)
	ds_write_b32 v99, v22 offset:64
	s_waitcnt vmcnt(16)
	ds_write_b32 v99, v52 offset:328
	;; [unrolled: 2-line block ×8, first 2 shown]
	global_load_dword v22, v[46:47], off
	global_load_dword v45, v[48:49], off
	s_nop 0
	global_load_dword v46, v[50:51], off
	global_load_dword v47, v[26:27], off
	;; [unrolled: 1-line block ×4, first 2 shown]
	s_nop 0
	global_load_dword v50, v[32:33], off
	global_load_dword v51, v[34:35], off
	v_add_u32_e32 v26, s53, v97
	v_ashrrev_i32_e32 v27, 31, v26
	v_add_u32_e32 v28, s54, v97
	v_add_u32_e32 v30, s55, v97
	;; [unrolled: 1-line block ×4, first 2 shown]
	v_lshl_add_u64 v[26:27], v[26:27], 2, v[18:19]
	v_ashrrev_i32_e32 v29, 31, v28
	v_ashrrev_i32_e32 v31, 31, v30
	;; [unrolled: 1-line block ×4, first 2 shown]
	v_lshl_add_u64 v[28:29], v[28:29], 2, v[18:19]
	v_lshl_add_u64 v[30:31], v[30:31], 2, v[18:19]
	v_lshl_add_u64 v[32:33], v[32:33], 2, v[18:19]
	v_lshl_add_u64 v[34:35], v[34:35], 2, v[18:19]
	v_lshl_add_u64 v[38:39], v[38:39], 2, v[18:19]
	v_lshl_add_u64 v[40:41], v[40:41], 2, v[18:19]
	global_load_dword v52, v[26:27], off
	global_load_dword v53, v[28:29], off
	global_load_dword v54, v[30:31], off
	global_load_dword v55, v[32:33], off
	global_load_dword v56, v[34:35], off
	global_load_dword v57, v[36:37], off
	global_load_dword v68, v[38:39], off
	global_load_dword v69, v[40:41], off
	v_add_u32_e32 v26, s61, v97
	v_ashrrev_i32_e32 v27, 31, v26
	v_add_u32_e32 v28, s62, v97
	v_add_u32_e32 v30, s63, v97
	v_add_u32_e32 v32, s64, v97
	v_add_u32_e32 v34, s65, v97
	v_add_u32_e32 v36, s66, v97
	v_add_u32_e32 v38, s67, v97
	v_add_u32_e32 v40, s68, v97
	v_lshl_add_u64 v[26:27], v[26:27], 2, v[18:19]
	v_ashrrev_i32_e32 v29, 31, v28
	v_ashrrev_i32_e32 v31, 31, v30
	v_ashrrev_i32_e32 v33, 31, v32
	v_ashrrev_i32_e32 v35, 31, v34
	v_ashrrev_i32_e32 v37, 31, v36
	v_ashrrev_i32_e32 v39, 31, v38
	v_ashrrev_i32_e32 v41, 31, v40
	v_lshl_add_u64 v[28:29], v[28:29], 2, v[18:19]
	v_lshl_add_u64 v[30:31], v[30:31], 2, v[18:19]
	v_lshl_add_u64 v[32:33], v[32:33], 2, v[18:19]
	v_lshl_add_u64 v[34:35], v[34:35], 2, v[18:19]
	v_lshl_add_u64 v[36:37], v[36:37], 2, v[18:19]
	v_lshl_add_u64 v[38:39], v[38:39], 2, v[18:19]
	v_lshl_add_u64 v[40:41], v[40:41], 2, v[18:19]
	global_load_dword v70, v[26:27], off
	global_load_dword v71, v[28:29], off
	global_load_dword v72, v[30:31], off
	global_load_dword v73, v[32:33], off
	global_load_dword v74, v[34:35], off
	global_load_dword v75, v[36:37], off
	global_load_dword v76, v[38:39], off
	global_load_dword v77, v[40:41], off
	v_add_u32_e32 v26, s69, v97
	v_ashrrev_i32_e32 v27, 31, v26
	v_add_u32_e32 v28, s70, v97
	v_add_u32_e32 v30, s71, v97
	v_add_u32_e32 v32, s72, v97
	v_add_u32_e32 v34, s73, v97
	v_add_u32_e32 v36, s74, v97
	v_add_u32_e32 v38, s75, v97
	v_add_u32_e32 v40, s76, v97
	v_lshl_add_u64 v[26:27], v[26:27], 2, v[18:19]
	v_ashrrev_i32_e32 v29, 31, v28
	v_ashrrev_i32_e32 v31, 31, v30
	v_ashrrev_i32_e32 v33, 31, v32
	v_ashrrev_i32_e32 v35, 31, v34
	v_ashrrev_i32_e32 v37, 31, v36
	v_ashrrev_i32_e32 v39, 31, v38
	v_ashrrev_i32_e32 v41, 31, v40
	v_lshl_add_u64 v[28:29], v[28:29], 2, v[18:19]
	;; [unrolled: 32-line block ×3, first 2 shown]
	v_lshl_add_u64 v[30:31], v[30:31], 2, v[18:19]
	v_lshl_add_u64 v[32:33], v[32:33], 2, v[18:19]
	;; [unrolled: 1-line block ×6, first 2 shown]
	global_load_dword v86, v[26:27], off
	global_load_dword v87, v[28:29], off
	;; [unrolled: 1-line block ×8, first 2 shown]
	v_add_u32_e32 v26, s85, v97
	v_ashrrev_i32_e32 v27, 31, v26
	v_add_u32_e32 v28, s86, v97
	v_add_u32_e32 v30, s87, v97
	;; [unrolled: 1-line block ×5, first 2 shown]
	v_lshl_add_u64 v[26:27], v[26:27], 2, v[18:19]
	v_ashrrev_i32_e32 v29, 31, v28
	v_ashrrev_i32_e32 v31, 31, v30
	;; [unrolled: 1-line block ×5, first 2 shown]
	v_lshl_add_u64 v[28:29], v[28:29], 2, v[18:19]
	v_lshl_add_u64 v[30:31], v[30:31], 2, v[18:19]
	;; [unrolled: 1-line block ×5, first 2 shown]
	global_load_dword v102, v[26:27], off
	global_load_dword v103, v[28:29], off
	;; [unrolled: 1-line block ×6, first 2 shown]
	s_waitcnt vmcnt(55)
	ds_write_b32 v99, v59 offset:2176
	s_waitcnt vmcnt(54)
	ds_write_b32 v99, v60 offset:2440
	s_waitcnt vmcnt(53)
	ds_write_b32 v99, v61 offset:2704
	s_waitcnt vmcnt(52)
	ds_write_b32 v99, v62 offset:2968
	s_waitcnt vmcnt(51)
	ds_write_b32 v99, v63 offset:3232
	s_waitcnt vmcnt(50)
	ds_write_b32 v99, v64 offset:3496
	s_waitcnt vmcnt(49)
	ds_write_b32 v99, v65 offset:3760
	s_waitcnt vmcnt(48)
	ds_write_b32 v99, v66 offset:4024
	ds_read_b64 v[42:43], v100 offset:64
	ds_read_b64 v[38:39], v100 offset:96
	ds_read_b64 v[36:37], v100 offset:128
	ds_read_b64 v[34:35], v100 offset:160
	ds_read_b64 v[32:33], v100 offset:192
	ds_read_b64 v[30:31], v100 offset:224
	ds_read_b64 v[28:29], v100 offset:256
	ds_read_b64 v[26:27], v100 offset:288
	s_waitcnt vmcnt(47)
	ds_write_b32 v99, v67 offset:64
	s_waitcnt vmcnt(46)
	ds_write_b32 v99, v44 offset:328
	s_waitcnt vmcnt(45)
	ds_write_b32 v99, v22 offset:592
	s_waitcnt vmcnt(44)
	ds_write_b32 v99, v45 offset:856
	s_waitcnt vmcnt(43)
	ds_write_b32 v99, v46 offset:1120
	s_waitcnt vmcnt(42)
	ds_write_b32 v99, v47 offset:1384
	s_waitcnt vmcnt(41)
	ds_write_b32 v99, v48 offset:1648
	s_waitcnt vmcnt(40)
	ds_write_b32 v99, v49 offset:1912
	s_waitcnt vmcnt(39)
	ds_write_b32 v99, v50 offset:2176
	s_waitcnt vmcnt(38)
	ds_write_b32 v99, v51 offset:2440
	s_waitcnt vmcnt(37)
	ds_write_b32 v99, v52 offset:2704
	s_waitcnt vmcnt(36)
	ds_write_b32 v99, v53 offset:2968
	s_waitcnt vmcnt(35)
	ds_write_b32 v99, v54 offset:3232
	s_waitcnt vmcnt(34)
	ds_write_b32 v99, v55 offset:3496
	s_waitcnt vmcnt(33)
	ds_write_b32 v99, v56 offset:3760
	s_waitcnt vmcnt(32)
	ds_write_b32 v99, v57 offset:4024
	ds_read_b64 v[58:59], v100 offset:64
	ds_read_b64 v[56:57], v100 offset:96
	ds_read_b64 v[52:53], v100 offset:128
	ds_read_b64 v[50:51], v100 offset:160
	ds_read_b64 v[48:49], v100 offset:192
	ds_read_b64 v[46:47], v100 offset:224
	ds_read_b64 v[44:45], v100 offset:256
	ds_read_b64 v[40:41], v100 offset:288
	s_waitcnt vmcnt(31)
	ds_write_b32 v99, v68 offset:64
	s_waitcnt vmcnt(30)
	ds_write_b32 v99, v69 offset:328
	s_waitcnt vmcnt(29)
	ds_write_b32 v99, v70 offset:592
	s_waitcnt vmcnt(28)
	ds_write_b32 v99, v71 offset:856
	s_waitcnt vmcnt(27)
	ds_write_b32 v99, v72 offset:1120
	s_waitcnt vmcnt(26)
	ds_write_b32 v99, v73 offset:1384
	s_waitcnt vmcnt(25)
	ds_write_b32 v99, v74 offset:1648
	s_waitcnt vmcnt(24)
	ds_write_b32 v99, v75 offset:1912
	;; [unrolled: 40-line block ×3, first 2 shown]
	s_waitcnt vmcnt(7)
	ds_write_b32 v99, v92 offset:2176
	s_waitcnt vmcnt(6)
	ds_write_b32 v99, v93 offset:2440
	;; [unrolled: 2-line block ×8, first 2 shown]
	ds_read_b64 v[88:89], v100 offset:64
	ds_read_b64 v[86:87], v100 offset:96
	;; [unrolled: 1-line block ×8, first 2 shown]
	s_andn2_b64 vcc, exec, s[2:3]
	v_mov_b32_e32 v90, 0
	v_mov_b32_e32 v91, 0
	s_cbranch_vccnz .LBB118_28
; %bb.25:                               ;   in Loop: Header=BB118_24 Depth=1
	ds_read_b32 v22, v98
	s_waitcnt lgkmcnt(0)
	v_cmp_gt_i32_e32 vcc, 0, v22
	s_cbranch_vccnz .LBB118_27
; %bb.26:                               ;   in Loop: Header=BB118_24 Depth=1
	v_mul_lo_u32 v22, v22, s21
	v_add_u32_e32 v90, v101, v22
	v_ashrrev_i32_e32 v91, 31, v90
	v_lshl_add_u64 v[90:91], v[90:91], 2, v[20:21]
	global_load_dwordx2 v[90:91], v[90:91], off
	s_branch .LBB118_28
.LBB118_27:                             ;   in Loop: Header=BB118_24 Depth=1
	v_mov_b32_e32 v90, 0
	v_mov_b32_e32 v91, 0
.LBB118_28:                             ;   in Loop: Header=BB118_24 Depth=1
	s_waitcnt vmcnt(0)
	v_cvt_pk_f16_f32 v22, v90, v91
	v_mov_b32_e32 v90, 0
	s_andn2_b64 vcc, exec, s[0:1]
	v_mov_b32_e32 v92, 0
	v_mov_b32_e32 v93, 0
	ds_write_b32 v99, v22 offset:64
	s_cbranch_vccnz .LBB118_32
; %bb.29:                               ;   in Loop: Header=BB118_24 Depth=1
	ds_read_b32 v22, v98 offset:4
	s_waitcnt lgkmcnt(0)
	v_cmp_gt_i32_e32 vcc, 0, v22
	s_cbranch_vccnz .LBB118_31
; %bb.30:                               ;   in Loop: Header=BB118_24 Depth=1
	v_mul_lo_u32 v22, v22, s21
	v_add_u32_e32 v22, s16, v22
	v_add_u32_e32 v92, v22, v101
	v_ashrrev_i32_e32 v93, 31, v92
	v_lshl_add_u64 v[92:93], v[92:93], 2, v[20:21]
	global_load_dwordx2 v[92:93], v[92:93], off
	s_branch .LBB118_32
.LBB118_31:                             ;   in Loop: Header=BB118_24 Depth=1
	v_mov_b32_e32 v92, 0
	v_mov_b32_e32 v93, 0
.LBB118_32:                             ;   in Loop: Header=BB118_24 Depth=1
	s_waitcnt vmcnt(0)
	v_cvt_pk_f16_f32 v22, v92, v93
	s_andn2_b64 vcc, exec, s[6:7]
	v_mov_b32_e32 v91, 0
	ds_write_b32 v99, v22 offset:328
	s_cbranch_vccnz .LBB118_23
; %bb.33:                               ;   in Loop: Header=BB118_24 Depth=1
	ds_read_b32 v22, v98 offset:8
	s_waitcnt lgkmcnt(0)
	v_cmp_gt_i32_e32 vcc, 0, v22
	s_cbranch_vccz .LBB118_22
; %bb.34:                               ;   in Loop: Header=BB118_24 Depth=1
	v_mov_b32_e32 v90, 0
	v_mov_b32_e32 v91, 0
	s_branch .LBB118_23
.LBB118_35:
	s_or_b64 exec, exec, s[14:15]
.LBB118_36:
	s_or_b64 exec, exec, s[18:19]
	v_mov_b32_e32 v18, 0x100
	v_lshl_add_u32 v18, v95, 2, v18
	v_mul_u32_u24_e32 v19, 0x708, v96
	v_and_b32_e32 v20, 0x3f0, v16
	v_add3_u32 v19, v18, v19, v20
	v_cmp_gt_u32_e32 vcc, 3, v17
	s_waitcnt lgkmcnt(0)
	s_barrier
	ds_write2_b32 v19, v8, v9 offset0:16 offset1:17
	ds_write2_b32 v19, v10, v11 offset0:18 offset1:19
	ds_write2_b32 v19, v0, v1 offset0:32 offset1:33
	ds_write2_b32 v19, v2, v3 offset0:34 offset1:35
	ds_write2_b32 v19, v4, v5 offset0:48 offset1:49
	ds_write2_b32 v19, v6, v7 offset0:50 offset1:51
	ds_write2_b32 v19, v12, v13 offset0:64 offset1:65
	ds_write2_b32 v19, v14, v15 offset0:66 offset1:67
	s_waitcnt lgkmcnt(0)
	s_barrier
	s_and_saveexec_b64 s[0:1], vcc
	s_cbranch_execz .LBB118_39
; %bb.37:
	s_movk_i32 s0, 0xff04
	v_mad_i32_i24 v0, v17, s0, v18
	ds_read_b32 v0, v0
	s_waitcnt lgkmcnt(0)
	v_cmp_lt_i32_e32 vcc, -1, v0
	s_and_b64 s[0:1], vcc, s[8:9]
	s_and_b64 exec, exec, s[0:1]
	s_cbranch_execz .LBB118_39
; %bb.38:
	v_lshlrev_b32_e32 v4, 2, v16
	s_movk_i32 s2, 0x100
	v_mul_u32_u24_e32 v5, 0x708, v17
	v_add3_u32 v10, s2, v4, v5
	ds_read2_b32 v[4:5], v10 offset0:16 offset1:80
	ds_read2_b32 v[6:7], v10 offset0:144 offset1:208
	v_add_u32_e32 v8, 64, v10
	ds_read2st64_b32 v[8:9], v8 offset0:4 offset1:5
	s_mul_hi_i32 s1, s26, s4
	s_waitcnt lgkmcnt(2)
	v_add_f32_e32 v4, 0, v4
	v_add_f32_e32 v4, v4, v5
	ds_read_b32 v5, v10 offset:1600
	s_waitcnt lgkmcnt(2)
	v_add_f32_e32 v4, v4, v6
	s_mul_i32 s0, s26, s4
	v_add_f32_e32 v4, v4, v7
	s_lshl_b64 s[0:1], s[0:1], 2
	s_waitcnt lgkmcnt(1)
	v_add_f32_e32 v4, v4, v8
	v_mul_hi_i32 v3, v94, s17
	v_mul_lo_u32 v2, v94, s17
	s_add_u32 s0, s10, s0
	v_add_f32_e32 v4, v4, v9
	v_add_u32_e32 v1, s5, v16
	s_addc_u32 s1, s11, s1
	v_lshlrev_b64 v[2:3], 2, v[2:3]
	s_waitcnt lgkmcnt(0)
	v_add_f32_e32 v4, v4, v5
	v_mul_lo_u32 v0, v0, s22
	v_mul_lo_u32 v5, v17, s17
	v_lshl_add_u64 v[2:3], s[0:1], 0, v[2:3]
	v_add3_u32 v0, v1, v5, v0
	v_mov_b32_e32 v1, 0
	v_lshl_add_u64 v[0:1], v[0:1], 2, v[2:3]
	global_store_dword v[0:1], v4, off
.LBB118_39:
	s_endpgm
	.section	.rodata,"a",@progbits
	.p2align	6, 0x0
	.amdhsa_kernel _ZL9mul_mat_fI7__half2Li64ELi3ELi7ELb1EEvPKT_PKfPKiPfiiiiiiiiiiiiiiii
		.amdhsa_group_segment_fixed_size 256
		.amdhsa_private_segment_fixed_size 0
		.amdhsa_kernarg_size 352
		.amdhsa_user_sgpr_count 2
		.amdhsa_user_sgpr_dispatch_ptr 0
		.amdhsa_user_sgpr_queue_ptr 0
		.amdhsa_user_sgpr_kernarg_segment_ptr 1
		.amdhsa_user_sgpr_dispatch_id 0
		.amdhsa_user_sgpr_kernarg_preload_length 0
		.amdhsa_user_sgpr_kernarg_preload_offset 0
		.amdhsa_user_sgpr_private_segment_size 0
		.amdhsa_uses_dynamic_stack 0
		.amdhsa_enable_private_segment 0
		.amdhsa_system_sgpr_workgroup_id_x 1
		.amdhsa_system_sgpr_workgroup_id_y 1
		.amdhsa_system_sgpr_workgroup_id_z 1
		.amdhsa_system_sgpr_workgroup_info 0
		.amdhsa_system_vgpr_workitem_id 2
		.amdhsa_next_free_vgpr 108
		.amdhsa_next_free_sgpr 91
		.amdhsa_accum_offset 108
		.amdhsa_reserve_vcc 1
		.amdhsa_float_round_mode_32 0
		.amdhsa_float_round_mode_16_64 0
		.amdhsa_float_denorm_mode_32 3
		.amdhsa_float_denorm_mode_16_64 3
		.amdhsa_dx10_clamp 1
		.amdhsa_ieee_mode 1
		.amdhsa_fp16_overflow 0
		.amdhsa_tg_split 0
		.amdhsa_exception_fp_ieee_invalid_op 0
		.amdhsa_exception_fp_denorm_src 0
		.amdhsa_exception_fp_ieee_div_zero 0
		.amdhsa_exception_fp_ieee_overflow 0
		.amdhsa_exception_fp_ieee_underflow 0
		.amdhsa_exception_fp_ieee_inexact 0
		.amdhsa_exception_int_div_zero 0
	.end_amdhsa_kernel
	.section	.text._ZL9mul_mat_fI7__half2Li64ELi3ELi7ELb1EEvPKT_PKfPKiPfiiiiiiiiiiiiiiii,"axG",@progbits,_ZL9mul_mat_fI7__half2Li64ELi3ELi7ELb1EEvPKT_PKfPKiPfiiiiiiiiiiiiiiii,comdat
.Lfunc_end118:
	.size	_ZL9mul_mat_fI7__half2Li64ELi3ELi7ELb1EEvPKT_PKfPKiPfiiiiiiiiiiiiiiii, .Lfunc_end118-_ZL9mul_mat_fI7__half2Li64ELi3ELi7ELb1EEvPKT_PKfPKiPfiiiiiiiiiiiiiiii
                                        ; -- End function
	.set _ZL9mul_mat_fI7__half2Li64ELi3ELi7ELb1EEvPKT_PKfPKiPfiiiiiiiiiiiiiiii.num_vgpr, 108
	.set _ZL9mul_mat_fI7__half2Li64ELi3ELi7ELb1EEvPKT_PKfPKiPfiiiiiiiiiiiiiiii.num_agpr, 0
	.set _ZL9mul_mat_fI7__half2Li64ELi3ELi7ELb1EEvPKT_PKfPKiPfiiiiiiiiiiiiiiii.numbered_sgpr, 91
	.set _ZL9mul_mat_fI7__half2Li64ELi3ELi7ELb1EEvPKT_PKfPKiPfiiiiiiiiiiiiiiii.num_named_barrier, 0
	.set _ZL9mul_mat_fI7__half2Li64ELi3ELi7ELb1EEvPKT_PKfPKiPfiiiiiiiiiiiiiiii.private_seg_size, 0
	.set _ZL9mul_mat_fI7__half2Li64ELi3ELi7ELb1EEvPKT_PKfPKiPfiiiiiiiiiiiiiiii.uses_vcc, 1
	.set _ZL9mul_mat_fI7__half2Li64ELi3ELi7ELb1EEvPKT_PKfPKiPfiiiiiiiiiiiiiiii.uses_flat_scratch, 0
	.set _ZL9mul_mat_fI7__half2Li64ELi3ELi7ELb1EEvPKT_PKfPKiPfiiiiiiiiiiiiiiii.has_dyn_sized_stack, 0
	.set _ZL9mul_mat_fI7__half2Li64ELi3ELi7ELb1EEvPKT_PKfPKiPfiiiiiiiiiiiiiiii.has_recursion, 0
	.set _ZL9mul_mat_fI7__half2Li64ELi3ELi7ELb1EEvPKT_PKfPKiPfiiiiiiiiiiiiiiii.has_indirect_call, 0
	.section	.AMDGPU.csdata,"",@progbits
; Kernel info:
; codeLenInByte = 5496
; TotalNumSgprs: 97
; NumVgprs: 108
; NumAgprs: 0
; TotalNumVgprs: 108
; ScratchSize: 0
; MemoryBound: 0
; FloatMode: 240
; IeeeMode: 1
; LDSByteSize: 256 bytes/workgroup (compile time only)
; SGPRBlocks: 12
; VGPRBlocks: 13
; NumSGPRsForWavesPerEU: 97
; NumVGPRsForWavesPerEU: 108
; AccumOffset: 108
; Occupancy: 4
; WaveLimiterHint : 0
; COMPUTE_PGM_RSRC2:SCRATCH_EN: 0
; COMPUTE_PGM_RSRC2:USER_SGPR: 2
; COMPUTE_PGM_RSRC2:TRAP_HANDLER: 0
; COMPUTE_PGM_RSRC2:TGID_X_EN: 1
; COMPUTE_PGM_RSRC2:TGID_Y_EN: 1
; COMPUTE_PGM_RSRC2:TGID_Z_EN: 1
; COMPUTE_PGM_RSRC2:TIDIG_COMP_CNT: 2
; COMPUTE_PGM_RSRC3_GFX90A:ACCUM_OFFSET: 26
; COMPUTE_PGM_RSRC3_GFX90A:TG_SPLIT: 0
	.section	.text._ZL9mul_mat_fI7__half2Li64ELi3ELi7ELb0EEvPKT_PKfPKiPfiiiiiiiiiiiiiiii,"axG",@progbits,_ZL9mul_mat_fI7__half2Li64ELi3ELi7ELb0EEvPKT_PKfPKiPfiiiiiiiiiiiiiiii,comdat
	.globl	_ZL9mul_mat_fI7__half2Li64ELi3ELi7ELb0EEvPKT_PKfPKiPfiiiiiiiiiiiiiiii ; -- Begin function _ZL9mul_mat_fI7__half2Li64ELi3ELi7ELb0EEvPKT_PKfPKiPfiiiiiiiiiiiiiiii
	.p2align	8
	.type	_ZL9mul_mat_fI7__half2Li64ELi3ELi7ELb0EEvPKT_PKfPKiPfiiiiiiiiiiiiiiii,@function
_ZL9mul_mat_fI7__half2Li64ELi3ELi7ELb0EEvPKT_PKfPKiPfiiiiiiiiiiiiiiii: ; @_ZL9mul_mat_fI7__half2Li64ELi3ELi7ELb0EEvPKT_PKfPKiPfiiiiiiiiiiiiiiii
; %bb.0:
	s_load_dword s5, s[0:1], 0x20
	s_load_dwordx4 s[16:19], s[0:1], 0x2c
	v_bfe_u32 v84, v0, 10, 10
	v_lshlrev_b32_e32 v86, 6, v84
	v_and_b32_e32 v85, 0x3ff, v0
	v_add_u32_e32 v88, v86, v85
	s_waitcnt lgkmcnt(0)
	s_ashr_i32 s19, s4, 31
	v_cmp_le_i32_e32 vcc, s5, v88
	v_and_b32_e32 v87, 15, v85
	s_and_saveexec_b64 s[6:7], vcc
	s_xor_b64 s[6:7], exec, s[6:7]
; %bb.1:
	v_and_b32_e32 v87, 15, v85
                                        ; implicit-def: $vgpr88
; %bb.2:
	s_or_saveexec_b64 s[24:25], s[6:7]
	s_load_dwordx8 s[8:15], s[0:1], 0x40
	s_load_dwordx2 s[6:7], s[0:1], 0x18
	v_mov_b32_e32 v11, 0
	s_lshl_b32 s2, s2, 6
	v_lshlrev_b32_e32 v16, 2, v85
	v_mov_b32_e32 v10, v11
	v_mov_b32_e32 v9, v11
	;; [unrolled: 1-line block ×15, first 2 shown]
	s_xor_b64 exec, exec, s[24:25]
	s_cbranch_execz .LBB119_6
; %bb.3:
	s_waitcnt lgkmcnt(0)
	s_abs_i32 s26, s8
	v_cvt_f32_u32_e32 v0, s26
	s_abs_i32 s27, s12
	v_cvt_f32_u32_e32 v1, s27
	s_sub_i32 s20, 0, s26
	v_rcp_iflag_f32_e32 v0, v0
	s_abs_i32 s28, s3
	v_rcp_iflag_f32_e32 v1, v1
	s_sub_i32 s21, 0, s27
	v_mul_f32_e32 v0, 0x4f7ffffe, v0
	v_cvt_u32_f32_e32 v0, v0
	v_mul_f32_e32 v1, 0x4f7ffffe, v1
	v_cvt_u32_f32_e32 v1, v1
	s_abs_i32 s29, s4
	v_mul_lo_u32 v2, s20, v0
	v_mul_hi_u32 v2, v0, v2
	v_add_u32_e32 v0, v0, v2
	v_mul_hi_u32 v0, s28, v0
	v_mul_lo_u32 v3, s21, v1
	v_mul_lo_u32 v2, v0, s26
	v_mul_hi_u32 v3, v1, v3
	v_sub_u32_e32 v2, s28, v2
	v_add_u32_e32 v1, v1, v3
	v_add_u32_e32 v3, 1, v0
	v_subrev_u32_e32 v4, s26, v2
	v_cmp_le_u32_e32 vcc, s26, v2
	s_load_dwordx4 s[20:23], s[0:1], 0x0
	s_ashr_i32 s0, s3, 31
	v_cndmask_b32_e32 v0, v0, v3, vcc
	v_cndmask_b32_e32 v2, v2, v4, vcc
	s_ashr_i32 s1, s8, 31
	v_add_u32_e32 v3, 1, v0
	v_cmp_le_u32_e32 vcc, s26, v2
	s_xor_b32 s0, s0, s1
	v_mul_hi_u32 v1, s29, v1
	v_cndmask_b32_e32 v0, v0, v3, vcc
	v_xor_b32_e32 v0, s0, v0
	v_subrev_u32_e32 v2, s0, v0
	v_mul_lo_u32 v0, v1, s27
	v_sub_u32_e32 v0, s29, v0
	v_add_u32_e32 v3, 1, v1
	v_subrev_u32_e32 v4, s27, v0
	v_cmp_le_u32_e32 vcc, s27, v0
	s_ashr_i32 s8, s12, 31
	s_xor_b32 s0, s19, s8
	v_cndmask_b32_e32 v1, v1, v3, vcc
	v_cndmask_b32_e32 v0, v0, v4, vcc
	v_add_u32_e32 v3, 1, v1
	v_cmp_le_u32_e32 vcc, s27, v0
	v_mul_lo_u32 v2, v2, s9
	s_mul_hi_i32 s9, s14, s4
	v_cndmask_b32_e32 v0, v1, v3, vcc
	v_xor_b32_e32 v0, s0, v0
	s_mul_i32 s8, s14, s4
	v_subrev_u32_e32 v0, s0, v0
	s_lshl_b64 s[26:27], s[8:9], 2
	v_mul_hi_i32 v1, v0, s13
	v_mul_lo_u32 v0, v0, s13
	s_mul_i32 s0, s16, s2
	s_waitcnt lgkmcnt(0)
	s_add_u32 s8, s22, s26
	v_ashrrev_i32_e32 v3, 31, v2
	v_lshlrev_b64 v[0:1], 2, v[0:1]
	s_mul_i32 s12, s10, s3
	s_addc_u32 s9, s23, s27
	s_ashr_i32 s1, s0, 31
	v_lshl_add_u64 v[4:5], s[20:21], 0, v[0:1]
	v_lshlrev_b64 v[2:3], 2, v[2:3]
	s_lshl_b64 s[74:75], s[0:1], 2
	s_ashr_i32 s13, s12, 31
	v_lshl_add_u64 v[4:5], v[4:5], 0, v[2:3]
	s_lshl_b64 s[28:29], s[12:13], 2
	v_lshl_add_u64 v[2:3], v[2:3], 0, s[74:75]
	s_add_u32 s0, s8, s28
	s_movk_i32 s8, 0x1080
	v_mov_b32_e32 v21, 0
	v_lshlrev_b32_e32 v20, 8, v84
	v_lshl_add_u64 v[0:1], v[2:3], 0, v[0:1]
	v_lshl_add_u64 v[18:19], v[4:5], 0, s[74:75]
	s_addc_u32 s1, s9, s29
	v_mad_u32_u24 v4, v84, s8, 0
	s_ashr_i32 s9, s16, 31
	s_mov_b32 s8, s16
	s_ashr_i32 s13, s17, 31
	s_mov_b32 s12, s17
	v_lshl_add_u64 v[0:1], v[0:1], 0, v[20:21]
	v_mov_b32_e32 v17, v21
	s_add_i32 s10, s16, s16
	s_add_i32 s14, s17, s17
	s_lshl_b32 s30, s16, 2
	s_lshl_b32 s35, s16, 3
	s_lshl_b32 s43, s16, 4
	s_lshl_b32 s59, s16, 5
	s_lshl_b64 s[8:9], s[8:9], 2
	s_lshl_b64 s[12:13], s[12:13], 3
	v_lshl_add_u64 v[0:1], v[0:1], 0, v[16:17]
	v_lshlrev_b32_e32 v20, 9, v84
	v_lshrrev_b32_e32 v6, 1, v85
	s_add_u32 s22, s22, s28
	v_lshl_add_u64 v[22:23], s[20:21], 0, v[0:1]
	v_lshl_add_u64 v[0:1], s[26:27], 0, v[20:21]
	v_lshlrev_b32_e32 v20, 3, v85
	v_mul_u32_u24_e32 v5, 0x108, v87
	v_and_b32_e32 v6, 0x1f8, v6
	s_addc_u32 s23, s23, s29
	v_lshl_add_u64 v[0:1], v[0:1], 0, v[20:21]
	v_add_u32_e32 v89, v4, v16
	v_add3_u32 v90, v4, v5, v6
	s_mul_i32 s19, s16, 3
	s_mul_i32 s31, s16, 5
	;; [unrolled: 1-line block ×47, first 2 shown]
	v_lshl_add_u64 v[24:25], s[22:23], 0, v[0:1]
	s_mul_i32 s77, s16, 54
	s_mul_i32 s78, s16, 55
	v_mov_b32_e32 v12, 0
	v_mov_b32_e32 v13, v21
	;; [unrolled: 1-line block ×16, first 2 shown]
	s_mul_i32 s79, s16, 56
	s_mul_i32 s80, s16, 57
	;; [unrolled: 1-line block ×8, first 2 shown]
	s_mov_b64 s[16:17], 0
	s_mov_b64 s[20:21], 0x700
	;; [unrolled: 1-line block ×3, first 2 shown]
.LBB119_4:                              ; =>This Inner Loop Header: Depth=1
	v_add_u32_e32 v82, s10, v88
	v_add_u32_e32 v74, s19, v88
	;; [unrolled: 1-line block ×8, first 2 shown]
	v_lshl_add_u64 v[80:81], v[22:23], 0, s[8:9]
	v_add_u32_e32 v78, s30, v88
	v_add_u32_e32 v68, s33, v88
	;; [unrolled: 1-line block ×7, first 2 shown]
	v_ashrrev_i32_e32 v83, 31, v82
	v_ashrrev_i32_e32 v75, 31, v74
	;; [unrolled: 1-line block ×8, first 2 shown]
	v_add_u32_e32 v28, s44, v88
	v_add_u32_e32 v44, s45, v88
	global_load_dword v91, v[80:81], off
	v_lshl_add_u64 v[80:81], v[82:83], 2, v[18:19]
	v_ashrrev_i32_e32 v79, 31, v78
	v_lshl_add_u64 v[74:75], v[74:75], 2, v[18:19]
	v_ashrrev_i32_e32 v69, 31, v68
	;; [unrolled: 2-line block ×5, first 2 shown]
	v_lshl_add_u64 v[32:33], v[32:33], 2, v[18:19]
	v_lshl_add_u64 v[30:31], v[30:31], 2, v[18:19]
	;; [unrolled: 1-line block ×3, first 2 shown]
	v_ashrrev_i32_e32 v27, 31, v26
	v_ashrrev_i32_e32 v39, 31, v38
	v_add_u32_e32 v36, s46, v88
	v_add_u32_e32 v52, s47, v88
	global_load_dword v82, v[80:81], off
	v_lshl_add_u64 v[92:93], v[78:79], 2, v[18:19]
	global_load_dword v78, v[74:75], off
	global_load_dword v79, v[92:93], off
	v_lshl_add_u64 v[68:69], v[68:69], 2, v[18:19]
	global_load_dword v62, v[62:63], off
	s_nop 0
	global_load_dword v63, v[68:69], off
	v_lshl_add_u64 v[56:57], v[56:57], 2, v[18:19]
	global_load_dword v48, v[48:49], off
	s_nop 0
	;; [unrolled: 4-line block ×4, first 2 shown]
	global_load_dword v32, v[42:43], off
	s_nop 0
	global_load_dword v30, v[30:31], off
	s_nop 0
	global_load_dword v31, v[34:35], off
	v_lshl_add_u64 v[26:27], v[26:27], 2, v[18:19]
	v_lshl_add_u64 v[34:35], v[38:39], 2, v[18:19]
	v_ashrrev_i32_e32 v29, 31, v28
	v_ashrrev_i32_e32 v45, 31, v44
	v_add_u32_e32 v46, s48, v88
	v_add_u32_e32 v58, s49, v88
	global_load_dword v27, v[26:27], off
	s_nop 0
	global_load_dword v26, v[34:35], off
	v_lshl_add_u64 v[28:29], v[28:29], 2, v[18:19]
	v_lshl_add_u64 v[34:35], v[44:45], 2, v[18:19]
	v_ashrrev_i32_e32 v37, 31, v36
	v_ashrrev_i32_e32 v53, 31, v52
	v_add_u32_e32 v54, s50, v88
	v_add_u32_e32 v64, s51, v88
	;; [unrolled: 9-line block ×6, first 2 shown]
	global_load_dword v39, v[42:43], off
	global_load_dword v41, v[44:45], off
	v_lshl_add_u64 v[42:43], v[66:67], 2, v[18:19]
	v_lshl_add_u64 v[44:45], v[76:77], 2, v[18:19]
	v_ashrrev_i32_e32 v73, 31, v72
	v_ashrrev_i32_e32 v81, 31, v80
	v_add_u32_e32 v56, s60, v88
	v_add_u32_e32 v50, s61, v88
	global_load_dword v42, v[42:43], off
	s_nop 0
	global_load_dword v43, v[44:45], off
	v_lshl_add_u64 v[44:45], v[72:73], 2, v[18:19]
	v_lshl_add_u64 v[46:47], v[80:81], 2, v[18:19]
	v_ashrrev_i32_e32 v75, 31, v74
	v_ashrrev_i32_e32 v69, 31, v68
	v_add_u32_e32 v92, s62, v88
	v_add_u32_e32 v94, s63, v88
	global_load_dword v44, v[44:45], off
	s_nop 0
	;; [unrolled: 9-line block ×3, first 2 shown]
	global_load_dword v46, v[52:53], off
	v_lshl_add_u64 v[52:53], v[56:57], 2, v[18:19]
	v_lshl_add_u64 v[54:55], v[50:51], 2, v[18:19]
	v_ashrrev_i32_e32 v93, 31, v92
	v_ashrrev_i32_e32 v95, 31, v94
	v_add_u32_e32 v100, s66, v88
	v_add_u32_e32 v58, s67, v88
	;; [unrolled: 1-line block ×3, first 2 shown]
	global_load_dword v50, v[52:53], off
	global_load_dword v51, v[54:55], off
	v_lshl_add_u64 v[52:53], v[92:93], 2, v[18:19]
	v_lshl_add_u64 v[54:55], v[94:95], 2, v[18:19]
	v_ashrrev_i32_e32 v97, 31, v96
	v_ashrrev_i32_e32 v99, 31, v98
	v_add_u32_e32 v60, s69, v88
	v_add_u32_e32 v66, s70, v88
	;; [unrolled: 1-line block ×3, first 2 shown]
	global_load_dword v52, v[52:53], off
	s_nop 0
	global_load_dword v53, v[54:55], off
	v_lshl_add_u64 v[54:55], v[96:97], 2, v[18:19]
	v_lshl_add_u64 v[56:57], v[98:99], 2, v[18:19]
	v_ashrrev_i32_e32 v101, 31, v100
	v_ashrrev_i32_e32 v59, 31, v58
	;; [unrolled: 1-line block ×3, first 2 shown]
	v_add_u32_e32 v68, s72, v88
	v_add_u32_e32 v72, s28, v88
	global_load_dword v54, v[54:55], off
	s_nop 0
	global_load_dword v55, v[56:57], off
	v_lshl_add_u64 v[56:57], v[100:101], 2, v[18:19]
	v_lshl_add_u64 v[58:59], v[58:59], 2, v[18:19]
	v_ashrrev_i32_e32 v61, 31, v60
	v_lshl_add_u64 v[64:65], v[64:65], 2, v[18:19]
	v_ashrrev_i32_e32 v67, 31, v66
	v_ashrrev_i32_e32 v71, 31, v70
	v_add_u32_e32 v74, s29, v88
	global_load_dword v56, v[56:57], off
	s_nop 0
	global_load_dword v57, v[58:59], off
	v_add_u32_e32 v58, s74, v88
	v_lshl_add_u64 v[60:61], v[60:61], 2, v[18:19]
	global_load_dword v80, v[64:65], off
	global_load_dword v81, v[60:61], off
	v_lshl_add_u64 v[64:65], v[66:67], 2, v[18:19]
	v_lshl_add_u64 v[66:67], v[70:71], 2, v[18:19]
	v_ashrrev_i32_e32 v69, 31, v68
	v_ashrrev_i32_e32 v73, 31, v72
	v_add_u32_e32 v76, s73, v88
	v_add_u32_e32 v60, s75, v88
	global_load_dword v83, v[64:65], off
	global_load_dword v92, v[66:67], off
	v_lshl_add_u64 v[66:67], v[68:69], 2, v[18:19]
	v_lshl_add_u64 v[68:69], v[72:73], 2, v[18:19]
	v_ashrrev_i32_e32 v75, 31, v74
	v_ashrrev_i32_e32 v59, 31, v58
	v_add_u32_e32 v64, s76, v88
	global_load_dword v72, v[66:67], off
	global_load_dword v73, v[68:69], off
	v_add_u32_e32 v66, s26, v88
	v_ashrrev_i32_e32 v77, 31, v76
	v_lshl_add_u64 v[68:69], v[74:75], 2, v[18:19]
	v_ashrrev_i32_e32 v61, 31, v60
	v_lshl_add_u64 v[58:59], v[58:59], 2, v[18:19]
	v_lshl_add_u64 v[70:71], v[76:77], 2, v[18:19]
	global_load_dword v74, v[68:69], off
	global_load_dword v75, v[70:71], off
	v_add_u32_e32 v68, s27, v88
	v_lshl_add_u64 v[60:61], v[60:61], 2, v[18:19]
	global_load_dword v76, v[58:59], off
	global_load_dword v77, v[60:61], off
	v_add_u32_e32 v58, s77, v88
	v_ashrrev_i32_e32 v65, 31, v64
	v_ashrrev_i32_e32 v67, 31, v66
	v_lshl_add_u64 v[60:61], v[64:65], 2, v[18:19]
	v_lshl_add_u64 v[64:65], v[66:67], 2, v[18:19]
	v_ashrrev_i32_e32 v69, 31, v68
	v_ashrrev_i32_e32 v59, 31, v58
	global_load_dword v93, v[60:61], off
	global_load_dword v94, v[64:65], off
	v_lshl_add_u64 v[64:65], v[68:69], 2, v[18:19]
	v_lshl_add_u64 v[58:59], v[58:59], 2, v[18:19]
	v_add_u32_e32 v60, s78, v88
	global_load_dword v95, v[64:65], off
	global_load_dword v96, v[58:59], off
	v_add_u32_e32 v58, s79, v88
	v_ashrrev_i32_e32 v61, 31, v60
	v_ashrrev_i32_e32 v59, 31, v58
	v_lshl_add_u64 v[60:61], v[60:61], 2, v[18:19]
	v_lshl_add_u64 v[58:59], v[58:59], 2, v[18:19]
	global_load_dword v97, v[60:61], off
	global_load_dword v98, v[58:59], off
	v_add_u32_e32 v58, s80, v88
	v_ashrrev_i32_e32 v59, 31, v58
	v_lshl_add_u64 v[58:59], v[58:59], 2, v[18:19]
	global_load_dword v99, v[58:59], off
	v_add_u32_e32 v58, s81, v88
	v_ashrrev_i32_e32 v59, 31, v58
	v_lshl_add_u64 v[58:59], v[58:59], 2, v[18:19]
	;; [unrolled: 4-line block ×7, first 2 shown]
	global_load_dword v105, v[58:59], off
	s_nop 0
	global_load_dword v58, v[22:23], off
	s_waitcnt vmcnt(62)
	ds_write_b32 v89, v91 offset:264
	v_lshl_add_u64 v[22:23], v[22:23], 0, s[20:21]
	s_waitcnt vmcnt(0)
	ds_write_b32 v89, v58
	global_load_dwordx2 v[58:59], v[24:25], off
	s_waitcnt vmcnt(0)
	v_cvt_pk_f16_f32 v106, v58, v59
	v_lshl_add_u64 v[58:59], v[24:25], 0, s[12:13]
	global_load_dwordx2 v[58:59], v[58:59], off
	ds_write_b32 v89, v82 offset:528
	ds_write_b32 v89, v78 offset:792
	;; [unrolled: 1-line block ×8, first 2 shown]
	v_add_u32_e32 v48, s14, v88
	v_ashrrev_i32_e32 v49, 31, v48
	v_lshl_add_u64 v[48:49], v[48:49], 3, s[0:1]
	global_load_dwordx2 v[48:49], v[48:49], off
	ds_write_b32 v89, v17 offset:2640
	ds_write_b32 v89, v20 offset:2904
	;; [unrolled: 1-line block ×6, first 2 shown]
	v_add_u32_e32 v88, 0x1c0, v88
	v_cmp_le_i32_e32 vcc, s5, v88
	s_or_b64 s[16:17], vcc, s[16:17]
	v_lshl_add_u64 v[24:25], v[24:25], 0, s[22:23]
	s_waitcnt vmcnt(1)
	v_cvt_pk_f16_f32 v91, v58, v59
	s_waitcnt vmcnt(0)
	v_cvt_pk_f16_f32 v17, v48, v49
	ds_read_b64 v[30:31], v90
	ds_read_b64 v[48:49], v90 offset:32
	ds_read_b64 v[58:59], v90 offset:64
	ds_read_b64 v[60:61], v90 offset:96
	ds_read_b64 v[62:63], v90 offset:128
	ds_read_b64 v[64:65], v90 offset:160
	ds_read_b64 v[66:67], v90 offset:192
	ds_read_b64 v[68:69], v90 offset:224
	ds_write_b32 v89, v26
	ds_write_b32 v89, v28 offset:264
	ds_write_b32 v89, v29 offset:528
	ds_write_b32 v89, v33 offset:792
	ds_write_b32 v89, v34 offset:1056
	ds_write_b32 v89, v35 offset:1320
	ds_write_b32 v89, v36 offset:1584
	ds_write_b32 v89, v37 offset:1848
	ds_write_b32 v89, v38 offset:2112
	ds_write_b32 v89, v39 offset:2376
	ds_write_b32 v89, v41 offset:2640
	ds_write_b32 v89, v42 offset:2904
	ds_write_b32 v89, v43 offset:3168
	ds_write_b32 v89, v44 offset:3432
	ds_write_b32 v89, v45 offset:3696
	ds_write_b32 v89, v47 offset:3960
	ds_read_b64 v[26:27], v90
	ds_read_b64 v[28:29], v90 offset:32
	ds_read_b64 v[32:33], v90 offset:64
	ds_read_b64 v[34:35], v90 offset:96
	ds_read_b64 v[36:37], v90 offset:128
	ds_read_b64 v[38:39], v90 offset:160
	ds_read_b64 v[40:41], v90 offset:192
	ds_read_b64 v[42:43], v90 offset:224
	ds_write_b32 v89, v46
	ds_write_b32 v89, v50 offset:264
	ds_write_b32 v89, v51 offset:528
	ds_write_b32 v89, v52 offset:792
	ds_write_b32 v89, v53 offset:1056
	ds_write_b32 v89, v54 offset:1320
	ds_write_b32 v89, v55 offset:1584
	ds_write_b32 v89, v56 offset:1848
	ds_write_b32 v89, v57 offset:2112
	ds_write_b32 v89, v80 offset:2376
	ds_write_b32 v89, v81 offset:2640
	ds_write_b32 v89, v83 offset:2904
	ds_write_b32 v89, v92 offset:3168
	ds_write_b32 v89, v72 offset:3432
	ds_write_b32 v89, v73 offset:3696
	ds_write_b32 v89, v74 offset:3960
	;; [unrolled: 24-line block ×4, first 2 shown]
	ds_read_b64 v[98:99], v90
	s_waitcnt lgkmcnt(0)
	v_mfma_f32_16x16x16_f16 v[4:7], v[26:27], v[98:99], v[4:7]
	ds_read_b64 v[26:27], v90 offset:32
	v_mfma_f32_16x16x16_f16 v[8:11], v[30:31], v[98:99], v[8:11]
	v_mfma_f32_16x16x16_f16 v[0:3], v[44:45], v[98:99], v[0:3]
	;; [unrolled: 1-line block ×3, first 2 shown]
	s_waitcnt lgkmcnt(0)
	v_mfma_f32_16x16x16_f16 v[8:11], v[48:49], v[26:27], v[8:11]
	v_mfma_f32_16x16x16_f16 v[4:7], v[28:29], v[26:27], v[4:7]
	v_mfma_f32_16x16x16_f16 v[0:3], v[46:47], v[26:27], v[0:3]
	v_mfma_f32_16x16x16_f16 v[12:15], v[76:77], v[26:27], v[12:15]
	ds_read_b64 v[26:27], v90 offset:64
	s_waitcnt lgkmcnt(0)
	v_mfma_f32_16x16x16_f16 v[8:11], v[58:59], v[26:27], v[8:11]
	v_mfma_f32_16x16x16_f16 v[4:7], v[32:33], v[26:27], v[4:7]
	v_mfma_f32_16x16x16_f16 v[0:3], v[50:51], v[26:27], v[0:3]
	v_mfma_f32_16x16x16_f16 v[12:15], v[78:79], v[26:27], v[12:15]
	ds_read_b64 v[26:27], v90 offset:96
	;; [unrolled: 6-line block ×6, first 2 shown]
	s_waitcnt lgkmcnt(0)
	v_mfma_f32_16x16x16_f16 v[8:11], v[68:69], v[26:27], v[8:11]
	v_mfma_f32_16x16x16_f16 v[4:7], v[42:43], v[26:27], v[4:7]
	;; [unrolled: 1-line block ×4, first 2 shown]
	s_andn2_b64 exec, exec, s[16:17]
	s_cbranch_execnz .LBB119_4
; %bb.5:
	s_or_b64 exec, exec, s[16:17]
.LBB119_6:
	s_or_b64 exec, exec, s[24:25]
	v_lshl_add_u32 v17, v86, 2, 0
	v_mul_u32_u24_e32 v18, 0x708, v87
	v_and_b32_e32 v19, 0x3f0, v85
	v_add3_u32 v17, v17, v18, v19
	v_cmp_gt_u32_e32 vcc, 3, v84
	s_waitcnt lgkmcnt(0)
	s_barrier
	ds_write2_b32 v17, v8, v9 offset1:1
	ds_write2_b32 v17, v10, v11 offset0:2 offset1:3
	ds_write2_b32 v17, v4, v5 offset0:16 offset1:17
	;; [unrolled: 1-line block ×7, first 2 shown]
	s_waitcnt lgkmcnt(0)
	s_barrier
	s_and_saveexec_b64 s[0:1], vcc
	s_cbranch_execz .LBB119_8
; %bb.7:
	v_mul_u32_u24_e32 v0, 0x708, v84
	v_add3_u32 v6, 0, v16, v0
	ds_read2st64_b32 v[0:1], v6 offset1:1
	ds_read2st64_b32 v[2:3], v6 offset0:2 offset1:3
	ds_read2st64_b32 v[4:5], v6 offset0:4 offset1:5
	ds_read_b32 v6, v6 offset:1536
	s_mul_hi_i32 s1, s15, s4
	s_mul_i32 s0, s15, s4
	s_lshl_b64 s[0:1], s[0:1], 2
	s_waitcnt lgkmcnt(3)
	v_add_f32_e32 v0, 0, v0
	v_add_f32_e32 v0, v0, v1
	s_waitcnt lgkmcnt(2)
	v_add_f32_e32 v0, v0, v2
	s_mul_i32 s4, s11, s3
	s_add_u32 s3, s6, s0
	v_add_f32_e32 v0, v0, v3
	s_addc_u32 s6, s7, s1
	s_ashr_i32 s5, s4, 31
	s_waitcnt lgkmcnt(1)
	v_add_f32_e32 v0, v0, v4
	s_lshl_b64 s[0:1], s[4:5], 2
	v_add_f32_e32 v0, v0, v5
	s_add_u32 s0, s3, s0
	s_waitcnt lgkmcnt(0)
	v_add_f32_e32 v2, v0, v6
	v_mul_lo_u32 v0, v84, s18
	s_addc_u32 s1, s6, s1
	v_add3_u32 v0, s2, v85, v0
	v_mov_b32_e32 v1, 0
	v_lshl_add_u64 v[0:1], v[0:1], 2, s[0:1]
	global_store_dword v[0:1], v2, off
.LBB119_8:
	s_endpgm
	.section	.rodata,"a",@progbits
	.p2align	6, 0x0
	.amdhsa_kernel _ZL9mul_mat_fI7__half2Li64ELi3ELi7ELb0EEvPKT_PKfPKiPfiiiiiiiiiiiiiiii
		.amdhsa_group_segment_fixed_size 0
		.amdhsa_private_segment_fixed_size 0
		.amdhsa_kernarg_size 96
		.amdhsa_user_sgpr_count 2
		.amdhsa_user_sgpr_dispatch_ptr 0
		.amdhsa_user_sgpr_queue_ptr 0
		.amdhsa_user_sgpr_kernarg_segment_ptr 1
		.amdhsa_user_sgpr_dispatch_id 0
		.amdhsa_user_sgpr_kernarg_preload_length 0
		.amdhsa_user_sgpr_kernarg_preload_offset 0
		.amdhsa_user_sgpr_private_segment_size 0
		.amdhsa_uses_dynamic_stack 0
		.amdhsa_enable_private_segment 0
		.amdhsa_system_sgpr_workgroup_id_x 1
		.amdhsa_system_sgpr_workgroup_id_y 1
		.amdhsa_system_sgpr_workgroup_id_z 1
		.amdhsa_system_sgpr_workgroup_info 0
		.amdhsa_system_vgpr_workitem_id 1
		.amdhsa_next_free_vgpr 107
		.amdhsa_next_free_sgpr 87
		.amdhsa_accum_offset 108
		.amdhsa_reserve_vcc 1
		.amdhsa_float_round_mode_32 0
		.amdhsa_float_round_mode_16_64 0
		.amdhsa_float_denorm_mode_32 3
		.amdhsa_float_denorm_mode_16_64 3
		.amdhsa_dx10_clamp 1
		.amdhsa_ieee_mode 1
		.amdhsa_fp16_overflow 0
		.amdhsa_tg_split 0
		.amdhsa_exception_fp_ieee_invalid_op 0
		.amdhsa_exception_fp_denorm_src 0
		.amdhsa_exception_fp_ieee_div_zero 0
		.amdhsa_exception_fp_ieee_overflow 0
		.amdhsa_exception_fp_ieee_underflow 0
		.amdhsa_exception_fp_ieee_inexact 0
		.amdhsa_exception_int_div_zero 0
	.end_amdhsa_kernel
	.section	.text._ZL9mul_mat_fI7__half2Li64ELi3ELi7ELb0EEvPKT_PKfPKiPfiiiiiiiiiiiiiiii,"axG",@progbits,_ZL9mul_mat_fI7__half2Li64ELi3ELi7ELb0EEvPKT_PKfPKiPfiiiiiiiiiiiiiiii,comdat
.Lfunc_end119:
	.size	_ZL9mul_mat_fI7__half2Li64ELi3ELi7ELb0EEvPKT_PKfPKiPfiiiiiiiiiiiiiiii, .Lfunc_end119-_ZL9mul_mat_fI7__half2Li64ELi3ELi7ELb0EEvPKT_PKfPKiPfiiiiiiiiiiiiiiii
                                        ; -- End function
	.set _ZL9mul_mat_fI7__half2Li64ELi3ELi7ELb0EEvPKT_PKfPKiPfiiiiiiiiiiiiiiii.num_vgpr, 107
	.set _ZL9mul_mat_fI7__half2Li64ELi3ELi7ELb0EEvPKT_PKfPKiPfiiiiiiiiiiiiiiii.num_agpr, 0
	.set _ZL9mul_mat_fI7__half2Li64ELi3ELi7ELb0EEvPKT_PKfPKiPfiiiiiiiiiiiiiiii.numbered_sgpr, 87
	.set _ZL9mul_mat_fI7__half2Li64ELi3ELi7ELb0EEvPKT_PKfPKiPfiiiiiiiiiiiiiiii.num_named_barrier, 0
	.set _ZL9mul_mat_fI7__half2Li64ELi3ELi7ELb0EEvPKT_PKfPKiPfiiiiiiiiiiiiiiii.private_seg_size, 0
	.set _ZL9mul_mat_fI7__half2Li64ELi3ELi7ELb0EEvPKT_PKfPKiPfiiiiiiiiiiiiiiii.uses_vcc, 1
	.set _ZL9mul_mat_fI7__half2Li64ELi3ELi7ELb0EEvPKT_PKfPKiPfiiiiiiiiiiiiiiii.uses_flat_scratch, 0
	.set _ZL9mul_mat_fI7__half2Li64ELi3ELi7ELb0EEvPKT_PKfPKiPfiiiiiiiiiiiiiiii.has_dyn_sized_stack, 0
	.set _ZL9mul_mat_fI7__half2Li64ELi3ELi7ELb0EEvPKT_PKfPKiPfiiiiiiiiiiiiiiii.has_recursion, 0
	.set _ZL9mul_mat_fI7__half2Li64ELi3ELi7ELb0EEvPKT_PKfPKiPfiiiiiiiiiiiiiiii.has_indirect_call, 0
	.section	.AMDGPU.csdata,"",@progbits
; Kernel info:
; codeLenInByte = 4312
; TotalNumSgprs: 93
; NumVgprs: 107
; NumAgprs: 0
; TotalNumVgprs: 107
; ScratchSize: 0
; MemoryBound: 0
; FloatMode: 240
; IeeeMode: 1
; LDSByteSize: 0 bytes/workgroup (compile time only)
; SGPRBlocks: 11
; VGPRBlocks: 13
; NumSGPRsForWavesPerEU: 93
; NumVGPRsForWavesPerEU: 107
; AccumOffset: 108
; Occupancy: 4
; WaveLimiterHint : 0
; COMPUTE_PGM_RSRC2:SCRATCH_EN: 0
; COMPUTE_PGM_RSRC2:USER_SGPR: 2
; COMPUTE_PGM_RSRC2:TRAP_HANDLER: 0
; COMPUTE_PGM_RSRC2:TGID_X_EN: 1
; COMPUTE_PGM_RSRC2:TGID_Y_EN: 1
; COMPUTE_PGM_RSRC2:TGID_Z_EN: 1
; COMPUTE_PGM_RSRC2:TIDIG_COMP_CNT: 1
; COMPUTE_PGM_RSRC3_GFX90A:ACCUM_OFFSET: 26
; COMPUTE_PGM_RSRC3_GFX90A:TG_SPLIT: 0
	.section	.text._ZL13mul_mat_f_idsI7__half2Li64ELi3ELi8EEvPKT_PKfPKiS7_S7_Pfiiiiiiiiiiiiii15HIP_vector_typeIjLj3EESA_,"axG",@progbits,_ZL13mul_mat_f_idsI7__half2Li64ELi3ELi8EEvPKT_PKfPKiS7_S7_Pfiiiiiiiiiiiiii15HIP_vector_typeIjLj3EESA_,comdat
	.globl	_ZL13mul_mat_f_idsI7__half2Li64ELi3ELi8EEvPKT_PKfPKiS7_S7_Pfiiiiiiiiiiiiii15HIP_vector_typeIjLj3EESA_ ; -- Begin function _ZL13mul_mat_f_idsI7__half2Li64ELi3ELi8EEvPKT_PKfPKiS7_S7_Pfiiiiiiiiiiiiii15HIP_vector_typeIjLj3EESA_
	.p2align	8
	.type	_ZL13mul_mat_f_idsI7__half2Li64ELi3ELi8EEvPKT_PKfPKiS7_S7_Pfiiiiiiiiiiiiii15HIP_vector_typeIjLj3EESA_,@function
_ZL13mul_mat_f_idsI7__half2Li64ELi3ELi8EEvPKT_PKfPKiS7_S7_Pfiiiiiiiiiiiiii15HIP_vector_typeIjLj3EESA_: ; @_ZL13mul_mat_f_idsI7__half2Li64ELi3ELi8EEvPKT_PKfPKiS7_S7_Pfiiiiiiiiiiiiii15HIP_vector_typeIjLj3EESA_
; %bb.0:
	s_load_dwordx2 s[6:7], s[0:1], 0x20
	s_mov_b32 s34, s3
	s_ashr_i32 s35, s3, 31
	s_lshl_b64 s[8:9], s[34:35], 2
	s_waitcnt lgkmcnt(0)
	s_add_u32 s6, s6, s8
	s_addc_u32 s7, s7, s9
	s_load_dwordx2 s[26:27], s[6:7], 0x0
	s_waitcnt lgkmcnt(0)
	s_sub_i32 s33, s27, s26
	s_add_i32 s3, s33, 2
	s_mul_hi_i32 s3, s3, 0x55555556
	s_lshr_b32 s5, s3, 31
	s_add_i32 s3, s3, s5
	s_cmp_ge_i32 s4, s3
	s_cbranch_scc1 .LBB120_20
; %bb.1:
	v_bfe_u32 v85, v0, 10, 10
	v_lshlrev_b32_e32 v86, 6, v85
	v_and_b32_e32 v84, 0x3ff, v0
	s_load_dwordx4 s[12:15], s[0:1], 0x30
	s_load_dwordx2 s[20:21], s[0:1], 0x40
	s_load_dwordx4 s[8:11], s[0:1], 0x4c
	s_load_dwordx4 s[16:19], s[0:1], 0x68
	s_load_dwordx2 s[24:25], s[0:1], 0x78
	v_add_u32_e32 v88, v86, v84
	s_ashr_i32 s27, s26, 31
	s_waitcnt lgkmcnt(0)
	v_cmp_le_i32_e32 vcc, s12, v88
	v_and_b32_e32 v87, 15, v84
	s_and_saveexec_b64 s[6:7], vcc
	s_xor_b64 s[6:7], exec, s[6:7]
; %bb.2:
	v_and_b32_e32 v87, 15, v84
                                        ; implicit-def: $vgpr88
; %bb.3:
	s_or_saveexec_b64 s[30:31], s[6:7]
	s_load_dwordx2 s[6:7], s[0:1], 0x18
                                        ; implicit-def: $vgpr101 : SGPR spill to VGPR lane
	v_mov_b32_e32 v15, 0
	s_lshl_b32 s11, s2, 6
	s_mul_i32 s2, s4, 3
	v_mov_b32_e32 v14, v15
	s_waitcnt lgkmcnt(0)
	v_writelane_b32 v101, s6, 0
	v_mov_b32_e32 v13, v15
	v_mov_b32_e32 v12, v15
	v_writelane_b32 v101, s7, 1
	s_load_dwordx2 s[6:7], s[0:1], 0x28
	v_mov_b32_e32 v7, v15
	v_mov_b32_e32 v6, v15
	;; [unrolled: 1-line block ×4, first 2 shown]
	s_waitcnt lgkmcnt(0)
	v_writelane_b32 v101, s6, 2
	v_mov_b32_e32 v3, v15
	v_mov_b32_e32 v2, v15
	;; [unrolled: 1-line block ×8, first 2 shown]
	v_writelane_b32 v101, s7, 3
	s_xor_b64 exec, exec, s[30:31]
	s_cbranch_execz .LBB120_16
; %bb.4:
	s_load_dwordx4 s[4:7], s[0:1], 0x0
	s_load_dwordx2 s[22:23], s[0:1], 0x10
	s_mul_i32 s0, s8, s34
	s_ashr_i32 s1, s0, 31
	v_writelane_b32 v101, s24, 4
	s_lshl_b64 s[44:45], s[0:1], 2
	s_waitcnt lgkmcnt(0)
	s_add_u32 s0, s4, s44
	v_writelane_b32 v101, s25, 5
	s_mul_i32 s24, s15, s11
	s_addc_u32 s1, s5, s45
	s_ashr_i32 s25, s24, 31
	s_lshl_b64 s[46:47], s[24:25], 2
	s_add_u32 s0, s0, s46
	s_addc_u32 s1, s1, s47
	s_lshl_b64 s[24:25], s[26:27], 2
	s_add_u32 s8, s22, s24
	s_addc_u32 s24, s23, s25
	s_movk_i32 s3, 0x1080
	s_cmp_lt_i32 s2, s33
	v_mad_u32_u24 v1, v85, s3, 0
	s_cselect_b64 s[34:35], -1, 0
	s_ashr_i32 s3, s2, 31
	s_lshl_b64 s[22:23], s[2:3], 2
	s_add_u32 s36, s8, s22
	s_addc_u32 s37, s24, s23
	s_add_i32 s3, s2, 1
	s_cmp_lt_i32 s3, s33
	s_cselect_b64 s[38:39], -1, 0
	s_add_i32 s3, s2, 2
	s_cmp_lt_i32 s3, s33
	s_cselect_b64 s[40:41], -1, 0
	s_ashr_i32 s23, s15, 31
	s_mov_b32 s22, s15
	s_add_i32 s3, s15, s15
	s_lshl_b32 s48, s15, 2
	s_lshl_b32 s52, s15, 3
	;; [unrolled: 1-line block ×4, first 2 shown]
	s_lshl_b64 s[42:43], s[22:23], 2
	v_lshrrev_b32_e32 v3, 1, v84
	s_add_u32 s22, s44, s46
	v_mov_b32_e32 v17, 0
	v_lshlrev_b32_e32 v0, 2, v84
	v_mul_u32_u24_e32 v2, 0x108, v87
	v_and_b32_e32 v3, 0x1f8, v3
	s_addc_u32 s23, s45, s47
	v_lshlrev_b32_e32 v16, 8, v85
	v_add_u32_e32 v89, v1, v0
	v_add3_u32 v90, v1, v2, v3
	v_lshl_add_u64 v[2:3], s[22:23], 0, v[16:17]
	v_mov_b32_e32 v1, v17
	v_lshl_add_u64 v[0:1], v[2:3], 0, v[0:1]
	s_mul_i32 s8, s15, 3
	s_mul_i32 s49, s15, 5
	s_mul_i32 s50, s15, 6
	s_mul_i32 s51, s15, 7
	s_mul_i32 s53, s15, 9
	s_mul_i32 s54, s15, 10
	s_mul_i32 s55, s15, 11
	s_mul_i32 s56, s15, 12
	s_mul_i32 s57, s15, 13
	s_mul_i32 s58, s15, 14
	s_mul_i32 s59, s15, 15
	s_mul_i32 s61, s15, 17
	s_mul_i32 s62, s15, 18
	s_mul_i32 s63, s15, 19
	s_mul_i32 s64, s15, 20
	s_mul_i32 s65, s15, 21
	s_mul_i32 s66, s15, 22
	s_mul_i32 s67, s15, 23
	s_mul_i32 s68, s15, 24
	s_mul_i32 s69, s15, 25
	s_mul_i32 s70, s15, 26
	s_mul_i32 s71, s15, 27
	s_mul_i32 s72, s15, 28
	s_mul_i32 s73, s15, 29
	s_mul_i32 s74, s15, 30
	s_mul_i32 s75, s15, 31
	s_mul_i32 s77, s15, 33
	s_mul_i32 s78, s15, 34
	s_mul_i32 s79, s15, 35
	s_mul_i32 s80, s15, 36
	s_mul_i32 s81, s15, 37
	s_mul_i32 s82, s15, 38
	s_mul_i32 s83, s15, 39
	s_mul_i32 s84, s15, 40
	s_mul_i32 s85, s15, 41
	s_mul_i32 s44, s15, 42
	s_mul_i32 s45, s15, 43
	s_mul_i32 s46, s15, 44
	s_mul_i32 s47, s15, 45
	s_mul_i32 s86, s15, 46
	s_mul_i32 s87, s15, 47
	s_mul_i32 s88, s15, 48
	s_mul_i32 s89, s15, 49
	v_lshl_add_u64 v[18:19], s[4:5], 0, v[0:1]
	v_mov_b32_e32 v8, 0
	v_mov_b32_e32 v9, v17
	v_mov_b32_e32 v10, v17
	v_mov_b32_e32 v11, v17
	v_mov_b32_e32 v0, 0
	v_mov_b32_e32 v1, v17
	v_mov_b32_e32 v2, v17
	v_mov_b32_e32 v3, v17
	v_mov_b32_e32 v4, 0
	v_mov_b32_e32 v5, v17
	v_mov_b32_e32 v6, v17
	v_mov_b32_e32 v7, v17
	v_mov_b32_e32 v12, 0
	v_mov_b32_e32 v13, v17
	v_mov_b32_e32 v14, v17
	v_mov_b32_e32 v15, v17
	s_mul_i32 s90, s15, 50
	s_mul_i32 s91, s15, 51
	;; [unrolled: 1-line block ×14, first 2 shown]
	s_mov_b32 s23, 0x5040100
	s_mov_b64 s[4:5], 0
	s_branch .LBB120_6
.LBB120_5:                              ;   in Loop: Header=BB120_6 Depth=1
	v_perm_b32 v16, v16, v91, s23
	v_perm_b32 v91, v93, v94, s23
	ds_write2_b32 v89, v16, v91 offset1:66
	v_perm_b32 v16, v95, v92, s23
	ds_write2_b32 v89, v16, v17 offset0:132 offset1:198
	v_add_u32_e32 v16, 0x400, v89
	ds_write2_b32 v16, v17, v17 offset0:8 offset1:74
	ds_write2_b32 v16, v17, v17 offset0:140 offset1:206
	v_add_u32_e32 v16, 0x800, v89
	ds_write2_b32 v16, v17, v17 offset0:16 offset1:82
	;; [unrolled: 3-line block ×3, first 2 shown]
	ds_write2_b32 v16, v17, v17 offset0:156 offset1:222
	ds_read2_b64 v[92:95], v90 offset1:4
	s_waitcnt lgkmcnt(0)
	v_mfma_f32_16x16x16_f16 v[0:3], v[52:53], v[92:93], v[0:3]
	v_add_u32_e32 v88, 0x200, v88
	s_mov_b64 vcc, 0x800
	v_lshl_add_u64 v[18:19], v[18:19], 0, vcc
	v_mfma_f32_16x16x16_f16 v[8:11], v[36:37], v[92:93], v[8:11]
	v_cmp_le_i32_e32 vcc, s12, v88
	s_or_b64 s[4:5], vcc, s[4:5]
	v_mfma_f32_16x16x16_f16 v[4:7], v[68:69], v[92:93], v[4:7]
	v_mfma_f32_16x16x16_f16 v[12:15], v[82:83], v[92:93], v[12:15]
	v_mfma_f32_16x16x16_f16 v[0:3], v[50:51], v[94:95], v[0:3]
	ds_read2_b64 v[50:53], v90 offset0:8 offset1:12
	v_mfma_f32_16x16x16_f16 v[8:11], v[32:33], v[94:95], v[8:11]
	v_mfma_f32_16x16x16_f16 v[4:7], v[66:67], v[94:95], v[4:7]
	v_mfma_f32_16x16x16_f16 v[12:15], v[80:81], v[94:95], v[12:15]
	s_waitcnt lgkmcnt(0)
	v_mfma_f32_16x16x16_f16 v[8:11], v[30:31], v[50:51], v[8:11]
	v_mfma_f32_16x16x16_f16 v[0:3], v[46:47], v[50:51], v[0:3]
	v_mfma_f32_16x16x16_f16 v[4:7], v[64:65], v[50:51], v[4:7]
	v_mfma_f32_16x16x16_f16 v[12:15], v[76:77], v[50:51], v[12:15]
	v_mfma_f32_16x16x16_f16 v[8:11], v[28:29], v[52:53], v[8:11]
	ds_read2_b64 v[28:31], v90 offset0:16 offset1:20
	v_mfma_f32_16x16x16_f16 v[0:3], v[44:45], v[52:53], v[0:3]
	v_mfma_f32_16x16x16_f16 v[4:7], v[62:63], v[52:53], v[4:7]
	v_mfma_f32_16x16x16_f16 v[12:15], v[72:73], v[52:53], v[12:15]
	s_waitcnt lgkmcnt(0)
	v_mfma_f32_16x16x16_f16 v[8:11], v[26:27], v[28:29], v[8:11]
	v_mfma_f32_16x16x16_f16 v[0:3], v[42:43], v[28:29], v[0:3]
	;; [unrolled: 10-line block ×3, first 2 shown]
	v_mfma_f32_16x16x16_f16 v[4:7], v[54:55], v[24:25], v[4:7]
	v_mfma_f32_16x16x16_f16 v[12:15], v[70:71], v[24:25], v[12:15]
	;; [unrolled: 1-line block ×6, first 2 shown]
	s_andn2_b64 exec, exec, s[4:5]
	s_cbranch_execz .LBB120_15
.LBB120_6:                              ; =>This Inner Loop Header: Depth=1
	v_lshl_add_u64 v[20:21], v[18:19], 0, s[42:43]
	global_load_dword v16, v[18:19], off
	global_load_dword v46, v[20:21], off
	v_add_u32_e32 v20, s3, v88
	v_ashrrev_i32_e32 v21, 31, v20
	v_add_u32_e32 v22, s8, v88
	v_add_u32_e32 v24, s48, v88
	;; [unrolled: 1-line block ×5, first 2 shown]
	v_lshl_add_u64 v[20:21], v[20:21], 2, s[0:1]
	v_ashrrev_i32_e32 v23, 31, v22
	v_ashrrev_i32_e32 v25, 31, v24
	;; [unrolled: 1-line block ×5, first 2 shown]
	v_lshl_add_u64 v[22:23], v[22:23], 2, s[0:1]
	v_lshl_add_u64 v[24:25], v[24:25], 2, s[0:1]
	;; [unrolled: 1-line block ×5, first 2 shown]
	global_load_dword v47, v[20:21], off
	global_load_dword v48, v[22:23], off
	;; [unrolled: 1-line block ×6, first 2 shown]
	v_add_u32_e32 v20, s52, v88
	v_add_u32_e32 v38, s61, v88
	;; [unrolled: 1-line block ×10, first 2 shown]
	v_ashrrev_i32_e32 v21, 31, v20
	v_ashrrev_i32_e32 v39, 31, v38
	v_ashrrev_i32_e32 v23, 31, v22
	v_ashrrev_i32_e32 v25, 31, v24
	v_ashrrev_i32_e32 v27, 31, v26
	v_ashrrev_i32_e32 v29, 31, v28
	v_ashrrev_i32_e32 v31, 31, v30
	v_ashrrev_i32_e32 v33, 31, v32
	v_ashrrev_i32_e32 v35, 31, v34
	v_ashrrev_i32_e32 v37, 31, v36
	v_lshl_add_u64 v[20:21], v[20:21], 2, s[0:1]
	v_lshl_add_u64 v[38:39], v[38:39], 2, s[0:1]
	v_add_u32_e32 v40, s62, v88
	v_add_u32_e32 v42, s63, v88
	;; [unrolled: 1-line block ×3, first 2 shown]
	v_lshl_add_u64 v[22:23], v[22:23], 2, s[0:1]
	v_lshl_add_u64 v[24:25], v[24:25], 2, s[0:1]
	;; [unrolled: 1-line block ×8, first 2 shown]
	global_load_dword v53, v[20:21], off
	global_load_dword v54, v[22:23], off
	;; [unrolled: 1-line block ×9, first 2 shown]
	s_nop 0
	global_load_dword v38, v[38:39], off
	v_add_u32_e32 v20, s65, v88
	v_ashrrev_i32_e32 v41, 31, v40
	v_ashrrev_i32_e32 v43, 31, v42
	;; [unrolled: 1-line block ×4, first 2 shown]
	v_add_u32_e32 v22, s66, v88
	v_add_u32_e32 v24, s67, v88
	;; [unrolled: 1-line block ×4, first 2 shown]
	v_lshl_add_u64 v[40:41], v[40:41], 2, s[0:1]
	v_lshl_add_u64 v[42:43], v[42:43], 2, s[0:1]
	;; [unrolled: 1-line block ×4, first 2 shown]
	v_ashrrev_i32_e32 v23, 31, v22
	v_ashrrev_i32_e32 v25, 31, v24
	;; [unrolled: 1-line block ×4, first 2 shown]
	v_lshl_add_u64 v[22:23], v[22:23], 2, s[0:1]
	v_lshl_add_u64 v[24:25], v[24:25], 2, s[0:1]
	;; [unrolled: 1-line block ×4, first 2 shown]
	v_add_u32_e32 v30, s75, v88
	v_add_u32_e32 v32, s76, v88
	;; [unrolled: 1-line block ×3, first 2 shown]
	v_ashrrev_i32_e32 v31, 31, v30
	v_ashrrev_i32_e32 v33, 31, v32
	;; [unrolled: 1-line block ×3, first 2 shown]
	v_lshl_add_u64 v[30:31], v[30:31], 2, s[0:1]
	s_waitcnt vmcnt(17)
	ds_write_b32 v89, v16
	s_waitcnt vmcnt(16)
	ds_write_b32 v89, v46 offset:264
	s_waitcnt vmcnt(15)
	ds_write_b32 v89, v47 offset:528
	;; [unrolled: 2-line block ×7, first 2 shown]
	global_load_dword v16, v[40:41], off
	global_load_dword v39, v[42:43], off
	s_nop 0
	global_load_dword v40, v[44:45], off
	global_load_dword v41, v[20:21], off
	;; [unrolled: 1-line block ×4, first 2 shown]
	s_nop 0
	global_load_dword v44, v[26:27], off
	global_load_dword v45, v[28:29], off
	v_add_u32_e32 v20, s70, v88
	v_ashrrev_i32_e32 v21, 31, v20
	v_add_u32_e32 v22, s71, v88
	v_add_u32_e32 v24, s72, v88
	;; [unrolled: 1-line block ×4, first 2 shown]
	v_lshl_add_u64 v[20:21], v[20:21], 2, s[0:1]
	v_ashrrev_i32_e32 v23, 31, v22
	v_ashrrev_i32_e32 v25, 31, v24
	;; [unrolled: 1-line block ×4, first 2 shown]
	v_lshl_add_u64 v[22:23], v[22:23], 2, s[0:1]
	v_lshl_add_u64 v[24:25], v[24:25], 2, s[0:1]
	v_lshl_add_u64 v[26:27], v[26:27], 2, s[0:1]
	v_lshl_add_u64 v[28:29], v[28:29], 2, s[0:1]
	v_lshl_add_u64 v[32:33], v[32:33], 2, s[0:1]
	v_lshl_add_u64 v[34:35], v[34:35], 2, s[0:1]
	global_load_dword v46, v[20:21], off
	global_load_dword v47, v[22:23], off
	global_load_dword v48, v[24:25], off
	global_load_dword v49, v[26:27], off
	global_load_dword v50, v[28:29], off
	global_load_dword v51, v[30:31], off
	global_load_dword v62, v[32:33], off
	global_load_dword v63, v[34:35], off
	v_add_u32_e32 v20, s78, v88
	v_ashrrev_i32_e32 v21, 31, v20
	v_add_u32_e32 v22, s79, v88
	v_add_u32_e32 v24, s80, v88
	v_add_u32_e32 v26, s81, v88
	v_add_u32_e32 v28, s82, v88
	v_add_u32_e32 v30, s83, v88
	v_add_u32_e32 v32, s84, v88
	v_add_u32_e32 v34, s85, v88
	v_lshl_add_u64 v[20:21], v[20:21], 2, s[0:1]
	v_ashrrev_i32_e32 v23, 31, v22
	v_ashrrev_i32_e32 v25, 31, v24
	v_ashrrev_i32_e32 v27, 31, v26
	v_ashrrev_i32_e32 v29, 31, v28
	v_ashrrev_i32_e32 v31, 31, v30
	v_ashrrev_i32_e32 v33, 31, v32
	v_ashrrev_i32_e32 v35, 31, v34
	v_lshl_add_u64 v[22:23], v[22:23], 2, s[0:1]
	v_lshl_add_u64 v[24:25], v[24:25], 2, s[0:1]
	v_lshl_add_u64 v[26:27], v[26:27], 2, s[0:1]
	v_lshl_add_u64 v[28:29], v[28:29], 2, s[0:1]
	v_lshl_add_u64 v[30:31], v[30:31], 2, s[0:1]
	v_lshl_add_u64 v[32:33], v[32:33], 2, s[0:1]
	v_lshl_add_u64 v[34:35], v[34:35], 2, s[0:1]
	global_load_dword v64, v[20:21], off
	global_load_dword v65, v[22:23], off
	global_load_dword v66, v[24:25], off
	global_load_dword v67, v[26:27], off
	global_load_dword v68, v[28:29], off
	global_load_dword v69, v[30:31], off
	global_load_dword v70, v[32:33], off
	global_load_dword v71, v[34:35], off
	v_add_u32_e32 v20, s44, v88
	v_ashrrev_i32_e32 v21, 31, v20
	v_add_u32_e32 v22, s45, v88
	v_add_u32_e32 v24, s46, v88
	v_add_u32_e32 v26, s47, v88
	v_add_u32_e32 v28, s86, v88
	v_add_u32_e32 v30, s87, v88
	v_add_u32_e32 v32, s88, v88
	v_add_u32_e32 v34, s89, v88
	v_lshl_add_u64 v[20:21], v[20:21], 2, s[0:1]
	v_ashrrev_i32_e32 v23, 31, v22
	v_ashrrev_i32_e32 v25, 31, v24
	v_ashrrev_i32_e32 v27, 31, v26
	v_ashrrev_i32_e32 v29, 31, v28
	v_ashrrev_i32_e32 v31, 31, v30
	v_ashrrev_i32_e32 v33, 31, v32
	v_ashrrev_i32_e32 v35, 31, v34
	v_lshl_add_u64 v[22:23], v[22:23], 2, s[0:1]
	;; [unrolled: 32-line block ×3, first 2 shown]
	v_lshl_add_u64 v[24:25], v[24:25], 2, s[0:1]
	v_lshl_add_u64 v[26:27], v[26:27], 2, s[0:1]
	;; [unrolled: 1-line block ×6, first 2 shown]
	global_load_dword v80, v[20:21], off
	global_load_dword v81, v[22:23], off
	;; [unrolled: 1-line block ×8, first 2 shown]
	v_add_u32_e32 v20, s98, v88
	v_ashrrev_i32_e32 v21, 31, v20
	v_add_u32_e32 v22, s99, v88
	v_add_u32_e32 v24, s24, v88
	v_add_u32_e32 v26, s25, v88
	v_add_u32_e32 v28, s22, v88
	v_add_u32_e32 v30, s15, v88
	v_lshl_add_u64 v[20:21], v[20:21], 2, s[0:1]
	v_ashrrev_i32_e32 v23, 31, v22
	v_ashrrev_i32_e32 v25, 31, v24
	;; [unrolled: 1-line block ×5, first 2 shown]
	v_lshl_add_u64 v[22:23], v[22:23], 2, s[0:1]
	v_lshl_add_u64 v[24:25], v[24:25], 2, s[0:1]
	;; [unrolled: 1-line block ×5, first 2 shown]
	global_load_dword v95, v[20:21], off
	global_load_dword v96, v[22:23], off
	;; [unrolled: 1-line block ×6, first 2 shown]
	s_waitcnt vmcnt(55)
	ds_write_b32 v89, v53 offset:2112
	s_waitcnt vmcnt(54)
	ds_write_b32 v89, v54 offset:2376
	s_waitcnt vmcnt(53)
	ds_write_b32 v89, v55 offset:2640
	s_waitcnt vmcnt(52)
	ds_write_b32 v89, v56 offset:2904
	s_waitcnt vmcnt(51)
	ds_write_b32 v89, v57 offset:3168
	s_waitcnt vmcnt(50)
	ds_write_b32 v89, v58 offset:3432
	s_waitcnt vmcnt(49)
	ds_write_b32 v89, v59 offset:3696
	s_waitcnt vmcnt(48)
	ds_write_b32 v89, v60 offset:3960
	ds_read_b64 v[36:37], v90
	ds_read_b64 v[32:33], v90 offset:32
	ds_read_b64 v[30:31], v90 offset:64
	ds_read_b64 v[28:29], v90 offset:96
	ds_read_b64 v[26:27], v90 offset:128
	ds_read_b64 v[24:25], v90 offset:160
	ds_read_b64 v[22:23], v90 offset:192
	ds_read_b64 v[20:21], v90 offset:224
	s_waitcnt vmcnt(47)
	ds_write_b32 v89, v61
	s_waitcnt vmcnt(46)
	ds_write_b32 v89, v38 offset:264
	s_waitcnt vmcnt(45)
	ds_write_b32 v89, v16 offset:528
	s_waitcnt vmcnt(44)
	ds_write_b32 v89, v39 offset:792
	s_waitcnt vmcnt(43)
	ds_write_b32 v89, v40 offset:1056
	s_waitcnt vmcnt(42)
	ds_write_b32 v89, v41 offset:1320
	s_waitcnt vmcnt(41)
	ds_write_b32 v89, v42 offset:1584
	s_waitcnt vmcnt(40)
	ds_write_b32 v89, v43 offset:1848
	s_waitcnt vmcnt(39)
	ds_write_b32 v89, v44 offset:2112
	s_waitcnt vmcnt(38)
	ds_write_b32 v89, v45 offset:2376
	s_waitcnt vmcnt(37)
	ds_write_b32 v89, v46 offset:2640
	s_waitcnt vmcnt(36)
	ds_write_b32 v89, v47 offset:2904
	s_waitcnt vmcnt(35)
	ds_write_b32 v89, v48 offset:3168
	s_waitcnt vmcnt(34)
	ds_write_b32 v89, v49 offset:3432
	s_waitcnt vmcnt(33)
	ds_write_b32 v89, v50 offset:3696
	s_waitcnt vmcnt(32)
	ds_write_b32 v89, v51 offset:3960
	ds_read_b64 v[52:53], v90
	ds_read_b64 v[50:51], v90 offset:32
	ds_read_b64 v[46:47], v90 offset:64
	ds_read_b64 v[44:45], v90 offset:96
	ds_read_b64 v[42:43], v90 offset:128
	ds_read_b64 v[40:41], v90 offset:160
	ds_read_b64 v[38:39], v90 offset:192
	ds_read_b64 v[34:35], v90 offset:224
	s_waitcnt vmcnt(31)
	ds_write_b32 v89, v62
	s_waitcnt vmcnt(30)
	ds_write_b32 v89, v63 offset:264
	s_waitcnt vmcnt(29)
	ds_write_b32 v89, v64 offset:528
	s_waitcnt vmcnt(28)
	ds_write_b32 v89, v65 offset:792
	s_waitcnt vmcnt(27)
	ds_write_b32 v89, v66 offset:1056
	s_waitcnt vmcnt(26)
	ds_write_b32 v89, v67 offset:1320
	s_waitcnt vmcnt(25)
	ds_write_b32 v89, v68 offset:1584
	s_waitcnt vmcnt(24)
	ds_write_b32 v89, v69 offset:1848
	;; [unrolled: 40-line block ×3, first 2 shown]
	s_waitcnt vmcnt(7)
	ds_write_b32 v89, v93 offset:2112
	s_waitcnt vmcnt(6)
	ds_write_b32 v89, v94 offset:2376
	s_waitcnt vmcnt(5)
	ds_write_b32 v89, v95 offset:2640
	s_waitcnt vmcnt(4)
	ds_write_b32 v89, v96 offset:2904
	s_waitcnt vmcnt(3)
	ds_write_b32 v89, v97 offset:3168
	s_waitcnt vmcnt(2)
	ds_write_b32 v89, v98 offset:3432
	s_waitcnt vmcnt(1)
	ds_write_b32 v89, v99 offset:3696
	s_waitcnt vmcnt(0)
	ds_write_b32 v89, v100 offset:3960
	ds_read_b64 v[82:83], v90
	ds_read_b64 v[80:81], v90 offset:32
	ds_read_b64 v[76:77], v90 offset:64
	ds_read_b64 v[72:73], v90 offset:96
	ds_read_b64 v[78:79], v90 offset:128
	ds_read_b64 v[74:75], v90 offset:160
	ds_read_b64 v[70:71], v90 offset:192
	ds_read_b64 v[58:59], v90 offset:224
	s_andn2_b64 vcc, exec, s[34:35]
	v_mov_b32_e32 v91, 0
	v_mov_b32_e32 v16, 0
	s_cbranch_vccnz .LBB120_9
; %bb.7:                                ;   in Loop: Header=BB120_6 Depth=1
	s_load_dword vcc_lo, s[36:37], 0x0
	v_mov_b32_e32 v16, 0
	v_mov_b32_e32 v91, 0
	s_waitcnt lgkmcnt(0)
	s_mul_hi_u32 vcc_hi, vcc_lo, s16
	s_add_i32 vcc_hi, vcc_lo, vcc_hi
	s_lshr_b32 s28, vcc_hi, s17
	s_cmp_ge_i32 s28, s13
	s_cbranch_scc1 .LBB120_9
; %bb.8:                                ;   in Loop: Header=BB120_6 Depth=1
	s_mul_i32 vcc_hi, s28, s18
	s_sub_i32 s29, vcc_lo, vcc_hi
	s_mul_i32 s28, s28, s20
	s_mul_i32 s29, s29, s9
	v_add_u32_e32 v16, s28, v88
	v_lshl_add_u32 v92, v16, 1, s29
	v_ashrrev_i32_e32 v93, 31, v92
	v_lshl_add_u64 v[92:93], v[92:93], 2, s[6:7]
	global_load_dwordx2 v[92:93], v[92:93], off
	s_waitcnt vmcnt(0)
	v_cvt_f16_f32_e32 v91, v92
	v_cvt_f16_f32_e32 v16, v93
.LBB120_9:                              ;   in Loop: Header=BB120_6 Depth=1
	v_mov_b32_e32 v92, 0
	s_andn2_b64 vcc, exec, s[38:39]
	v_mov_b32_e32 v94, 0
	v_mov_b32_e32 v93, 0
	s_cbranch_vccnz .LBB120_12
; %bb.10:                               ;   in Loop: Header=BB120_6 Depth=1
	s_load_dword vcc_lo, s[36:37], 0x4
	v_mov_b32_e32 v93, 0
	v_mov_b32_e32 v94, 0
	s_waitcnt lgkmcnt(0)
	s_mul_hi_u32 s28, vcc_lo, s16
	s_add_i32 s28, vcc_lo, s28
	s_lshr_b32 vcc_hi, s28, s17
	s_cmp_ge_i32 vcc_hi, s13
	s_cbranch_scc1 .LBB120_12
; %bb.11:                               ;   in Loop: Header=BB120_6 Depth=1
	s_mul_i32 s28, vcc_hi, s18
	s_sub_i32 s28, vcc_lo, s28
	s_mul_i32 vcc_hi, vcc_hi, s20
	s_mul_i32 s28, s28, s9
	v_add_u32_e32 v93, vcc_hi, v88
	v_lshl_add_u32 v94, v93, 1, s28
	v_ashrrev_i32_e32 v95, 31, v94
	v_lshl_add_u64 v[94:95], v[94:95], 2, s[6:7]
	global_load_dwordx2 v[94:95], v[94:95], off
	s_waitcnt vmcnt(0)
	v_cvt_f16_f32_e32 v94, v94
	v_cvt_f16_f32_e32 v93, v95
.LBB120_12:                             ;   in Loop: Header=BB120_6 Depth=1
	s_andn2_b64 vcc, exec, s[40:41]
	v_mov_b32_e32 v95, 0
	s_cbranch_vccnz .LBB120_5
; %bb.13:                               ;   in Loop: Header=BB120_6 Depth=1
	s_load_dword vcc_lo, s[36:37], 0x8
	v_mov_b32_e32 v95, 0
	v_mov_b32_e32 v92, 0
	s_waitcnt lgkmcnt(0)
	s_mul_hi_u32 s28, vcc_lo, s16
	s_add_i32 s28, vcc_lo, s28
	s_lshr_b32 vcc_hi, s28, s17
	s_cmp_ge_i32 vcc_hi, s13
	s_cbranch_scc1 .LBB120_5
; %bb.14:                               ;   in Loop: Header=BB120_6 Depth=1
	s_mul_i32 s28, vcc_hi, s18
	s_sub_i32 s28, vcc_lo, s28
	s_mul_i32 vcc_hi, vcc_hi, s20
	s_mul_i32 s28, s28, s9
	v_add_u32_e32 v92, vcc_hi, v88
	v_lshl_add_u32 v96, v92, 1, s28
	v_ashrrev_i32_e32 v97, 31, v96
	v_lshl_add_u64 v[96:97], v[96:97], 2, s[6:7]
	global_load_dwordx2 v[96:97], v[96:97], off
	s_waitcnt vmcnt(0)
	v_cvt_f16_f32_e32 v92, v96
	v_cvt_f16_f32_e32 v95, v97
	s_branch .LBB120_5
.LBB120_15:
	s_or_b64 exec, exec, s[4:5]
	v_readlane_b32 s24, v101, 4
	v_readlane_b32 s25, v101, 5
.LBB120_16:
	s_or_b64 exec, exec, s[30:31]
	v_lshl_add_u32 v16, v86, 2, 0
	v_mul_u32_u24_e32 v17, 0x808, v87
	v_and_b32_e32 v18, 0x3f0, v84
	v_add3_u32 v16, v16, v17, v18
	v_cmp_gt_u32_e32 vcc, 3, v85
	s_barrier
	ds_write2_b32 v16, v8, v9 offset1:1
	ds_write2_b32 v16, v10, v11 offset0:2 offset1:3
	ds_write2_b32 v16, v0, v1 offset0:16 offset1:17
	;; [unrolled: 1-line block ×7, first 2 shown]
	s_waitcnt lgkmcnt(0)
	s_barrier
	s_and_saveexec_b64 s[0:1], vcc
	s_cbranch_execz .LBB120_20
; %bb.17:
	v_add_u32_e32 v0, s2, v85
	s_cmp_gt_i32 s14, 0
	v_cmp_gt_i32_e32 vcc, s33, v0
	s_cselect_b64 s[0:1], -1, 0
	s_and_b64 s[0:1], s[0:1], vcc
	s_and_b64 exec, exec, s[0:1]
	s_cbranch_execz .LBB120_20
; %bb.18:
	s_lshl_b64 s[0:1], s[26:27], 2
	v_readlane_b32 s2, v101, 0
	v_readlane_b32 s3, v101, 1
	s_add_u32 s0, s2, s0
	s_addc_u32 s1, s3, s1
	v_ashrrev_i32_e32 v1, 31, v0
	v_lshl_add_u64 v[0:1], v[0:1], 2, s[0:1]
	global_load_dword v0, v[0:1], off
	s_waitcnt vmcnt(0)
	v_mul_hi_u32 v1, v0, s19
	v_add_u32_e32 v1, v0, v1
	v_lshrrev_b32_e32 v1, s24, v1
	v_cmp_gt_i32_e32 vcc, s13, v1
	s_and_b64 exec, exec, vcc
	s_cbranch_execz .LBB120_20
; %bb.19:
	v_lshlrev_b32_e32 v2, 2, v84
	v_mul_u32_u24_e32 v3, 0x808, v85
	v_add3_u32 v8, 0, v2, v3
	ds_read2st64_b32 v[2:3], v8 offset1:1
	ds_read2st64_b32 v[4:5], v8 offset0:2 offset1:3
	ds_read2st64_b32 v[6:7], v8 offset0:4 offset1:5
	;; [unrolled: 1-line block ×3, first 2 shown]
	v_add_u32_e32 v10, s11, v84
	s_waitcnt lgkmcnt(3)
	v_add_f32_e32 v2, 0, v2
	v_add_f32_e32 v2, v2, v3
	s_waitcnt lgkmcnt(2)
	v_add_f32_e32 v2, v2, v4
	v_add_f32_e32 v2, v2, v5
	v_mul_lo_u32 v3, v1, s25
	s_waitcnt lgkmcnt(1)
	v_add_f32_e32 v2, v2, v6
	v_sub_u32_e32 v0, v0, v3
	v_add_f32_e32 v2, v2, v7
	v_mul_lo_u32 v0, v0, s10
	v_mul_lo_u32 v1, v1, s21
	v_readlane_b32 s0, v101, 2
	s_waitcnt lgkmcnt(0)
	v_add_f32_e32 v2, v2, v8
	v_add3_u32 v0, v10, v1, v0
	v_mov_b32_e32 v1, 0
	v_readlane_b32 s1, v101, 3
	v_add_f32_e32 v2, v2, v9
	s_nop 0
	v_lshl_add_u64 v[0:1], v[0:1], 2, s[0:1]
	global_store_dword v[0:1], v2, off
.LBB120_20:
	s_endpgm
	.section	.rodata,"a",@progbits
	.p2align	6, 0x0
	.amdhsa_kernel _ZL13mul_mat_f_idsI7__half2Li64ELi3ELi8EEvPKT_PKfPKiS7_S7_Pfiiiiiiiiiiiiii15HIP_vector_typeIjLj3EESA_
		.amdhsa_group_segment_fixed_size 0
		.amdhsa_private_segment_fixed_size 0
		.amdhsa_kernarg_size 128
		.amdhsa_user_sgpr_count 2
		.amdhsa_user_sgpr_dispatch_ptr 0
		.amdhsa_user_sgpr_queue_ptr 0
		.amdhsa_user_sgpr_kernarg_segment_ptr 1
		.amdhsa_user_sgpr_dispatch_id 0
		.amdhsa_user_sgpr_kernarg_preload_length 0
		.amdhsa_user_sgpr_kernarg_preload_offset 0
		.amdhsa_user_sgpr_private_segment_size 0
		.amdhsa_uses_dynamic_stack 0
		.amdhsa_enable_private_segment 0
		.amdhsa_system_sgpr_workgroup_id_x 1
		.amdhsa_system_sgpr_workgroup_id_y 1
		.amdhsa_system_sgpr_workgroup_id_z 1
		.amdhsa_system_sgpr_workgroup_info 0
		.amdhsa_system_vgpr_workitem_id 1
		.amdhsa_next_free_vgpr 102
		.amdhsa_next_free_sgpr 100
		.amdhsa_accum_offset 104
		.amdhsa_reserve_vcc 1
		.amdhsa_float_round_mode_32 0
		.amdhsa_float_round_mode_16_64 0
		.amdhsa_float_denorm_mode_32 3
		.amdhsa_float_denorm_mode_16_64 3
		.amdhsa_dx10_clamp 1
		.amdhsa_ieee_mode 1
		.amdhsa_fp16_overflow 0
		.amdhsa_tg_split 0
		.amdhsa_exception_fp_ieee_invalid_op 0
		.amdhsa_exception_fp_denorm_src 0
		.amdhsa_exception_fp_ieee_div_zero 0
		.amdhsa_exception_fp_ieee_overflow 0
		.amdhsa_exception_fp_ieee_underflow 0
		.amdhsa_exception_fp_ieee_inexact 0
		.amdhsa_exception_int_div_zero 0
	.end_amdhsa_kernel
	.section	.text._ZL13mul_mat_f_idsI7__half2Li64ELi3ELi8EEvPKT_PKfPKiS7_S7_Pfiiiiiiiiiiiiii15HIP_vector_typeIjLj3EESA_,"axG",@progbits,_ZL13mul_mat_f_idsI7__half2Li64ELi3ELi8EEvPKT_PKfPKiS7_S7_Pfiiiiiiiiiiiiii15HIP_vector_typeIjLj3EESA_,comdat
.Lfunc_end120:
	.size	_ZL13mul_mat_f_idsI7__half2Li64ELi3ELi8EEvPKT_PKfPKiS7_S7_Pfiiiiiiiiiiiiii15HIP_vector_typeIjLj3EESA_, .Lfunc_end120-_ZL13mul_mat_f_idsI7__half2Li64ELi3ELi8EEvPKT_PKfPKiS7_S7_Pfiiiiiiiiiiiiii15HIP_vector_typeIjLj3EESA_
                                        ; -- End function
	.set _ZL13mul_mat_f_idsI7__half2Li64ELi3ELi8EEvPKT_PKfPKiS7_S7_Pfiiiiiiiiiiiiii15HIP_vector_typeIjLj3EESA_.num_vgpr, 102
	.set _ZL13mul_mat_f_idsI7__half2Li64ELi3ELi8EEvPKT_PKfPKiS7_S7_Pfiiiiiiiiiiiiii15HIP_vector_typeIjLj3EESA_.num_agpr, 0
	.set _ZL13mul_mat_f_idsI7__half2Li64ELi3ELi8EEvPKT_PKfPKiS7_S7_Pfiiiiiiiiiiiiii15HIP_vector_typeIjLj3EESA_.numbered_sgpr, 100
	.set _ZL13mul_mat_f_idsI7__half2Li64ELi3ELi8EEvPKT_PKfPKiS7_S7_Pfiiiiiiiiiiiiii15HIP_vector_typeIjLj3EESA_.num_named_barrier, 0
	.set _ZL13mul_mat_f_idsI7__half2Li64ELi3ELi8EEvPKT_PKfPKiS7_S7_Pfiiiiiiiiiiiiii15HIP_vector_typeIjLj3EESA_.private_seg_size, 0
	.set _ZL13mul_mat_f_idsI7__half2Li64ELi3ELi8EEvPKT_PKfPKiS7_S7_Pfiiiiiiiiiiiiii15HIP_vector_typeIjLj3EESA_.uses_vcc, 1
	.set _ZL13mul_mat_f_idsI7__half2Li64ELi3ELi8EEvPKT_PKfPKiS7_S7_Pfiiiiiiiiiiiiii15HIP_vector_typeIjLj3EESA_.uses_flat_scratch, 0
	.set _ZL13mul_mat_f_idsI7__half2Li64ELi3ELi8EEvPKT_PKfPKiS7_S7_Pfiiiiiiiiiiiiii15HIP_vector_typeIjLj3EESA_.has_dyn_sized_stack, 0
	.set _ZL13mul_mat_f_idsI7__half2Li64ELi3ELi8EEvPKT_PKfPKiS7_S7_Pfiiiiiiiiiiiiii15HIP_vector_typeIjLj3EESA_.has_recursion, 0
	.set _ZL13mul_mat_f_idsI7__half2Li64ELi3ELi8EEvPKT_PKfPKiS7_S7_Pfiiiiiiiiiiiiii15HIP_vector_typeIjLj3EESA_.has_indirect_call, 0
	.section	.AMDGPU.csdata,"",@progbits
; Kernel info:
; codeLenInByte = 4668
; TotalNumSgprs: 106
; NumVgprs: 102
; NumAgprs: 0
; TotalNumVgprs: 102
; ScratchSize: 0
; MemoryBound: 0
; FloatMode: 240
; IeeeMode: 1
; LDSByteSize: 0 bytes/workgroup (compile time only)
; SGPRBlocks: 13
; VGPRBlocks: 12
; NumSGPRsForWavesPerEU: 106
; NumVGPRsForWavesPerEU: 102
; AccumOffset: 104
; Occupancy: 4
; WaveLimiterHint : 1
; COMPUTE_PGM_RSRC2:SCRATCH_EN: 0
; COMPUTE_PGM_RSRC2:USER_SGPR: 2
; COMPUTE_PGM_RSRC2:TRAP_HANDLER: 0
; COMPUTE_PGM_RSRC2:TGID_X_EN: 1
; COMPUTE_PGM_RSRC2:TGID_Y_EN: 1
; COMPUTE_PGM_RSRC2:TGID_Z_EN: 1
; COMPUTE_PGM_RSRC2:TIDIG_COMP_CNT: 1
; COMPUTE_PGM_RSRC3_GFX90A:ACCUM_OFFSET: 25
; COMPUTE_PGM_RSRC3_GFX90A:TG_SPLIT: 0
	.section	.text._ZL9mul_mat_fI7__half2Li64ELi3ELi8ELb1EEvPKT_PKfPKiPfiiiiiiiiiiiiiiii,"axG",@progbits,_ZL9mul_mat_fI7__half2Li64ELi3ELi8ELb1EEvPKT_PKfPKiPfiiiiiiiiiiiiiiii,comdat
	.globl	_ZL9mul_mat_fI7__half2Li64ELi3ELi8ELb1EEvPKT_PKfPKiPfiiiiiiiiiiiiiiii ; -- Begin function _ZL9mul_mat_fI7__half2Li64ELi3ELi8ELb1EEvPKT_PKfPKiPfiiiiiiiiiiiiiiii
	.p2align	8
	.type	_ZL9mul_mat_fI7__half2Li64ELi3ELi8ELb1EEvPKT_PKfPKiPfiiiiiiiiiiiiiiii,@function
_ZL9mul_mat_fI7__half2Li64ELi3ELi8ELb1EEvPKT_PKfPKiPfiiiiiiiiiiiiiiii: ; @_ZL9mul_mat_fI7__half2Li64ELi3ELi8ELb1EEvPKT_PKfPKiPfiiiiiiiiiiiiiiii
; %bb.0:
	s_load_dwordx8 s[8:15], s[0:1], 0x20
	v_bfe_u32 v17, v0, 10, 10
	v_and_b32_e32 v16, 0x3ff, v0
	v_mul_i32_i24_e32 v95, 0xffffef84, v17
	s_waitcnt lgkmcnt(0)
	s_add_i32 s5, s9, 2
	s_mul_hi_i32 s5, s5, 0x55555556
	s_lshr_b32 s6, s5, 31
	s_add_i32 s5, s5, s6
	v_cvt_f32_u32_e32 v1, s5
	s_load_dwordx8 s[16:23], s[0:1], 0x44
	s_load_dword s6, s[0:1], 0x64
	s_add_u32 s28, s0, 0x60
	s_addc_u32 s29, s1, 0
	v_rcp_iflag_f32_e32 v1, v1
	s_sub_i32 s7, 0, s5
	s_waitcnt lgkmcnt(0)
	s_abs_i32 s23, s19
	s_abs_i32 s33, s4
	v_mul_f32_e32 v1, 0x4f7ffffe, v1
	v_cvt_u32_f32_e32 v1, v1
	v_mul_lo_u32 v2, s7, v1
	v_mul_hi_u32 v2, v1, v2
	v_add_u32_e32 v1, v1, v2
	v_mul_hi_u32 v1, s6, v1
	v_mul_lo_u32 v2, v1, s5
	v_sub_u32_e32 v2, s6, v2
	v_add_u32_e32 v3, 1, v1
	v_subrev_u32_e32 v4, s5, v2
	v_cmp_le_u32_e32 vcc, s5, v2
	s_nop 1
	v_cndmask_b32_e32 v1, v1, v3, vcc
	v_cndmask_b32_e32 v2, v2, v4, vcc
	v_add_u32_e32 v3, 1, v1
	v_cmp_le_u32_e32 vcc, s5, v2
	s_sub_i32 s5, 0, s23
	s_nop 0
	v_cndmask_b32_e32 v1, v1, v3, vcc
	v_cvt_f32_u32_e32 v2, v1
	v_cvt_f32_u32_e32 v3, s23
	v_sub_u32_e32 v4, 0, v1
	v_cmp_eq_u32_e32 vcc, 0, v16
	v_rcp_iflag_f32_e32 v2, v2
	v_rcp_iflag_f32_e32 v3, v3
	v_mul_f32_e32 v2, 0x4f7ffffe, v2
	v_cvt_u32_f32_e32 v2, v2
	v_mul_f32_e32 v3, 0x4f7ffffe, v3
	v_cvt_u32_f32_e32 v3, v3
	v_mul_lo_u32 v4, v4, v2
	v_mul_hi_u32 v4, v2, v4
	v_add_u32_e32 v2, v2, v4
	v_mul_lo_u32 v4, s5, v3
	v_mul_hi_u32 v4, v3, v4
	v_add_u32_e32 v3, v3, v4
	s_movk_i32 s5, 0x1080
	v_mov_b32_e32 v4, 0x100
	v_mul_hi_u32 v2, s3, v2
	v_mad_u32_u24 v94, v17, s5, v4
	s_and_saveexec_b64 s[6:7], vcc
; %bb.1:
	v_add_u32_e32 v4, v94, v95
	v_mov_b32_e32 v5, -1
	ds_write_b32 v4, v5
; %bb.2:
	s_or_b64 exec, exec, s[6:7]
	v_mul_hi_u32 v18, s33, v3
	v_mul_lo_u32 v3, v2, v1
	v_sub_u32_e32 v3, s3, v3
	v_add_u32_e32 v4, 1, v2
	v_sub_u32_e32 v5, v3, v1
	v_cmp_ge_u32_e32 vcc, v3, v1
	s_load_dwordx2 s[26:27], s[0:1], 0x8
	s_load_dwordx2 s[24:25], s[0:1], 0x18
	v_cndmask_b32_e32 v2, v2, v4, vcc
	v_cndmask_b32_e32 v3, v3, v5, vcc
	v_add_u32_e32 v4, 1, v2
	v_cmp_ge_u32_e32 vcc, v3, v1
	v_cmp_gt_i32_e64 s[6:7], s10, v16
	s_nop 0
	v_cndmask_b32_e32 v2, v2, v4, vcc
	v_mul_lo_u32 v96, v2, 3
	v_add_u32_e32 v97, v96, v17
	v_mul_lo_u32 v1, v2, v1
	v_cmp_gt_i32_e32 vcc, s9, v97
	v_sub_u32_e32 v19, s3, v1
	s_and_b64 s[6:7], vcc, s[6:7]
	v_mov_b32_e32 v1, 0
	s_and_saveexec_b64 s[30:31], s[6:7]
	s_cbranch_execz .LBB121_8
; %bb.3:
	s_load_dwordx2 s[6:7], s[0:1], 0x10
	v_mul_hi_i32 v3, v96, s15
	v_mul_lo_u32 v2, v96, s15
	v_mul_lo_u32 v4, s15, v17
	v_lshlrev_b64 v[2:3], 2, v[2:3]
	s_waitcnt lgkmcnt(0)
	v_lshl_add_u64 v[2:3], s[6:7], 0, v[2:3]
	v_ashrrev_i32_e32 v5, 31, v4
	v_lshl_add_u64 v[2:3], v[4:5], 2, v[2:3]
	v_mul_lo_u32 v4, v16, s14
	s_lshl_b32 s3, s14, 6
	v_mov_b32_e32 v1, 0
	s_mov_b64 s[14:15], 0
	v_add_u32_e32 v6, v94, v95
	v_mov_b32_e32 v7, v16
	s_branch .LBB121_5
.LBB121_4:                              ;   in Loop: Header=BB121_5 Depth=1
	s_or_b64 exec, exec, s[34:35]
	v_add_u32_e32 v7, 64, v7
	v_cmp_le_i32_e64 s[6:7], s10, v7
	s_xor_b64 s[34:35], vcc, -1
	s_or_b64 s[6:7], s[34:35], s[6:7]
	s_and_b64 s[6:7], exec, s[6:7]
	s_or_b64 s[14:15], s[6:7], s[14:15]
	v_add_u32_e32 v4, s3, v4
	s_andn2_b64 exec, exec, s[14:15]
	s_cbranch_execz .LBB121_7
.LBB121_5:                              ; =>This Inner Loop Header: Depth=1
	v_ashrrev_i32_e32 v5, 31, v4
	v_lshl_add_u64 v[8:9], v[4:5], 2, v[2:3]
	global_load_dword v5, v[8:9], off
	s_waitcnt vmcnt(0)
	v_cmp_ne_u32_e32 vcc, v5, v19
	v_cmp_eq_u32_e64 s[6:7], v5, v19
	s_and_saveexec_b64 s[34:35], s[6:7]
	s_cbranch_execz .LBB121_4
; %bb.6:                                ;   in Loop: Header=BB121_5 Depth=1
	v_mov_b32_e32 v1, 1
	ds_write_b32 v6, v7
	s_branch .LBB121_4
.LBB121_7:
	s_or_b64 exec, exec, s[14:15]
.LBB121_8:
	s_or_b64 exec, exec, s[30:31]
	s_load_dwordx2 s[6:7], s[0:1], 0x0
	v_or_b32_dpp v1, v1, v1 row_shl:1 row_mask:0xf bank_mask:0xf bound_ctrl:1
	s_load_dwordx2 s[0:1], s[28:29], 0xc
	s_ashr_i32 s3, s4, 31
	v_or_b32_dpp v1, v1, v1 row_shl:2 row_mask:0xf bank_mask:0xf bound_ctrl:1
	s_ashr_i32 s10, s19, 31
	s_waitcnt lgkmcnt(0)
	s_and_b32 s5, s1, 0xffff
	s_lshr_b32 s1, s0, 16
	s_and_b32 s0, s0, 0xffff
	s_mul_i32 s14, s1, s0
	v_or_b32_dpp v1, v1, v1 row_shl:4 row_mask:0xf bank_mask:0xf bound_ctrl:1
	s_bfe_i32 s14, s14, 0x180000
	s_mul_i32 s5, s14, s5
	v_or_b32_dpp v1, v1, v1 row_shl:8 row_mask:0xf bank_mask:0xf bound_ctrl:1
	s_add_i32 s14, s5, 63
	s_bitcmp1_b32 exec_hi, 0
	v_mov_b32_dpp v2, v1 wave_shl:1 row_mask:0xf bank_mask:0xf bound_ctrl:1
	s_nop 1
	v_or_b32_dpp v1, v2, v1 row_mirror row_mask:0xf bank_mask:0xf bound_ctrl:1
	s_nop 0
	v_readlane_b32 s5, v1, 32
	s_cselect_b32 s5, s5, 0
	v_readlane_b32 s15, v1, 0
	s_or_b32 s5, s5, s15
	s_andn2_b32 s14, s14, 63
	s_cmp_lg_u32 s14, 64
	v_mov_b32_e32 v1, s5
	s_cbranch_scc0 .LBB121_15
; %bb.9:
	v_bfe_u32 v0, v0, 20, 10
	v_mbcnt_lo_u32_b32 v1, -1, 0
	v_mad_u32_u24 v0, v0, s1, v17
	v_mbcnt_hi_u32_b32 v2, -1, v1
	v_mad_u64_u32 v[0:1], s[0:1], v0, s0, v[16:17]
	v_lshrrev_b32_e32 v1, 6, v0
	v_or_b32_e32 v1, v2, v1
	v_cmp_eq_u32_e32 vcc, 0, v1
	s_and_saveexec_b64 s[0:1], vcc
; %bb.10:
	v_mov_b32_e32 v1, 0
	v_mov_b32_e32 v3, s5
	ds_write_b32 v1, v3
; %bb.11:
	s_or_b64 exec, exec, s[0:1]
	v_cmp_eq_u32_e32 vcc, 0, v2
	v_cmp_lt_u32_e64 s[0:1], 63, v0
	s_and_b64 s[14:15], s[0:1], vcc
	s_waitcnt lgkmcnt(0)
	s_barrier
	s_and_saveexec_b64 s[0:1], s[14:15]
	s_cbranch_execz .LBB121_14
; %bb.12:
	v_mbcnt_lo_u32_b32 v0, exec_lo, 0
	v_mbcnt_hi_u32_b32 v0, exec_hi, v0
	v_cmp_eq_u32_e32 vcc, 0, v0
	s_and_b64 exec, exec, vcc
; %bb.13:
	v_mov_b32_e32 v0, 0
	v_mov_b32_e32 v1, s5
	ds_or_b32 v0, v1
.LBB121_14:
	s_or_b64 exec, exec, s[0:1]
	v_mov_b32_e32 v0, 0
	s_waitcnt lgkmcnt(0)
	s_barrier
	ds_read_b32 v1, v0
	s_waitcnt lgkmcnt(0)
	s_barrier
.LBB121_15:
	v_cmp_ne_u32_e32 vcc, 0, v1
	s_cbranch_vccz .LBB121_37
; %bb.16:
	v_lshlrev_b32_e32 v98, 6, v17
	v_add_u32_e32 v100, v98, v16
	v_cmp_le_i32_e32 vcc, s8, v100
	v_and_b32_e32 v99, 15, v16
	s_and_saveexec_b64 s[0:1], vcc
	s_xor_b64 s[0:1], exec, s[0:1]
; %bb.17:
	v_and_b32_e32 v99, 15, v16
                                        ; implicit-def: $vgpr100
                                        ; implicit-def: $vgpr18
                                        ; implicit-def: $vgpr19
; %bb.18:
	s_or_saveexec_b64 s[14:15], s[0:1]
	v_mov_b32_e32 v11, 0
	s_lshl_b32 s5, s2, 6
	v_mov_b32_e32 v10, v11
	v_mov_b32_e32 v9, v11
	;; [unrolled: 1-line block ×15, first 2 shown]
	s_xor_b64 exec, exec, s[14:15]
	s_cbranch_execz .LBB121_34
; %bb.19:
	v_mul_lo_u32 v0, v18, s23
	v_sub_u32_e32 v0, s33, v0
	v_add_u32_e32 v1, 1, v18
	v_subrev_u32_e32 v2, s23, v0
	v_cmp_le_u32_e32 vcc, s23, v0
	s_xor_b32 s0, s3, s10
	s_mul_hi_i32 s3, s21, s4
	v_cndmask_b32_e32 v1, v18, v1, vcc
	v_cndmask_b32_e32 v0, v0, v2, vcc
	v_add_u32_e32 v2, 1, v1
	v_cmp_le_u32_e32 vcc, s23, v0
	s_mul_i32 s2, s21, s4
	s_lshl_b64 s[2:3], s[2:3], 2
	v_cndmask_b32_e32 v0, v1, v2, vcc
	v_xor_b32_e32 v0, s0, v0
	v_subrev_u32_e32 v0, s0, v0
	v_mul_hi_i32 v1, v0, s20
	v_mul_lo_u32 v0, v0, s20
	v_mul_lo_u32 v2, v19, s16
	s_mul_i32 s0, s11, s5
	v_ashrrev_i32_e32 v3, 31, v2
	v_lshlrev_b64 v[0:1], 2, v[0:1]
	s_ashr_i32 s1, s0, 31
	v_lshl_add_u64 v[4:5], s[6:7], 0, v[0:1]
	v_lshlrev_b64 v[2:3], 2, v[2:3]
	s_lshl_b64 s[0:1], s[0:1], 2
	v_lshl_add_u64 v[4:5], v[4:5], 0, v[2:3]
	v_mul_hi_i32 v7, s12, v96
	v_mul_lo_u32 v6, s12, v96
	s_add_u32 s2, s26, s2
	v_lshl_add_u64 v[0:1], v[0:1], 0, s[0:1]
	v_lshlrev_b64 v[6:7], 3, v[6:7]
	v_lshl_add_u64 v[18:19], v[4:5], 0, s[0:1]
	s_addc_u32 s3, s27, s3
	v_lshrrev_b32_e32 v5, 1, v16
	v_lshl_add_u64 v[0:1], v[0:1], 0, v[2:3]
	v_lshl_add_u64 v[20:21], s[2:3], 0, v[6:7]
	v_mul_u32_u24_e32 v4, 0x108, v99
	v_and_b32_e32 v5, 0x1f8, v5
	v_add_u32_e32 v26, 1, v96
	v_add_u32_e32 v27, 2, v96
	s_ashr_i32 s3, s11, 31
	s_mov_b32 s2, s11
	v_lshl_add_u64 v[0:1], s[6:7], 0, v[0:1]
	v_lshlrev_b32_e32 v2, 1, v16
	v_lshlrev_b32_e32 v22, 2, v100
	v_mov_b32_e32 v23, 0
	v_lshl_add_u32 v101, v16, 2, v94
	v_add3_u32 v102, v94, v4, v5
	s_lshl_b32 s16, s12, 2
	s_add_i32 s19, s11, s11
	s_mul_i32 s23, s11, 3
	s_lshl_b32 s28, s11, 2
	s_mul_i32 s29, s11, 5
	s_mul_i32 s30, s11, 6
	;; [unrolled: 1-line block ×3, first 2 shown]
	s_lshl_b32 s33, s11, 3
	s_mul_i32 s34, s11, 9
	s_mul_i32 s35, s11, 10
	;; [unrolled: 1-line block ×7, first 2 shown]
	s_lshl_b32 s41, s11, 4
	s_mul_i32 s42, s11, 17
	s_mul_i32 s43, s11, 18
	;; [unrolled: 1-line block ×15, first 2 shown]
	s_lshl_b32 s57, s11, 5
	s_mul_i32 s58, s11, 33
	s_mul_i32 s59, s11, 34
	s_mul_i32 s60, s11, 35
	s_mul_i32 s61, s11, 36
	s_mul_i32 s62, s11, 37
	s_mul_i32 s63, s11, 38
	s_mul_i32 s64, s11, 39
	s_mul_i32 s65, s11, 40
	s_mul_i32 s66, s11, 41
	s_mul_i32 s67, s11, 42
	s_mul_i32 s68, s11, 43
	s_mul_i32 s69, s11, 44
	s_mul_i32 s70, s11, 45
	s_mul_i32 s71, s11, 46
	s_mul_i32 s72, s11, 47
	s_mul_i32 s73, s11, 48
	s_mul_i32 s74, s11, 49
	s_mul_i32 s75, s11, 50
	s_mul_i32 s76, s11, 51
	s_mul_i32 s77, s11, 52
	s_mul_i32 s78, s11, 53
	s_mul_i32 s79, s11, 54
	v_cmp_gt_i32_e64 s[0:1], s9, v96
	s_mul_i32 s80, s11, 55
	s_mul_i32 s81, s11, 56
	v_lshl_add_u32 v103, v17, 7, v2
	s_lshl_b64 s[20:21], s[2:3], 2
	v_lshl_add_u64 v[24:25], v[0:1], 0, v[22:23]
	v_mov_b32_e32 v22, 0x100
	v_mov_b32_e32 v12, 0
	;; [unrolled: 1-line block ×17, first 2 shown]
	s_mul_i32 s82, s11, 57
	s_mul_i32 s83, s11, 58
	;; [unrolled: 1-line block ×7, first 2 shown]
	s_lshl_b32 s12, s12, 1
	v_cmp_gt_i32_e64 s[2:3], s9, v26
	v_cmp_gt_i32_e64 s[6:7], s9, v27
	s_mov_b64 s[10:11], 0
	s_mov_b64 s[26:27], 0x800
	s_branch .LBB121_22
.LBB121_20:                             ;   in Loop: Header=BB121_22 Depth=1
	v_mul_lo_u32 v90, v90, s17
	v_add_u32_e32 v90, s16, v90
	v_add_u32_e32 v90, v90, v103
	v_ashrrev_i32_e32 v91, 31, v90
	v_lshl_add_u64 v[90:91], v[90:91], 2, v[20:21]
	global_load_dwordx2 v[90:91], v[90:91], off
.LBB121_21:                             ;   in Loop: Header=BB121_22 Depth=1
	s_waitcnt vmcnt(0)
	v_cvt_pk_f16_f32 v90, v90, v91
	ds_write2_b32 v101, v90, v23 offset0:148 offset1:214
	v_add_u32_e32 v90, 0x400, v101
	ds_write2_b32 v90, v23, v23 offset0:24 offset1:90
	ds_write2_b32 v90, v23, v23 offset0:156 offset1:222
	v_add_u32_e32 v90, 0x800, v101
	ds_write2_b32 v90, v23, v23 offset0:32 offset1:98
	;; [unrolled: 3-line block ×3, first 2 shown]
	ds_write2_b32 v90, v23, v23 offset0:172 offset1:238
	ds_read2_b64 v[90:93], v102 offset0:8 offset1:12
	v_add_u32_e32 v100, 0x200, v100
	s_waitcnt lgkmcnt(0)
	v_mfma_f32_16x16x16_f16 v[0:3], v[58:59], v[90:91], v[0:3]
	v_cmp_le_i32_e32 vcc, s8, v100
	v_add_u32_e32 v103, 0x400, v103
	v_lshl_add_u64 v[24:25], v[24:25], 0, s[26:27]
	v_mfma_f32_16x16x16_f16 v[8:11], v[42:43], v[90:91], v[8:11]
	s_or_b64 s[10:11], vcc, s[10:11]
	v_mfma_f32_16x16x16_f16 v[4:7], v[74:75], v[90:91], v[4:7]
	v_mfma_f32_16x16x16_f16 v[12:15], v[88:89], v[90:91], v[12:15]
	v_mfma_f32_16x16x16_f16 v[0:3], v[56:57], v[92:93], v[0:3]
	ds_read2_b64 v[56:59], v102 offset0:16 offset1:20
	v_mfma_f32_16x16x16_f16 v[8:11], v[38:39], v[92:93], v[8:11]
	v_mfma_f32_16x16x16_f16 v[4:7], v[72:73], v[92:93], v[4:7]
	v_mfma_f32_16x16x16_f16 v[12:15], v[86:87], v[92:93], v[12:15]
	s_waitcnt lgkmcnt(0)
	v_mfma_f32_16x16x16_f16 v[8:11], v[36:37], v[56:57], v[8:11]
	v_mfma_f32_16x16x16_f16 v[0:3], v[52:53], v[56:57], v[0:3]
	v_mfma_f32_16x16x16_f16 v[4:7], v[70:71], v[56:57], v[4:7]
	v_mfma_f32_16x16x16_f16 v[12:15], v[84:85], v[56:57], v[12:15]
	v_mfma_f32_16x16x16_f16 v[8:11], v[34:35], v[58:59], v[8:11]
	ds_read2_b64 v[34:37], v102 offset0:24 offset1:28
	v_mfma_f32_16x16x16_f16 v[0:3], v[50:51], v[58:59], v[0:3]
	v_mfma_f32_16x16x16_f16 v[4:7], v[68:69], v[58:59], v[4:7]
	v_mfma_f32_16x16x16_f16 v[12:15], v[82:83], v[58:59], v[12:15]
	s_waitcnt lgkmcnt(0)
	v_mfma_f32_16x16x16_f16 v[8:11], v[32:33], v[34:35], v[8:11]
	v_mfma_f32_16x16x16_f16 v[0:3], v[48:49], v[34:35], v[0:3]
	;; [unrolled: 10-line block ×3, first 2 shown]
	v_mfma_f32_16x16x16_f16 v[4:7], v[60:61], v[30:31], v[4:7]
	v_mfma_f32_16x16x16_f16 v[12:15], v[76:77], v[30:31], v[12:15]
	;; [unrolled: 1-line block ×6, first 2 shown]
	s_andn2_b64 exec, exec, s[10:11]
	s_cbranch_execz .LBB121_33
.LBB121_22:                             ; =>This Inner Loop Header: Depth=1
	v_lshl_add_u64 v[26:27], v[24:25], 0, s[20:21]
	global_load_dword v52, v[24:25], off
	global_load_dword v53, v[26:27], off
	v_add_u32_e32 v26, s19, v100
	v_ashrrev_i32_e32 v27, 31, v26
	v_add_u32_e32 v28, s23, v100
	v_add_u32_e32 v30, s28, v100
	v_add_u32_e32 v32, s29, v100
	v_add_u32_e32 v34, s30, v100
	v_add_u32_e32 v36, s31, v100
	v_lshl_add_u64 v[26:27], v[26:27], 2, v[18:19]
	v_ashrrev_i32_e32 v29, 31, v28
	v_ashrrev_i32_e32 v31, 31, v30
	;; [unrolled: 1-line block ×5, first 2 shown]
	v_lshl_add_u64 v[28:29], v[28:29], 2, v[18:19]
	v_lshl_add_u64 v[30:31], v[30:31], 2, v[18:19]
	;; [unrolled: 1-line block ×5, first 2 shown]
	global_load_dword v54, v[26:27], off
	global_load_dword v55, v[28:29], off
	;; [unrolled: 1-line block ×6, first 2 shown]
	v_add_u32_e32 v26, s33, v100
	v_add_u32_e32 v44, s42, v100
	;; [unrolled: 1-line block ×10, first 2 shown]
	v_ashrrev_i32_e32 v27, 31, v26
	v_ashrrev_i32_e32 v45, 31, v44
	;; [unrolled: 1-line block ×10, first 2 shown]
	v_lshl_add_u64 v[26:27], v[26:27], 2, v[18:19]
	v_lshl_add_u64 v[44:45], v[44:45], 2, v[18:19]
	v_add_u32_e32 v46, s43, v100
	v_add_u32_e32 v48, s44, v100
	;; [unrolled: 1-line block ×3, first 2 shown]
	v_lshl_add_u64 v[28:29], v[28:29], 2, v[18:19]
	v_lshl_add_u64 v[30:31], v[30:31], 2, v[18:19]
	;; [unrolled: 1-line block ×8, first 2 shown]
	global_load_dword v60, v[26:27], off
	global_load_dword v61, v[28:29], off
	;; [unrolled: 1-line block ×9, first 2 shown]
	s_nop 0
	global_load_dword v44, v[44:45], off
	v_add_u32_e32 v26, s46, v100
	v_ashrrev_i32_e32 v47, 31, v46
	v_ashrrev_i32_e32 v49, 31, v48
	;; [unrolled: 1-line block ×4, first 2 shown]
	v_add_u32_e32 v28, s47, v100
	v_add_u32_e32 v30, s48, v100
	;; [unrolled: 1-line block ×4, first 2 shown]
	v_lshl_add_u64 v[46:47], v[46:47], 2, v[18:19]
	v_lshl_add_u64 v[48:49], v[48:49], 2, v[18:19]
	;; [unrolled: 1-line block ×4, first 2 shown]
	v_ashrrev_i32_e32 v29, 31, v28
	v_ashrrev_i32_e32 v31, 31, v30
	;; [unrolled: 1-line block ×4, first 2 shown]
	v_lshl_add_u64 v[28:29], v[28:29], 2, v[18:19]
	v_lshl_add_u64 v[30:31], v[30:31], 2, v[18:19]
	v_lshl_add_u64 v[32:33], v[32:33], 2, v[18:19]
	v_lshl_add_u64 v[34:35], v[34:35], 2, v[18:19]
	v_add_u32_e32 v36, s56, v100
	v_add_u32_e32 v38, s57, v100
	;; [unrolled: 1-line block ×3, first 2 shown]
	v_ashrrev_i32_e32 v37, 31, v36
	v_ashrrev_i32_e32 v39, 31, v38
	;; [unrolled: 1-line block ×3, first 2 shown]
	v_lshl_add_u64 v[36:37], v[36:37], 2, v[18:19]
	s_waitcnt vmcnt(17)
	ds_write_b32 v101, v52 offset:64
	s_waitcnt vmcnt(16)
	ds_write_b32 v101, v53 offset:328
	;; [unrolled: 2-line block ×8, first 2 shown]
	global_load_dword v45, v[46:47], off
	s_nop 0
	global_load_dword v46, v[48:49], off
	global_load_dword v47, v[50:51], off
	s_nop 0
	global_load_dword v48, v[26:27], off
	global_load_dword v49, v[28:29], off
	;; [unrolled: 1-line block ×5, first 2 shown]
	v_add_u32_e32 v26, s51, v100
	v_ashrrev_i32_e32 v27, 31, v26
	v_add_u32_e32 v28, s52, v100
	v_add_u32_e32 v30, s53, v100
	;; [unrolled: 1-line block ×4, first 2 shown]
	v_lshl_add_u64 v[26:27], v[26:27], 2, v[18:19]
	v_ashrrev_i32_e32 v29, 31, v28
	v_ashrrev_i32_e32 v31, 31, v30
	;; [unrolled: 1-line block ×4, first 2 shown]
	v_lshl_add_u64 v[28:29], v[28:29], 2, v[18:19]
	v_lshl_add_u64 v[30:31], v[30:31], 2, v[18:19]
	v_lshl_add_u64 v[32:33], v[32:33], 2, v[18:19]
	v_lshl_add_u64 v[34:35], v[34:35], 2, v[18:19]
	v_lshl_add_u64 v[38:39], v[38:39], 2, v[18:19]
	v_lshl_add_u64 v[40:41], v[40:41], 2, v[18:19]
	global_load_dword v53, v[26:27], off
	global_load_dword v54, v[28:29], off
	global_load_dword v55, v[30:31], off
	global_load_dword v56, v[32:33], off
	global_load_dword v57, v[34:35], off
	global_load_dword v58, v[36:37], off
	global_load_dword v69, v[38:39], off
	global_load_dword v70, v[40:41], off
	v_add_u32_e32 v26, s59, v100
	v_ashrrev_i32_e32 v27, 31, v26
	v_add_u32_e32 v28, s60, v100
	v_add_u32_e32 v30, s61, v100
	v_add_u32_e32 v32, s62, v100
	v_add_u32_e32 v34, s63, v100
	v_add_u32_e32 v36, s64, v100
	v_add_u32_e32 v38, s65, v100
	v_add_u32_e32 v40, s66, v100
	v_lshl_add_u64 v[26:27], v[26:27], 2, v[18:19]
	v_ashrrev_i32_e32 v29, 31, v28
	v_ashrrev_i32_e32 v31, 31, v30
	v_ashrrev_i32_e32 v33, 31, v32
	v_ashrrev_i32_e32 v35, 31, v34
	v_ashrrev_i32_e32 v37, 31, v36
	v_ashrrev_i32_e32 v39, 31, v38
	v_ashrrev_i32_e32 v41, 31, v40
	v_lshl_add_u64 v[28:29], v[28:29], 2, v[18:19]
	v_lshl_add_u64 v[30:31], v[30:31], 2, v[18:19]
	v_lshl_add_u64 v[32:33], v[32:33], 2, v[18:19]
	v_lshl_add_u64 v[34:35], v[34:35], 2, v[18:19]
	v_lshl_add_u64 v[36:37], v[36:37], 2, v[18:19]
	v_lshl_add_u64 v[38:39], v[38:39], 2, v[18:19]
	v_lshl_add_u64 v[40:41], v[40:41], 2, v[18:19]
	global_load_dword v71, v[26:27], off
	global_load_dword v72, v[28:29], off
	global_load_dword v73, v[30:31], off
	global_load_dword v74, v[32:33], off
	global_load_dword v75, v[34:35], off
	global_load_dword v76, v[36:37], off
	global_load_dword v77, v[38:39], off
	global_load_dword v78, v[40:41], off
	v_add_u32_e32 v26, s67, v100
	v_ashrrev_i32_e32 v27, 31, v26
	v_add_u32_e32 v28, s68, v100
	v_add_u32_e32 v30, s69, v100
	v_add_u32_e32 v32, s70, v100
	v_add_u32_e32 v34, s71, v100
	v_add_u32_e32 v36, s72, v100
	v_add_u32_e32 v38, s73, v100
	v_add_u32_e32 v40, s74, v100
	v_lshl_add_u64 v[26:27], v[26:27], 2, v[18:19]
	v_ashrrev_i32_e32 v29, 31, v28
	v_ashrrev_i32_e32 v31, 31, v30
	v_ashrrev_i32_e32 v33, 31, v32
	v_ashrrev_i32_e32 v35, 31, v34
	v_ashrrev_i32_e32 v37, 31, v36
	v_ashrrev_i32_e32 v39, 31, v38
	v_ashrrev_i32_e32 v41, 31, v40
	v_lshl_add_u64 v[28:29], v[28:29], 2, v[18:19]
	;; [unrolled: 32-line block ×3, first 2 shown]
	v_lshl_add_u64 v[30:31], v[30:31], 2, v[18:19]
	v_lshl_add_u64 v[32:33], v[32:33], 2, v[18:19]
	;; [unrolled: 1-line block ×6, first 2 shown]
	global_load_dword v87, v[26:27], off
	global_load_dword v88, v[28:29], off
	;; [unrolled: 1-line block ×8, first 2 shown]
	v_add_u32_e32 v26, s83, v100
	v_ashrrev_i32_e32 v27, 31, v26
	v_add_u32_e32 v28, s84, v100
	v_add_u32_e32 v30, s85, v100
	;; [unrolled: 1-line block ×5, first 2 shown]
	v_lshl_add_u64 v[26:27], v[26:27], 2, v[18:19]
	v_ashrrev_i32_e32 v29, 31, v28
	v_ashrrev_i32_e32 v31, 31, v30
	;; [unrolled: 1-line block ×5, first 2 shown]
	v_lshl_add_u64 v[28:29], v[28:29], 2, v[18:19]
	v_lshl_add_u64 v[30:31], v[30:31], 2, v[18:19]
	;; [unrolled: 1-line block ×5, first 2 shown]
	global_load_dword v105, v[26:27], off
	global_load_dword v106, v[28:29], off
	;; [unrolled: 1-line block ×6, first 2 shown]
	s_waitcnt vmcnt(55)
	ds_write_b32 v101, v60 offset:2176
	s_waitcnt vmcnt(54)
	ds_write_b32 v101, v61 offset:2440
	s_waitcnt vmcnt(53)
	ds_write_b32 v101, v62 offset:2704
	s_waitcnt vmcnt(52)
	ds_write_b32 v101, v63 offset:2968
	s_waitcnt vmcnt(51)
	ds_write_b32 v101, v64 offset:3232
	s_waitcnt vmcnt(50)
	ds_write_b32 v101, v65 offset:3496
	s_waitcnt vmcnt(49)
	ds_write_b32 v101, v66 offset:3760
	s_waitcnt vmcnt(48)
	ds_write_b32 v101, v67 offset:4024
	ds_read_b64 v[42:43], v102 offset:64
	ds_read_b64 v[38:39], v102 offset:96
	ds_read_b64 v[36:37], v102 offset:128
	ds_read_b64 v[34:35], v102 offset:160
	ds_read_b64 v[32:33], v102 offset:192
	ds_read_b64 v[30:31], v102 offset:224
	ds_read_b64 v[28:29], v102 offset:256
	ds_read_b64 v[26:27], v102 offset:288
	s_waitcnt vmcnt(47)
	ds_write_b32 v101, v68 offset:64
	s_waitcnt vmcnt(46)
	ds_write_b32 v101, v44 offset:328
	s_waitcnt vmcnt(45)
	ds_write_b32 v101, v45 offset:592
	s_waitcnt vmcnt(44)
	ds_write_b32 v101, v46 offset:856
	s_waitcnt vmcnt(43)
	ds_write_b32 v101, v47 offset:1120
	s_waitcnt vmcnt(42)
	ds_write_b32 v101, v48 offset:1384
	s_waitcnt vmcnt(41)
	ds_write_b32 v101, v49 offset:1648
	s_waitcnt vmcnt(40)
	ds_write_b32 v101, v50 offset:1912
	s_waitcnt vmcnt(39)
	ds_write_b32 v101, v51 offset:2176
	s_waitcnt vmcnt(38)
	ds_write_b32 v101, v52 offset:2440
	s_waitcnt vmcnt(37)
	ds_write_b32 v101, v53 offset:2704
	s_waitcnt vmcnt(36)
	ds_write_b32 v101, v54 offset:2968
	s_waitcnt vmcnt(35)
	ds_write_b32 v101, v55 offset:3232
	s_waitcnt vmcnt(34)
	ds_write_b32 v101, v56 offset:3496
	s_waitcnt vmcnt(33)
	ds_write_b32 v101, v57 offset:3760
	s_waitcnt vmcnt(32)
	ds_write_b32 v101, v58 offset:4024
	ds_read_b64 v[58:59], v102 offset:64
	ds_read_b64 v[56:57], v102 offset:96
	ds_read_b64 v[52:53], v102 offset:128
	ds_read_b64 v[50:51], v102 offset:160
	ds_read_b64 v[48:49], v102 offset:192
	ds_read_b64 v[46:47], v102 offset:224
	ds_read_b64 v[44:45], v102 offset:256
	ds_read_b64 v[40:41], v102 offset:288
	s_waitcnt vmcnt(31)
	ds_write_b32 v101, v69 offset:64
	s_waitcnt vmcnt(30)
	ds_write_b32 v101, v70 offset:328
	s_waitcnt vmcnt(29)
	ds_write_b32 v101, v71 offset:592
	s_waitcnt vmcnt(28)
	ds_write_b32 v101, v72 offset:856
	s_waitcnt vmcnt(27)
	ds_write_b32 v101, v73 offset:1120
	s_waitcnt vmcnt(26)
	ds_write_b32 v101, v74 offset:1384
	s_waitcnt vmcnt(25)
	ds_write_b32 v101, v75 offset:1648
	s_waitcnt vmcnt(24)
	ds_write_b32 v101, v76 offset:1912
	;; [unrolled: 40-line block ×3, first 2 shown]
	s_waitcnt vmcnt(7)
	ds_write_b32 v101, v93 offset:2176
	s_waitcnt vmcnt(6)
	ds_write_b32 v101, v104 offset:2440
	;; [unrolled: 2-line block ×8, first 2 shown]
	ds_read_b64 v[88:89], v102 offset:64
	ds_read_b64 v[86:87], v102 offset:96
	;; [unrolled: 1-line block ×8, first 2 shown]
	s_andn2_b64 vcc, exec, s[0:1]
	v_mov_b32_e32 v90, 0
	v_mov_b32_e32 v91, 0
	s_cbranch_vccnz .LBB121_26
; %bb.23:                               ;   in Loop: Header=BB121_22 Depth=1
	ds_read_b32 v90, v22
	s_waitcnt lgkmcnt(0)
	v_cmp_gt_i32_e32 vcc, 0, v90
	s_cbranch_vccnz .LBB121_25
; %bb.24:                               ;   in Loop: Header=BB121_22 Depth=1
	v_mul_lo_u32 v90, v90, s17
	v_add_u32_e32 v90, v103, v90
	v_ashrrev_i32_e32 v91, 31, v90
	v_lshl_add_u64 v[90:91], v[90:91], 2, v[20:21]
	global_load_dwordx2 v[90:91], v[90:91], off
	s_branch .LBB121_26
.LBB121_25:                             ;   in Loop: Header=BB121_22 Depth=1
	v_mov_b32_e32 v90, 0
	v_mov_b32_e32 v91, 0
.LBB121_26:                             ;   in Loop: Header=BB121_22 Depth=1
	s_waitcnt vmcnt(0)
	v_cvt_pk_f16_f32 v90, v90, v91
	ds_write_b32 v101, v90 offset:64
	v_mov_b32_e32 v90, 0
	s_andn2_b64 vcc, exec, s[2:3]
	v_mov_b32_e32 v92, 0
	v_mov_b32_e32 v93, 0
	s_cbranch_vccnz .LBB121_30
; %bb.27:                               ;   in Loop: Header=BB121_22 Depth=1
	ds_read_b32 v91, v22 offset:4
	s_waitcnt lgkmcnt(0)
	v_cmp_gt_i32_e32 vcc, 0, v91
	s_cbranch_vccnz .LBB121_29
; %bb.28:                               ;   in Loop: Header=BB121_22 Depth=1
	v_mul_lo_u32 v91, v91, s17
	v_add_u32_e32 v91, s12, v91
	v_add_u32_e32 v92, v91, v103
	v_ashrrev_i32_e32 v93, 31, v92
	v_lshl_add_u64 v[92:93], v[92:93], 2, v[20:21]
	global_load_dwordx2 v[92:93], v[92:93], off
	s_branch .LBB121_30
.LBB121_29:                             ;   in Loop: Header=BB121_22 Depth=1
	v_mov_b32_e32 v92, 0
	v_mov_b32_e32 v93, 0
.LBB121_30:                             ;   in Loop: Header=BB121_22 Depth=1
	s_waitcnt vmcnt(0)
	v_cvt_pk_f16_f32 v91, v92, v93
	ds_write_b32 v101, v91 offset:328
	s_andn2_b64 vcc, exec, s[6:7]
	v_mov_b32_e32 v91, 0
	s_cbranch_vccnz .LBB121_21
; %bb.31:                               ;   in Loop: Header=BB121_22 Depth=1
	ds_read_b32 v90, v22 offset:8
	s_waitcnt lgkmcnt(0)
	v_cmp_gt_i32_e32 vcc, 0, v90
	s_cbranch_vccz .LBB121_20
; %bb.32:                               ;   in Loop: Header=BB121_22 Depth=1
	v_mov_b32_e32 v90, 0
	v_mov_b32_e32 v91, 0
	s_branch .LBB121_21
.LBB121_33:
	s_or_b64 exec, exec, s[10:11]
.LBB121_34:
	s_or_b64 exec, exec, s[14:15]
	v_mov_b32_e32 v18, 0x100
	v_lshl_add_u32 v18, v98, 2, v18
	v_mul_u32_u24_e32 v19, 0x808, v99
	v_and_b32_e32 v20, 0x3f0, v16
	v_add3_u32 v18, v18, v19, v20
	v_cmp_gt_u32_e32 vcc, 3, v17
	s_barrier
	ds_write2_b32 v18, v8, v9 offset0:16 offset1:17
	ds_write2_b32 v18, v10, v11 offset0:18 offset1:19
	ds_write2_b32 v18, v0, v1 offset0:32 offset1:33
	ds_write2_b32 v18, v2, v3 offset0:34 offset1:35
	ds_write2_b32 v18, v4, v5 offset0:48 offset1:49
	ds_write2_b32 v18, v6, v7 offset0:50 offset1:51
	ds_write2_b32 v18, v12, v13 offset0:64 offset1:65
	ds_write2_b32 v18, v14, v15 offset0:66 offset1:67
	s_waitcnt lgkmcnt(0)
	s_barrier
	s_and_saveexec_b64 s[0:1], vcc
	s_cbranch_execz .LBB121_37
; %bb.35:
	v_add_u32_e32 v0, v94, v95
	ds_read_b32 v0, v0
	v_cmp_gt_i32_e64 s[0:1], s9, v97
	s_waitcnt lgkmcnt(0)
	v_cmp_lt_i32_e32 vcc, -1, v0
	s_and_b64 s[0:1], vcc, s[0:1]
	s_and_b64 exec, exec, s[0:1]
	s_cbranch_execz .LBB121_37
; %bb.36:
	v_lshlrev_b32_e32 v1, 2, v16
	s_movk_i32 s2, 0x100
	v_mul_u32_u24_e32 v4, 0x808, v17
	v_add3_u32 v1, s2, v1, v4
	ds_read2_b32 v[4:5], v1 offset0:16 offset1:80
	ds_read2_b32 v[6:7], v1 offset0:144 offset1:208
	v_add_u32_e32 v1, 64, v1
	ds_read2st64_b32 v[8:9], v1 offset0:4 offset1:5
	s_mul_hi_i32 s1, s22, s4
	s_waitcnt lgkmcnt(2)
	v_add_f32_e32 v4, 0, v4
	v_add_f32_e32 v10, v4, v5
	ds_read2st64_b32 v[4:5], v1 offset0:6 offset1:7
	s_waitcnt lgkmcnt(2)
	v_add_f32_e32 v1, v10, v6
	v_add_f32_e32 v1, v1, v7
	s_mul_i32 s0, s22, s4
	s_waitcnt lgkmcnt(1)
	v_add_f32_e32 v1, v1, v8
	s_lshl_b64 s[0:1], s[0:1], 2
	v_add_f32_e32 v1, v1, v9
	v_mul_hi_i32 v3, v96, s13
	v_mul_lo_u32 v2, v96, s13
	s_add_u32 s0, s24, s0
	s_waitcnt lgkmcnt(0)
	v_add_f32_e32 v1, v1, v4
	s_addc_u32 s1, s25, s1
	v_lshlrev_b64 v[2:3], 2, v[2:3]
	v_add_f32_e32 v4, v1, v5
	v_add_u32_e32 v1, s5, v16
	v_mul_lo_u32 v5, s13, v17
	v_mul_lo_u32 v0, v0, s18
	v_lshl_add_u64 v[2:3], s[0:1], 0, v[2:3]
	v_add3_u32 v0, v1, v5, v0
	v_mov_b32_e32 v1, 0
	v_lshl_add_u64 v[0:1], v[0:1], 2, v[2:3]
	global_store_dword v[0:1], v4, off
.LBB121_37:
	s_endpgm
	.section	.rodata,"a",@progbits
	.p2align	6, 0x0
	.amdhsa_kernel _ZL9mul_mat_fI7__half2Li64ELi3ELi8ELb1EEvPKT_PKfPKiPfiiiiiiiiiiiiiiii
		.amdhsa_group_segment_fixed_size 256
		.amdhsa_private_segment_fixed_size 0
		.amdhsa_kernarg_size 352
		.amdhsa_user_sgpr_count 2
		.amdhsa_user_sgpr_dispatch_ptr 0
		.amdhsa_user_sgpr_queue_ptr 0
		.amdhsa_user_sgpr_kernarg_segment_ptr 1
		.amdhsa_user_sgpr_dispatch_id 0
		.amdhsa_user_sgpr_kernarg_preload_length 0
		.amdhsa_user_sgpr_kernarg_preload_offset 0
		.amdhsa_user_sgpr_private_segment_size 0
		.amdhsa_uses_dynamic_stack 0
		.amdhsa_enable_private_segment 0
		.amdhsa_system_sgpr_workgroup_id_x 1
		.amdhsa_system_sgpr_workgroup_id_y 1
		.amdhsa_system_sgpr_workgroup_id_z 1
		.amdhsa_system_sgpr_workgroup_info 0
		.amdhsa_system_vgpr_workitem_id 2
		.amdhsa_next_free_vgpr 111
		.amdhsa_next_free_sgpr 89
		.amdhsa_accum_offset 112
		.amdhsa_reserve_vcc 1
		.amdhsa_float_round_mode_32 0
		.amdhsa_float_round_mode_16_64 0
		.amdhsa_float_denorm_mode_32 3
		.amdhsa_float_denorm_mode_16_64 3
		.amdhsa_dx10_clamp 1
		.amdhsa_ieee_mode 1
		.amdhsa_fp16_overflow 0
		.amdhsa_tg_split 0
		.amdhsa_exception_fp_ieee_invalid_op 0
		.amdhsa_exception_fp_denorm_src 0
		.amdhsa_exception_fp_ieee_div_zero 0
		.amdhsa_exception_fp_ieee_overflow 0
		.amdhsa_exception_fp_ieee_underflow 0
		.amdhsa_exception_fp_ieee_inexact 0
		.amdhsa_exception_int_div_zero 0
	.end_amdhsa_kernel
	.section	.text._ZL9mul_mat_fI7__half2Li64ELi3ELi8ELb1EEvPKT_PKfPKiPfiiiiiiiiiiiiiiii,"axG",@progbits,_ZL9mul_mat_fI7__half2Li64ELi3ELi8ELb1EEvPKT_PKfPKiPfiiiiiiiiiiiiiiii,comdat
.Lfunc_end121:
	.size	_ZL9mul_mat_fI7__half2Li64ELi3ELi8ELb1EEvPKT_PKfPKiPfiiiiiiiiiiiiiiii, .Lfunc_end121-_ZL9mul_mat_fI7__half2Li64ELi3ELi8ELb1EEvPKT_PKfPKiPfiiiiiiiiiiiiiiii
                                        ; -- End function
	.set _ZL9mul_mat_fI7__half2Li64ELi3ELi8ELb1EEvPKT_PKfPKiPfiiiiiiiiiiiiiiii.num_vgpr, 111
	.set _ZL9mul_mat_fI7__half2Li64ELi3ELi8ELb1EEvPKT_PKfPKiPfiiiiiiiiiiiiiiii.num_agpr, 0
	.set _ZL9mul_mat_fI7__half2Li64ELi3ELi8ELb1EEvPKT_PKfPKiPfiiiiiiiiiiiiiiii.numbered_sgpr, 89
	.set _ZL9mul_mat_fI7__half2Li64ELi3ELi8ELb1EEvPKT_PKfPKiPfiiiiiiiiiiiiiiii.num_named_barrier, 0
	.set _ZL9mul_mat_fI7__half2Li64ELi3ELi8ELb1EEvPKT_PKfPKiPfiiiiiiiiiiiiiiii.private_seg_size, 0
	.set _ZL9mul_mat_fI7__half2Li64ELi3ELi8ELb1EEvPKT_PKfPKiPfiiiiiiiiiiiiiiii.uses_vcc, 1
	.set _ZL9mul_mat_fI7__half2Li64ELi3ELi8ELb1EEvPKT_PKfPKiPfiiiiiiiiiiiiiiii.uses_flat_scratch, 0
	.set _ZL9mul_mat_fI7__half2Li64ELi3ELi8ELb1EEvPKT_PKfPKiPfiiiiiiiiiiiiiiii.has_dyn_sized_stack, 0
	.set _ZL9mul_mat_fI7__half2Li64ELi3ELi8ELb1EEvPKT_PKfPKiPfiiiiiiiiiiiiiiii.has_recursion, 0
	.set _ZL9mul_mat_fI7__half2Li64ELi3ELi8ELb1EEvPKT_PKfPKiPfiiiiiiiiiiiiiiii.has_indirect_call, 0
	.section	.AMDGPU.csdata,"",@progbits
; Kernel info:
; codeLenInByte = 5464
; TotalNumSgprs: 95
; NumVgprs: 111
; NumAgprs: 0
; TotalNumVgprs: 111
; ScratchSize: 0
; MemoryBound: 0
; FloatMode: 240
; IeeeMode: 1
; LDSByteSize: 256 bytes/workgroup (compile time only)
; SGPRBlocks: 11
; VGPRBlocks: 13
; NumSGPRsForWavesPerEU: 95
; NumVGPRsForWavesPerEU: 111
; AccumOffset: 112
; Occupancy: 4
; WaveLimiterHint : 0
; COMPUTE_PGM_RSRC2:SCRATCH_EN: 0
; COMPUTE_PGM_RSRC2:USER_SGPR: 2
; COMPUTE_PGM_RSRC2:TRAP_HANDLER: 0
; COMPUTE_PGM_RSRC2:TGID_X_EN: 1
; COMPUTE_PGM_RSRC2:TGID_Y_EN: 1
; COMPUTE_PGM_RSRC2:TGID_Z_EN: 1
; COMPUTE_PGM_RSRC2:TIDIG_COMP_CNT: 2
; COMPUTE_PGM_RSRC3_GFX90A:ACCUM_OFFSET: 27
; COMPUTE_PGM_RSRC3_GFX90A:TG_SPLIT: 0
	.section	.text._ZL9mul_mat_fI7__half2Li64ELi3ELi8ELb0EEvPKT_PKfPKiPfiiiiiiiiiiiiiiii,"axG",@progbits,_ZL9mul_mat_fI7__half2Li64ELi3ELi8ELb0EEvPKT_PKfPKiPfiiiiiiiiiiiiiiii,comdat
	.globl	_ZL9mul_mat_fI7__half2Li64ELi3ELi8ELb0EEvPKT_PKfPKiPfiiiiiiiiiiiiiiii ; -- Begin function _ZL9mul_mat_fI7__half2Li64ELi3ELi8ELb0EEvPKT_PKfPKiPfiiiiiiiiiiiiiiii
	.p2align	8
	.type	_ZL9mul_mat_fI7__half2Li64ELi3ELi8ELb0EEvPKT_PKfPKiPfiiiiiiiiiiiiiiii,@function
_ZL9mul_mat_fI7__half2Li64ELi3ELi8ELb0EEvPKT_PKfPKiPfiiiiiiiiiiiiiiii: ; @_ZL9mul_mat_fI7__half2Li64ELi3ELi8ELb0EEvPKT_PKfPKiPfiiiiiiiiiiiiiiii
; %bb.0:
	s_load_dword s5, s[0:1], 0x20
	s_load_dwordx4 s[16:19], s[0:1], 0x2c
	v_bfe_u32 v84, v0, 10, 10
	v_lshlrev_b32_e32 v86, 6, v84
	v_and_b32_e32 v85, 0x3ff, v0
	v_add_u32_e32 v88, v86, v85
	s_waitcnt lgkmcnt(0)
	s_ashr_i32 s19, s4, 31
	v_cmp_le_i32_e32 vcc, s5, v88
	v_and_b32_e32 v87, 15, v85
	s_and_saveexec_b64 s[6:7], vcc
	s_xor_b64 s[6:7], exec, s[6:7]
; %bb.1:
	v_and_b32_e32 v87, 15, v85
                                        ; implicit-def: $vgpr88
; %bb.2:
	s_or_saveexec_b64 s[24:25], s[6:7]
	s_load_dwordx8 s[8:15], s[0:1], 0x40
	s_load_dwordx2 s[6:7], s[0:1], 0x18
	v_mov_b32_e32 v11, 0
	s_lshl_b32 s2, s2, 6
	v_lshlrev_b32_e32 v16, 2, v85
	v_mov_b32_e32 v10, v11
	v_mov_b32_e32 v9, v11
	;; [unrolled: 1-line block ×15, first 2 shown]
	s_xor_b64 exec, exec, s[24:25]
	s_cbranch_execz .LBB122_6
; %bb.3:
	s_waitcnt lgkmcnt(0)
	s_abs_i32 s26, s8
	v_cvt_f32_u32_e32 v0, s26
	s_abs_i32 s27, s12
	v_cvt_f32_u32_e32 v1, s27
	s_sub_i32 s20, 0, s26
	v_rcp_iflag_f32_e32 v0, v0
	s_abs_i32 s28, s3
	v_rcp_iflag_f32_e32 v1, v1
	s_sub_i32 s21, 0, s27
	v_mul_f32_e32 v0, 0x4f7ffffe, v0
	v_cvt_u32_f32_e32 v0, v0
	v_mul_f32_e32 v1, 0x4f7ffffe, v1
	v_cvt_u32_f32_e32 v1, v1
	s_abs_i32 s29, s4
	v_mul_lo_u32 v2, s20, v0
	v_mul_hi_u32 v2, v0, v2
	v_add_u32_e32 v0, v0, v2
	v_mul_hi_u32 v0, s28, v0
	v_mul_lo_u32 v3, s21, v1
	v_mul_lo_u32 v2, v0, s26
	v_mul_hi_u32 v3, v1, v3
	v_sub_u32_e32 v2, s28, v2
	v_add_u32_e32 v1, v1, v3
	v_add_u32_e32 v3, 1, v0
	v_subrev_u32_e32 v4, s26, v2
	v_cmp_le_u32_e32 vcc, s26, v2
	s_load_dwordx4 s[20:23], s[0:1], 0x0
	s_ashr_i32 s0, s3, 31
	v_cndmask_b32_e32 v0, v0, v3, vcc
	v_cndmask_b32_e32 v2, v2, v4, vcc
	s_ashr_i32 s1, s8, 31
	v_add_u32_e32 v3, 1, v0
	v_cmp_le_u32_e32 vcc, s26, v2
	s_xor_b32 s0, s0, s1
	v_mul_hi_u32 v1, s29, v1
	v_cndmask_b32_e32 v0, v0, v3, vcc
	v_xor_b32_e32 v0, s0, v0
	v_subrev_u32_e32 v2, s0, v0
	v_mul_lo_u32 v0, v1, s27
	v_sub_u32_e32 v0, s29, v0
	v_add_u32_e32 v3, 1, v1
	v_subrev_u32_e32 v4, s27, v0
	v_cmp_le_u32_e32 vcc, s27, v0
	s_ashr_i32 s8, s12, 31
	s_xor_b32 s0, s19, s8
	v_cndmask_b32_e32 v1, v1, v3, vcc
	v_cndmask_b32_e32 v0, v0, v4, vcc
	v_add_u32_e32 v3, 1, v1
	v_cmp_le_u32_e32 vcc, s27, v0
	v_mul_lo_u32 v2, v2, s9
	s_mul_hi_i32 s9, s14, s4
	v_cndmask_b32_e32 v0, v1, v3, vcc
	v_xor_b32_e32 v0, s0, v0
	s_mul_i32 s8, s14, s4
	v_subrev_u32_e32 v0, s0, v0
	s_lshl_b64 s[26:27], s[8:9], 2
	v_mul_hi_i32 v1, v0, s13
	v_mul_lo_u32 v0, v0, s13
	s_mul_i32 s0, s16, s2
	s_waitcnt lgkmcnt(0)
	s_add_u32 s8, s22, s26
	v_ashrrev_i32_e32 v3, 31, v2
	v_lshlrev_b64 v[0:1], 2, v[0:1]
	s_mul_i32 s12, s10, s3
	s_addc_u32 s9, s23, s27
	s_ashr_i32 s1, s0, 31
	v_lshl_add_u64 v[4:5], s[20:21], 0, v[0:1]
	v_lshlrev_b64 v[2:3], 2, v[2:3]
	s_lshl_b64 s[74:75], s[0:1], 2
	s_ashr_i32 s13, s12, 31
	v_lshl_add_u64 v[4:5], v[4:5], 0, v[2:3]
	s_lshl_b64 s[28:29], s[12:13], 2
	v_lshl_add_u64 v[2:3], v[2:3], 0, s[74:75]
	s_add_u32 s0, s8, s28
	s_movk_i32 s8, 0x1080
	v_mov_b32_e32 v21, 0
	v_lshlrev_b32_e32 v20, 8, v84
	v_lshl_add_u64 v[0:1], v[2:3], 0, v[0:1]
	v_lshl_add_u64 v[18:19], v[4:5], 0, s[74:75]
	s_addc_u32 s1, s9, s29
	v_mad_u32_u24 v4, v84, s8, 0
	s_ashr_i32 s9, s16, 31
	s_mov_b32 s8, s16
	s_ashr_i32 s13, s17, 31
	s_mov_b32 s12, s17
	v_lshl_add_u64 v[0:1], v[0:1], 0, v[20:21]
	v_mov_b32_e32 v17, v21
	s_add_i32 s10, s16, s16
	s_add_i32 s14, s17, s17
	s_lshl_b32 s30, s16, 2
	s_lshl_b32 s35, s16, 3
	s_lshl_b32 s43, s16, 4
	s_lshl_b32 s59, s16, 5
	s_lshl_b64 s[8:9], s[8:9], 2
	s_lshl_b64 s[12:13], s[12:13], 3
	v_lshl_add_u64 v[0:1], v[0:1], 0, v[16:17]
	v_lshlrev_b32_e32 v20, 9, v84
	v_lshrrev_b32_e32 v6, 1, v85
	s_add_u32 s22, s22, s28
	v_lshl_add_u64 v[22:23], s[20:21], 0, v[0:1]
	v_lshl_add_u64 v[0:1], s[26:27], 0, v[20:21]
	v_lshlrev_b32_e32 v20, 3, v85
	v_mul_u32_u24_e32 v5, 0x108, v87
	v_and_b32_e32 v6, 0x1f8, v6
	s_addc_u32 s23, s23, s29
	v_lshl_add_u64 v[0:1], v[0:1], 0, v[20:21]
	v_add_u32_e32 v89, v4, v16
	v_add3_u32 v90, v4, v5, v6
	s_mul_i32 s19, s16, 3
	s_mul_i32 s31, s16, 5
	;; [unrolled: 1-line block ×47, first 2 shown]
	v_lshl_add_u64 v[24:25], s[22:23], 0, v[0:1]
	s_mul_i32 s77, s16, 54
	s_mul_i32 s78, s16, 55
	v_mov_b32_e32 v12, 0
	v_mov_b32_e32 v13, v21
	;; [unrolled: 1-line block ×16, first 2 shown]
	s_mul_i32 s79, s16, 56
	s_mul_i32 s80, s16, 57
	;; [unrolled: 1-line block ×8, first 2 shown]
	s_mov_b64 s[16:17], 0
	s_mov_b64 s[20:21], 0x800
	;; [unrolled: 1-line block ×3, first 2 shown]
.LBB122_4:                              ; =>This Inner Loop Header: Depth=1
	v_add_u32_e32 v82, s10, v88
	v_add_u32_e32 v74, s19, v88
	;; [unrolled: 1-line block ×8, first 2 shown]
	v_lshl_add_u64 v[80:81], v[22:23], 0, s[8:9]
	v_add_u32_e32 v78, s30, v88
	v_add_u32_e32 v68, s33, v88
	;; [unrolled: 1-line block ×7, first 2 shown]
	v_ashrrev_i32_e32 v83, 31, v82
	v_ashrrev_i32_e32 v75, 31, v74
	;; [unrolled: 1-line block ×8, first 2 shown]
	v_add_u32_e32 v28, s44, v88
	v_add_u32_e32 v44, s45, v88
	global_load_dword v91, v[80:81], off
	v_lshl_add_u64 v[80:81], v[82:83], 2, v[18:19]
	v_ashrrev_i32_e32 v79, 31, v78
	v_lshl_add_u64 v[74:75], v[74:75], 2, v[18:19]
	v_ashrrev_i32_e32 v69, 31, v68
	;; [unrolled: 2-line block ×5, first 2 shown]
	v_lshl_add_u64 v[32:33], v[32:33], 2, v[18:19]
	v_lshl_add_u64 v[30:31], v[30:31], 2, v[18:19]
	;; [unrolled: 1-line block ×3, first 2 shown]
	v_ashrrev_i32_e32 v27, 31, v26
	v_ashrrev_i32_e32 v39, 31, v38
	v_add_u32_e32 v36, s46, v88
	v_add_u32_e32 v52, s47, v88
	global_load_dword v82, v[80:81], off
	v_lshl_add_u64 v[92:93], v[78:79], 2, v[18:19]
	global_load_dword v78, v[74:75], off
	global_load_dword v79, v[92:93], off
	v_lshl_add_u64 v[68:69], v[68:69], 2, v[18:19]
	global_load_dword v62, v[62:63], off
	s_nop 0
	global_load_dword v63, v[68:69], off
	v_lshl_add_u64 v[56:57], v[56:57], 2, v[18:19]
	global_load_dword v48, v[48:49], off
	s_nop 0
	;; [unrolled: 4-line block ×4, first 2 shown]
	global_load_dword v32, v[42:43], off
	s_nop 0
	global_load_dword v30, v[30:31], off
	s_nop 0
	global_load_dword v31, v[34:35], off
	v_lshl_add_u64 v[26:27], v[26:27], 2, v[18:19]
	v_lshl_add_u64 v[34:35], v[38:39], 2, v[18:19]
	v_ashrrev_i32_e32 v29, 31, v28
	v_ashrrev_i32_e32 v45, 31, v44
	v_add_u32_e32 v46, s48, v88
	v_add_u32_e32 v58, s49, v88
	global_load_dword v27, v[26:27], off
	s_nop 0
	global_load_dword v26, v[34:35], off
	v_lshl_add_u64 v[28:29], v[28:29], 2, v[18:19]
	v_lshl_add_u64 v[34:35], v[44:45], 2, v[18:19]
	v_ashrrev_i32_e32 v37, 31, v36
	v_ashrrev_i32_e32 v53, 31, v52
	v_add_u32_e32 v54, s50, v88
	v_add_u32_e32 v64, s51, v88
	;; [unrolled: 9-line block ×6, first 2 shown]
	global_load_dword v39, v[42:43], off
	global_load_dword v41, v[44:45], off
	v_lshl_add_u64 v[42:43], v[66:67], 2, v[18:19]
	v_lshl_add_u64 v[44:45], v[76:77], 2, v[18:19]
	v_ashrrev_i32_e32 v73, 31, v72
	v_ashrrev_i32_e32 v81, 31, v80
	v_add_u32_e32 v56, s60, v88
	v_add_u32_e32 v50, s61, v88
	global_load_dword v42, v[42:43], off
	s_nop 0
	global_load_dword v43, v[44:45], off
	v_lshl_add_u64 v[44:45], v[72:73], 2, v[18:19]
	v_lshl_add_u64 v[46:47], v[80:81], 2, v[18:19]
	v_ashrrev_i32_e32 v75, 31, v74
	v_ashrrev_i32_e32 v69, 31, v68
	v_add_u32_e32 v92, s62, v88
	v_add_u32_e32 v94, s63, v88
	global_load_dword v44, v[44:45], off
	s_nop 0
	;; [unrolled: 9-line block ×3, first 2 shown]
	global_load_dword v46, v[52:53], off
	v_lshl_add_u64 v[52:53], v[56:57], 2, v[18:19]
	v_lshl_add_u64 v[54:55], v[50:51], 2, v[18:19]
	v_ashrrev_i32_e32 v93, 31, v92
	v_ashrrev_i32_e32 v95, 31, v94
	v_add_u32_e32 v100, s66, v88
	v_add_u32_e32 v58, s67, v88
	;; [unrolled: 1-line block ×3, first 2 shown]
	global_load_dword v50, v[52:53], off
	global_load_dword v51, v[54:55], off
	v_lshl_add_u64 v[52:53], v[92:93], 2, v[18:19]
	v_lshl_add_u64 v[54:55], v[94:95], 2, v[18:19]
	v_ashrrev_i32_e32 v97, 31, v96
	v_ashrrev_i32_e32 v99, 31, v98
	v_add_u32_e32 v60, s69, v88
	v_add_u32_e32 v66, s70, v88
	;; [unrolled: 1-line block ×3, first 2 shown]
	global_load_dword v52, v[52:53], off
	s_nop 0
	global_load_dword v53, v[54:55], off
	v_lshl_add_u64 v[54:55], v[96:97], 2, v[18:19]
	v_lshl_add_u64 v[56:57], v[98:99], 2, v[18:19]
	v_ashrrev_i32_e32 v101, 31, v100
	v_ashrrev_i32_e32 v59, 31, v58
	;; [unrolled: 1-line block ×3, first 2 shown]
	v_add_u32_e32 v68, s72, v88
	v_add_u32_e32 v72, s28, v88
	global_load_dword v54, v[54:55], off
	s_nop 0
	global_load_dword v55, v[56:57], off
	v_lshl_add_u64 v[56:57], v[100:101], 2, v[18:19]
	v_lshl_add_u64 v[58:59], v[58:59], 2, v[18:19]
	v_ashrrev_i32_e32 v61, 31, v60
	v_lshl_add_u64 v[64:65], v[64:65], 2, v[18:19]
	v_ashrrev_i32_e32 v67, 31, v66
	v_ashrrev_i32_e32 v71, 31, v70
	v_add_u32_e32 v74, s29, v88
	global_load_dword v56, v[56:57], off
	s_nop 0
	global_load_dword v57, v[58:59], off
	v_add_u32_e32 v58, s74, v88
	v_lshl_add_u64 v[60:61], v[60:61], 2, v[18:19]
	global_load_dword v80, v[64:65], off
	global_load_dword v81, v[60:61], off
	v_lshl_add_u64 v[64:65], v[66:67], 2, v[18:19]
	v_lshl_add_u64 v[66:67], v[70:71], 2, v[18:19]
	v_ashrrev_i32_e32 v69, 31, v68
	v_ashrrev_i32_e32 v73, 31, v72
	v_add_u32_e32 v76, s73, v88
	v_add_u32_e32 v60, s75, v88
	global_load_dword v83, v[64:65], off
	global_load_dword v92, v[66:67], off
	v_lshl_add_u64 v[66:67], v[68:69], 2, v[18:19]
	v_lshl_add_u64 v[68:69], v[72:73], 2, v[18:19]
	v_ashrrev_i32_e32 v75, 31, v74
	v_ashrrev_i32_e32 v59, 31, v58
	v_add_u32_e32 v64, s76, v88
	global_load_dword v72, v[66:67], off
	global_load_dword v73, v[68:69], off
	v_add_u32_e32 v66, s26, v88
	v_ashrrev_i32_e32 v77, 31, v76
	v_lshl_add_u64 v[68:69], v[74:75], 2, v[18:19]
	v_ashrrev_i32_e32 v61, 31, v60
	v_lshl_add_u64 v[58:59], v[58:59], 2, v[18:19]
	v_lshl_add_u64 v[70:71], v[76:77], 2, v[18:19]
	global_load_dword v74, v[68:69], off
	global_load_dword v75, v[70:71], off
	v_add_u32_e32 v68, s27, v88
	v_lshl_add_u64 v[60:61], v[60:61], 2, v[18:19]
	global_load_dword v76, v[58:59], off
	global_load_dword v77, v[60:61], off
	v_add_u32_e32 v58, s77, v88
	v_ashrrev_i32_e32 v65, 31, v64
	v_ashrrev_i32_e32 v67, 31, v66
	v_lshl_add_u64 v[60:61], v[64:65], 2, v[18:19]
	v_lshl_add_u64 v[64:65], v[66:67], 2, v[18:19]
	v_ashrrev_i32_e32 v69, 31, v68
	v_ashrrev_i32_e32 v59, 31, v58
	global_load_dword v93, v[60:61], off
	global_load_dword v94, v[64:65], off
	v_lshl_add_u64 v[64:65], v[68:69], 2, v[18:19]
	v_lshl_add_u64 v[58:59], v[58:59], 2, v[18:19]
	v_add_u32_e32 v60, s78, v88
	global_load_dword v95, v[64:65], off
	global_load_dword v96, v[58:59], off
	v_add_u32_e32 v58, s79, v88
	v_ashrrev_i32_e32 v61, 31, v60
	v_ashrrev_i32_e32 v59, 31, v58
	v_lshl_add_u64 v[60:61], v[60:61], 2, v[18:19]
	v_lshl_add_u64 v[58:59], v[58:59], 2, v[18:19]
	global_load_dword v97, v[60:61], off
	global_load_dword v98, v[58:59], off
	v_add_u32_e32 v58, s80, v88
	v_ashrrev_i32_e32 v59, 31, v58
	v_lshl_add_u64 v[58:59], v[58:59], 2, v[18:19]
	global_load_dword v99, v[58:59], off
	v_add_u32_e32 v58, s81, v88
	v_ashrrev_i32_e32 v59, 31, v58
	v_lshl_add_u64 v[58:59], v[58:59], 2, v[18:19]
	;; [unrolled: 4-line block ×7, first 2 shown]
	global_load_dword v105, v[58:59], off
	s_nop 0
	global_load_dword v58, v[22:23], off
	s_waitcnt vmcnt(62)
	ds_write_b32 v89, v91 offset:264
	v_lshl_add_u64 v[22:23], v[22:23], 0, s[20:21]
	s_waitcnt vmcnt(0)
	ds_write_b32 v89, v58
	global_load_dwordx2 v[58:59], v[24:25], off
	s_waitcnt vmcnt(0)
	v_cvt_pk_f16_f32 v106, v58, v59
	v_lshl_add_u64 v[58:59], v[24:25], 0, s[12:13]
	global_load_dwordx2 v[58:59], v[58:59], off
	ds_write_b32 v89, v82 offset:528
	ds_write_b32 v89, v78 offset:792
	;; [unrolled: 1-line block ×8, first 2 shown]
	v_add_u32_e32 v48, s14, v88
	v_ashrrev_i32_e32 v49, 31, v48
	v_lshl_add_u64 v[48:49], v[48:49], 3, s[0:1]
	global_load_dwordx2 v[48:49], v[48:49], off
	ds_write_b32 v89, v17 offset:2640
	ds_write_b32 v89, v20 offset:2904
	;; [unrolled: 1-line block ×6, first 2 shown]
	v_add_u32_e32 v88, 0x200, v88
	v_cmp_le_i32_e32 vcc, s5, v88
	s_or_b64 s[16:17], vcc, s[16:17]
	v_lshl_add_u64 v[24:25], v[24:25], 0, s[22:23]
	s_waitcnt vmcnt(1)
	v_cvt_pk_f16_f32 v91, v58, v59
	s_waitcnt vmcnt(0)
	v_cvt_pk_f16_f32 v17, v48, v49
	ds_read_b64 v[30:31], v90
	ds_read_b64 v[48:49], v90 offset:32
	ds_read_b64 v[58:59], v90 offset:64
	ds_read_b64 v[60:61], v90 offset:96
	ds_read_b64 v[62:63], v90 offset:128
	ds_read_b64 v[64:65], v90 offset:160
	ds_read_b64 v[66:67], v90 offset:192
	ds_read_b64 v[68:69], v90 offset:224
	ds_write_b32 v89, v26
	ds_write_b32 v89, v28 offset:264
	ds_write_b32 v89, v29 offset:528
	ds_write_b32 v89, v33 offset:792
	ds_write_b32 v89, v34 offset:1056
	ds_write_b32 v89, v35 offset:1320
	ds_write_b32 v89, v36 offset:1584
	ds_write_b32 v89, v37 offset:1848
	ds_write_b32 v89, v38 offset:2112
	ds_write_b32 v89, v39 offset:2376
	ds_write_b32 v89, v41 offset:2640
	ds_write_b32 v89, v42 offset:2904
	ds_write_b32 v89, v43 offset:3168
	ds_write_b32 v89, v44 offset:3432
	ds_write_b32 v89, v45 offset:3696
	ds_write_b32 v89, v47 offset:3960
	ds_read_b64 v[26:27], v90
	ds_read_b64 v[28:29], v90 offset:32
	ds_read_b64 v[32:33], v90 offset:64
	ds_read_b64 v[34:35], v90 offset:96
	ds_read_b64 v[36:37], v90 offset:128
	ds_read_b64 v[38:39], v90 offset:160
	ds_read_b64 v[40:41], v90 offset:192
	ds_read_b64 v[42:43], v90 offset:224
	ds_write_b32 v89, v46
	ds_write_b32 v89, v50 offset:264
	ds_write_b32 v89, v51 offset:528
	ds_write_b32 v89, v52 offset:792
	ds_write_b32 v89, v53 offset:1056
	ds_write_b32 v89, v54 offset:1320
	ds_write_b32 v89, v55 offset:1584
	ds_write_b32 v89, v56 offset:1848
	ds_write_b32 v89, v57 offset:2112
	ds_write_b32 v89, v80 offset:2376
	ds_write_b32 v89, v81 offset:2640
	ds_write_b32 v89, v83 offset:2904
	ds_write_b32 v89, v92 offset:3168
	ds_write_b32 v89, v72 offset:3432
	ds_write_b32 v89, v73 offset:3696
	ds_write_b32 v89, v74 offset:3960
	;; [unrolled: 24-line block ×4, first 2 shown]
	ds_read_b64 v[98:99], v90
	s_waitcnt lgkmcnt(0)
	v_mfma_f32_16x16x16_f16 v[4:7], v[26:27], v[98:99], v[4:7]
	ds_read_b64 v[26:27], v90 offset:32
	v_mfma_f32_16x16x16_f16 v[8:11], v[30:31], v[98:99], v[8:11]
	v_mfma_f32_16x16x16_f16 v[0:3], v[44:45], v[98:99], v[0:3]
	;; [unrolled: 1-line block ×3, first 2 shown]
	s_waitcnt lgkmcnt(0)
	v_mfma_f32_16x16x16_f16 v[8:11], v[48:49], v[26:27], v[8:11]
	v_mfma_f32_16x16x16_f16 v[4:7], v[28:29], v[26:27], v[4:7]
	v_mfma_f32_16x16x16_f16 v[0:3], v[46:47], v[26:27], v[0:3]
	v_mfma_f32_16x16x16_f16 v[12:15], v[76:77], v[26:27], v[12:15]
	ds_read_b64 v[26:27], v90 offset:64
	s_waitcnt lgkmcnt(0)
	v_mfma_f32_16x16x16_f16 v[8:11], v[58:59], v[26:27], v[8:11]
	v_mfma_f32_16x16x16_f16 v[4:7], v[32:33], v[26:27], v[4:7]
	v_mfma_f32_16x16x16_f16 v[0:3], v[50:51], v[26:27], v[0:3]
	v_mfma_f32_16x16x16_f16 v[12:15], v[78:79], v[26:27], v[12:15]
	ds_read_b64 v[26:27], v90 offset:96
	;; [unrolled: 6-line block ×6, first 2 shown]
	s_waitcnt lgkmcnt(0)
	v_mfma_f32_16x16x16_f16 v[8:11], v[68:69], v[26:27], v[8:11]
	v_mfma_f32_16x16x16_f16 v[4:7], v[42:43], v[26:27], v[4:7]
	;; [unrolled: 1-line block ×4, first 2 shown]
	s_andn2_b64 exec, exec, s[16:17]
	s_cbranch_execnz .LBB122_4
; %bb.5:
	s_or_b64 exec, exec, s[16:17]
.LBB122_6:
	s_or_b64 exec, exec, s[24:25]
	v_lshl_add_u32 v17, v86, 2, 0
	v_mul_u32_u24_e32 v18, 0x808, v87
	v_and_b32_e32 v19, 0x3f0, v85
	v_add3_u32 v17, v17, v18, v19
	v_cmp_gt_u32_e32 vcc, 3, v84
	s_waitcnt lgkmcnt(0)
	s_barrier
	ds_write2_b32 v17, v8, v9 offset1:1
	ds_write2_b32 v17, v10, v11 offset0:2 offset1:3
	ds_write2_b32 v17, v4, v5 offset0:16 offset1:17
	;; [unrolled: 1-line block ×7, first 2 shown]
	s_waitcnt lgkmcnt(0)
	s_barrier
	s_and_saveexec_b64 s[0:1], vcc
	s_cbranch_execz .LBB122_8
; %bb.7:
	v_mul_u32_u24_e32 v0, 0x808, v84
	v_add3_u32 v8, 0, v16, v0
	ds_read2st64_b32 v[2:3], v8 offset1:1
	ds_read2st64_b32 v[4:5], v8 offset0:2 offset1:3
	ds_read2st64_b32 v[6:7], v8 offset0:4 offset1:5
	;; [unrolled: 1-line block ×3, first 2 shown]
	s_mul_hi_i32 s1, s15, s4
	s_mul_i32 s0, s15, s4
	s_lshl_b64 s[0:1], s[0:1], 2
	s_waitcnt lgkmcnt(3)
	v_add_f32_e32 v2, 0, v2
	v_add_f32_e32 v2, v2, v3
	s_mul_i32 s4, s11, s3
	s_add_u32 s3, s6, s0
	s_waitcnt lgkmcnt(2)
	v_add_f32_e32 v2, v2, v4
	s_addc_u32 s6, s7, s1
	s_ashr_i32 s5, s4, 31
	v_add_f32_e32 v2, v2, v5
	s_lshl_b64 s[0:1], s[4:5], 2
	s_waitcnt lgkmcnt(1)
	v_add_f32_e32 v2, v2, v6
	s_add_u32 s0, s3, s0
	v_mul_lo_u32 v0, s18, v84
	v_add_f32_e32 v2, v2, v7
	s_addc_u32 s1, s6, s1
	v_add3_u32 v0, s2, v85, v0
	v_mov_b32_e32 v1, 0
	s_waitcnt lgkmcnt(0)
	v_add_f32_e32 v2, v2, v8
	v_add_f32_e32 v2, v2, v9
	v_lshl_add_u64 v[0:1], v[0:1], 2, s[0:1]
	global_store_dword v[0:1], v2, off
.LBB122_8:
	s_endpgm
	.section	.rodata,"a",@progbits
	.p2align	6, 0x0
	.amdhsa_kernel _ZL9mul_mat_fI7__half2Li64ELi3ELi8ELb0EEvPKT_PKfPKiPfiiiiiiiiiiiiiiii
		.amdhsa_group_segment_fixed_size 0
		.amdhsa_private_segment_fixed_size 0
		.amdhsa_kernarg_size 96
		.amdhsa_user_sgpr_count 2
		.amdhsa_user_sgpr_dispatch_ptr 0
		.amdhsa_user_sgpr_queue_ptr 0
		.amdhsa_user_sgpr_kernarg_segment_ptr 1
		.amdhsa_user_sgpr_dispatch_id 0
		.amdhsa_user_sgpr_kernarg_preload_length 0
		.amdhsa_user_sgpr_kernarg_preload_offset 0
		.amdhsa_user_sgpr_private_segment_size 0
		.amdhsa_uses_dynamic_stack 0
		.amdhsa_enable_private_segment 0
		.amdhsa_system_sgpr_workgroup_id_x 1
		.amdhsa_system_sgpr_workgroup_id_y 1
		.amdhsa_system_sgpr_workgroup_id_z 1
		.amdhsa_system_sgpr_workgroup_info 0
		.amdhsa_system_vgpr_workitem_id 1
		.amdhsa_next_free_vgpr 107
		.amdhsa_next_free_sgpr 87
		.amdhsa_accum_offset 108
		.amdhsa_reserve_vcc 1
		.amdhsa_float_round_mode_32 0
		.amdhsa_float_round_mode_16_64 0
		.amdhsa_float_denorm_mode_32 3
		.amdhsa_float_denorm_mode_16_64 3
		.amdhsa_dx10_clamp 1
		.amdhsa_ieee_mode 1
		.amdhsa_fp16_overflow 0
		.amdhsa_tg_split 0
		.amdhsa_exception_fp_ieee_invalid_op 0
		.amdhsa_exception_fp_denorm_src 0
		.amdhsa_exception_fp_ieee_div_zero 0
		.amdhsa_exception_fp_ieee_overflow 0
		.amdhsa_exception_fp_ieee_underflow 0
		.amdhsa_exception_fp_ieee_inexact 0
		.amdhsa_exception_int_div_zero 0
	.end_amdhsa_kernel
	.section	.text._ZL9mul_mat_fI7__half2Li64ELi3ELi8ELb0EEvPKT_PKfPKiPfiiiiiiiiiiiiiiii,"axG",@progbits,_ZL9mul_mat_fI7__half2Li64ELi3ELi8ELb0EEvPKT_PKfPKiPfiiiiiiiiiiiiiiii,comdat
.Lfunc_end122:
	.size	_ZL9mul_mat_fI7__half2Li64ELi3ELi8ELb0EEvPKT_PKfPKiPfiiiiiiiiiiiiiiii, .Lfunc_end122-_ZL9mul_mat_fI7__half2Li64ELi3ELi8ELb0EEvPKT_PKfPKiPfiiiiiiiiiiiiiiii
                                        ; -- End function
	.set _ZL9mul_mat_fI7__half2Li64ELi3ELi8ELb0EEvPKT_PKfPKiPfiiiiiiiiiiiiiiii.num_vgpr, 107
	.set _ZL9mul_mat_fI7__half2Li64ELi3ELi8ELb0EEvPKT_PKfPKiPfiiiiiiiiiiiiiiii.num_agpr, 0
	.set _ZL9mul_mat_fI7__half2Li64ELi3ELi8ELb0EEvPKT_PKfPKiPfiiiiiiiiiiiiiiii.numbered_sgpr, 87
	.set _ZL9mul_mat_fI7__half2Li64ELi3ELi8ELb0EEvPKT_PKfPKiPfiiiiiiiiiiiiiiii.num_named_barrier, 0
	.set _ZL9mul_mat_fI7__half2Li64ELi3ELi8ELb0EEvPKT_PKfPKiPfiiiiiiiiiiiiiiii.private_seg_size, 0
	.set _ZL9mul_mat_fI7__half2Li64ELi3ELi8ELb0EEvPKT_PKfPKiPfiiiiiiiiiiiiiiii.uses_vcc, 1
	.set _ZL9mul_mat_fI7__half2Li64ELi3ELi8ELb0EEvPKT_PKfPKiPfiiiiiiiiiiiiiiii.uses_flat_scratch, 0
	.set _ZL9mul_mat_fI7__half2Li64ELi3ELi8ELb0EEvPKT_PKfPKiPfiiiiiiiiiiiiiiii.has_dyn_sized_stack, 0
	.set _ZL9mul_mat_fI7__half2Li64ELi3ELi8ELb0EEvPKT_PKfPKiPfiiiiiiiiiiiiiiii.has_recursion, 0
	.set _ZL9mul_mat_fI7__half2Li64ELi3ELi8ELb0EEvPKT_PKfPKiPfiiiiiiiiiiiiiiii.has_indirect_call, 0
	.section	.AMDGPU.csdata,"",@progbits
; Kernel info:
; codeLenInByte = 4316
; TotalNumSgprs: 93
; NumVgprs: 107
; NumAgprs: 0
; TotalNumVgprs: 107
; ScratchSize: 0
; MemoryBound: 0
; FloatMode: 240
; IeeeMode: 1
; LDSByteSize: 0 bytes/workgroup (compile time only)
; SGPRBlocks: 11
; VGPRBlocks: 13
; NumSGPRsForWavesPerEU: 93
; NumVGPRsForWavesPerEU: 107
; AccumOffset: 108
; Occupancy: 4
; WaveLimiterHint : 0
; COMPUTE_PGM_RSRC2:SCRATCH_EN: 0
; COMPUTE_PGM_RSRC2:USER_SGPR: 2
; COMPUTE_PGM_RSRC2:TRAP_HANDLER: 0
; COMPUTE_PGM_RSRC2:TGID_X_EN: 1
; COMPUTE_PGM_RSRC2:TGID_Y_EN: 1
; COMPUTE_PGM_RSRC2:TGID_Z_EN: 1
; COMPUTE_PGM_RSRC2:TIDIG_COMP_CNT: 1
; COMPUTE_PGM_RSRC3_GFX90A:ACCUM_OFFSET: 26
; COMPUTE_PGM_RSRC3_GFX90A:TG_SPLIT: 0
	.section	.text._ZL13mul_mat_f_idsI15__hip_bfloat162Li64ELi3ELi1EEvPKT_PKfPKiS7_S7_Pfiiiiiiiiiiiiii15HIP_vector_typeIjLj3EESA_,"axG",@progbits,_ZL13mul_mat_f_idsI15__hip_bfloat162Li64ELi3ELi1EEvPKT_PKfPKiS7_S7_Pfiiiiiiiiiiiiii15HIP_vector_typeIjLj3EESA_,comdat
	.globl	_ZL13mul_mat_f_idsI15__hip_bfloat162Li64ELi3ELi1EEvPKT_PKfPKiS7_S7_Pfiiiiiiiiiiiiii15HIP_vector_typeIjLj3EESA_ ; -- Begin function _ZL13mul_mat_f_idsI15__hip_bfloat162Li64ELi3ELi1EEvPKT_PKfPKiS7_S7_Pfiiiiiiiiiiiiii15HIP_vector_typeIjLj3EESA_
	.p2align	8
	.type	_ZL13mul_mat_f_idsI15__hip_bfloat162Li64ELi3ELi1EEvPKT_PKfPKiS7_S7_Pfiiiiiiiiiiiiii15HIP_vector_typeIjLj3EESA_,@function
_ZL13mul_mat_f_idsI15__hip_bfloat162Li64ELi3ELi1EEvPKT_PKfPKiS7_S7_Pfiiiiiiiiiiiiii15HIP_vector_typeIjLj3EESA_: ; @_ZL13mul_mat_f_idsI15__hip_bfloat162Li64ELi3ELi1EEvPKT_PKfPKiS7_S7_Pfiiiiiiiiiiiiii15HIP_vector_typeIjLj3EESA_
; %bb.0:
	s_load_dwordx2 s[6:7], s[0:1], 0x20
	s_mov_b32 s34, s3
	s_ashr_i32 s35, s3, 31
	s_lshl_b64 s[8:9], s[34:35], 2
	s_waitcnt lgkmcnt(0)
	s_add_u32 s6, s6, s8
	s_addc_u32 s7, s7, s9
	s_load_dwordx2 s[26:27], s[6:7], 0x0
	s_waitcnt lgkmcnt(0)
	s_sub_i32 s33, s27, s26
	s_add_i32 s3, s33, 2
	s_mul_hi_i32 s3, s3, 0x55555556
	s_lshr_b32 s5, s3, 31
	s_add_i32 s3, s3, s5
	s_cmp_ge_i32 s4, s3
	s_cbranch_scc1 .LBB123_25
; %bb.1:
	v_bfe_u32 v2, v0, 10, 10
	v_lshlrev_b32_e32 v70, 6, v2
	v_and_b32_e32 v3, 0x3ff, v0
	s_load_dwordx4 s[12:15], s[0:1], 0x30
	s_load_dwordx2 s[20:21], s[0:1], 0x40
	s_load_dwordx4 s[8:11], s[0:1], 0x4c
	s_load_dwordx4 s[16:19], s[0:1], 0x68
	s_load_dwordx2 s[24:25], s[0:1], 0x78
	v_or_b32_e32 v72, v70, v3
	s_ashr_i32 s27, s26, 31
	s_waitcnt lgkmcnt(0)
	v_cmp_le_i32_e32 vcc, s12, v72
	v_and_b32_e32 v0, 15, v3
                                        ; implicit-def: $vgpr71
	s_and_saveexec_b64 s[6:7], vcc
	s_xor_b64 s[6:7], exec, s[6:7]
; %bb.2:
	v_mul_u32_u24_e32 v71, 0x108, v0
                                        ; implicit-def: $vgpr72
                                        ; implicit-def: $vgpr0
; %bb.3:
	s_or_saveexec_b64 s[30:31], s[6:7]
	s_load_dwordx2 s[28:29], s[0:1], 0x18
	s_load_dwordx2 s[6:7], s[0:1], 0x28
                                        ; implicit-def: $vgpr82 : SGPR spill to VGPR lane
	s_lshl_b32 s3, s2, 6
	s_mul_i32 s2, s4, 3
	v_mov_b32_e32 v1, 0
	v_accvgpr_write_b32 a4, 0
	s_waitcnt lgkmcnt(0)
	v_writelane_b32 v82, s6, 0
	v_accvgpr_write_b32 a5, 0
	v_accvgpr_write_b32 a6, 0
	;; [unrolled: 1-line block ×15, first 2 shown]
	v_writelane_b32 v82, s7, 1
	s_xor_b64 exec, exec, s[30:31]
	s_cbranch_execz .LBB123_16
; %bb.4:
	s_load_dwordx4 s[4:7], s[0:1], 0x0
	s_load_dwordx2 s[22:23], s[0:1], 0x10
	s_mul_i32 s0, s8, s34
	s_ashr_i32 s1, s0, 31
	v_writelane_b32 v82, s24, 2
	s_lshl_b64 s[44:45], s[0:1], 2
	s_waitcnt lgkmcnt(0)
	s_add_u32 s0, s4, s44
	v_writelane_b32 v82, s25, 3
	s_mul_i32 s24, s15, s3
	s_addc_u32 s1, s5, s45
	s_ashr_i32 s25, s24, 31
	s_lshl_b64 s[46:47], s[24:25], 2
	s_add_u32 s0, s0, s46
	s_addc_u32 s1, s1, s47
	s_lshl_b64 s[24:25], s[26:27], 2
	s_add_u32 s8, s22, s24
	s_addc_u32 s11, s23, s25
	v_writelane_b32 v82, s3, 4
	s_movk_i32 s3, 0x1080
	s_cmp_lt_i32 s2, s33
	v_mad_u32_u24 v5, v2, s3, 0
	s_cselect_b64 s[34:35], -1, 0
	s_ashr_i32 s3, s2, 31
	s_lshl_b64 s[22:23], s[2:3], 2
	s_add_u32 s36, s8, s22
	s_addc_u32 s37, s11, s23
	s_add_i32 s3, s2, 1
	s_cmp_lt_i32 s3, s33
	s_cselect_b64 s[38:39], -1, 0
	s_add_i32 s3, s2, 2
	s_cmp_lt_i32 s3, s33
	s_cselect_b64 s[40:41], -1, 0
	s_ashr_i32 s23, s15, 31
	s_mov_b32 s22, s15
	v_mul_u32_u24_e32 v71, 0x108, v0
	v_lshrrev_b32_e32 v0, 1, v3
	s_add_i32 s3, s15, s15
	s_lshl_b32 s48, s15, 2
	s_lshl_b32 s52, s15, 3
	;; [unrolled: 1-line block ×4, first 2 shown]
	s_lshl_b64 s[42:43], s[22:23], 2
	v_and_b32_e32 v0, 0x1f8, v0
	s_add_u32 s22, s44, s46
	v_lshlrev_b32_e32 v4, 2, v3
	v_add3_u32 v74, v5, v71, v0
	s_addc_u32 s23, s45, s47
	v_lshlrev_b32_e32 v0, 8, v2
	v_add_u32_e32 v73, v5, v4
	v_lshl_add_u64 v[6:7], s[22:23], 0, v[0:1]
	v_mov_b32_e32 v5, v1
	v_lshl_add_u64 v[4:5], v[6:7], 0, v[4:5]
	s_mul_i32 s8, s15, 3
	s_mul_i32 s49, s15, 5
	s_mul_i32 s50, s15, 6
	s_mul_i32 s51, s15, 7
	s_mul_i32 s53, s15, 9
	s_mul_i32 s54, s15, 10
	s_mul_i32 s55, s15, 11
	s_mul_i32 s56, s15, 12
	s_mul_i32 s57, s15, 13
	s_mul_i32 s58, s15, 14
	s_mul_i32 s59, s15, 15
	s_mul_i32 s61, s15, 17
	s_mul_i32 s62, s15, 18
	s_mul_i32 s63, s15, 19
	s_mul_i32 s64, s15, 20
	s_mul_i32 s65, s15, 21
	s_mul_i32 s66, s15, 22
	s_mul_i32 s67, s15, 23
	s_mul_i32 s68, s15, 24
	s_mul_i32 s69, s15, 25
	s_mul_i32 s70, s15, 26
	s_mul_i32 s71, s15, 27
	s_mul_i32 s72, s15, 28
	s_mul_i32 s73, s15, 29
	s_mul_i32 s74, s15, 30
	s_mul_i32 s75, s15, 31
	s_mul_i32 s77, s15, 33
	s_mul_i32 s78, s15, 34
	s_mul_i32 s79, s15, 35
	s_mul_i32 s80, s15, 36
	s_mul_i32 s81, s15, 37
	s_mul_i32 s82, s15, 38
	s_mul_i32 s83, s15, 39
	s_mul_i32 s84, s15, 40
	s_mul_i32 s85, s15, 41
	s_mul_i32 s44, s15, 42
	s_mul_i32 s45, s15, 43
	s_mul_i32 s46, s15, 44
	s_mul_i32 s47, s15, 45
	s_mul_i32 s86, s15, 46
	s_mul_i32 s87, s15, 47
	s_mul_i32 s88, s15, 48
	s_mul_i32 s89, s15, 49
	v_accvgpr_write_b32 a15, 0
	v_accvgpr_write_b32 a14, 0
	;; [unrolled: 1-line block ×16, first 2 shown]
	v_lshl_add_u64 v[4:5], s[4:5], 0, v[4:5]
	s_mul_i32 s90, s15, 50
	s_mul_i32 s91, s15, 51
	;; [unrolled: 1-line block ×14, first 2 shown]
	s_mov_b32 s22, 0x5040100
	s_mov_b64 s[4:5], 0
	s_branch .LBB123_6
.LBB123_5:                              ;   in Loop: Header=BB123_6 Depth=1
	v_perm_b32 v0, v0, v75, s22
	v_perm_b32 v75, v77, v78, s22
	ds_write2_b32 v73, v0, v75 offset1:66
	v_perm_b32 v0, v79, v76, s22
	ds_write2_b32 v73, v0, v1 offset0:132 offset1:198
	v_add_u32_e32 v0, 0x400, v73
	ds_write2_b32 v0, v1, v1 offset0:8 offset1:74
	ds_write2_b32 v0, v1, v1 offset0:140 offset1:206
	v_add_u32_e32 v0, 0x800, v73
	ds_write2_b32 v0, v1, v1 offset0:16 offset1:82
	;; [unrolled: 3-line block ×3, first 2 shown]
	ds_write2_b32 v0, v1, v1 offset0:156 offset1:222
	ds_read2_b64 v[76:79], v74 offset1:4
	s_waitcnt lgkmcnt(0)
	v_mfma_f32_16x16x16_bf16 a[4:7], v[12:13], v[76:77], a[4:7]
	v_add_u32_e32 v72, 64, v72
	s_mov_b64 vcc, 0x100
	v_lshl_add_u64 v[4:5], v[4:5], 0, vcc
	v_mfma_f32_16x16x16_bf16 a[0:3], v[38:39], v[76:77], a[0:3]
	v_cmp_le_i32_e32 vcc, s12, v72
	s_or_b64 s[4:5], vcc, s[4:5]
	v_mfma_f32_16x16x16_bf16 a[8:11], v[52:53], v[76:77], a[8:11]
	v_mfma_f32_16x16x16_bf16 a[12:15], v[68:69], v[76:77], a[12:15]
	;; [unrolled: 1-line block ×3, first 2 shown]
	ds_read2_b64 v[10:13], v74 offset0:8 offset1:12
	v_mfma_f32_16x16x16_bf16 a[0:3], v[36:37], v[78:79], a[0:3]
	v_mfma_f32_16x16x16_bf16 a[8:11], v[50:51], v[78:79], a[8:11]
	;; [unrolled: 1-line block ×3, first 2 shown]
	s_waitcnt lgkmcnt(0)
	v_mfma_f32_16x16x16_bf16 a[4:7], v[8:9], v[10:11], a[4:7]
	v_mfma_f32_16x16x16_bf16 a[0:3], v[32:33], v[10:11], a[0:3]
	;; [unrolled: 1-line block ×5, first 2 shown]
	ds_read2_b64 v[6:9], v74 offset0:16 offset1:20
	v_mfma_f32_16x16x16_bf16 a[0:3], v[30:31], v[12:13], a[0:3]
	v_mfma_f32_16x16x16_bf16 a[8:11], v[46:47], v[12:13], a[8:11]
	;; [unrolled: 1-line block ×3, first 2 shown]
	s_waitcnt lgkmcnt(0)
	v_mfma_f32_16x16x16_bf16 a[4:7], v[20:21], v[6:7], a[4:7]
	v_mfma_f32_16x16x16_bf16 a[0:3], v[28:29], v[6:7], a[0:3]
	;; [unrolled: 1-line block ×8, first 2 shown]
	ds_read2_b64 v[6:9], v74 offset0:24 offset1:28
	s_waitcnt lgkmcnt(0)
	v_mfma_f32_16x16x16_bf16 a[4:7], v[16:17], v[6:7], a[4:7]
	v_mfma_f32_16x16x16_bf16 a[0:3], v[24:25], v[6:7], a[0:3]
	;; [unrolled: 1-line block ×8, first 2 shown]
	s_andn2_b64 exec, exec, s[4:5]
	s_cbranch_execz .LBB123_15
.LBB123_6:                              ; =>This Inner Loop Header: Depth=1
	v_lshl_add_u64 v[6:7], v[4:5], 0, s[42:43]
	global_load_dword v0, v[4:5], off
	global_load_dword v22, v[6:7], off
	v_add_u32_e32 v6, s3, v72
	v_add_u32_e32 v10, s48, v72
	v_add_u32_e32 v12, s49, v72
	v_add_u32_e32 v18, s52, v72
	v_ashrrev_i32_e32 v7, 31, v6
	v_add_u32_e32 v8, s8, v72
	v_ashrrev_i32_e32 v11, 31, v10
	v_ashrrev_i32_e32 v13, 31, v12
	v_add_u32_e32 v14, s50, v72
	v_add_u32_e32 v16, s51, v72
	v_ashrrev_i32_e32 v19, 31, v18
	v_add_u32_e32 v20, s53, v72
	v_lshl_add_u64 v[6:7], v[6:7], 2, s[0:1]
	v_ashrrev_i32_e32 v9, 31, v8
	v_lshl_add_u64 v[10:11], v[10:11], 2, s[0:1]
	v_lshl_add_u64 v[12:13], v[12:13], 2, s[0:1]
	v_ashrrev_i32_e32 v15, 31, v14
	v_ashrrev_i32_e32 v17, 31, v16
	v_lshl_add_u64 v[18:19], v[18:19], 2, s[0:1]
	v_ashrrev_i32_e32 v21, 31, v20
	v_lshl_add_u64 v[8:9], v[8:9], 2, s[0:1]
	v_lshl_add_u64 v[14:15], v[14:15], 2, s[0:1]
	;; [unrolled: 1-line block ×4, first 2 shown]
	global_load_dword v23, v[6:7], off
	global_load_dword v24, v[8:9], off
	;; [unrolled: 1-line block ×6, first 2 shown]
	s_nop 0
	global_load_dword v18, v[18:19], off
	s_nop 0
	global_load_dword v19, v[20:21], off
	v_add_u32_e32 v6, s54, v72
	v_add_u32_e32 v10, s56, v72
	;; [unrolled: 1-line block ×3, first 2 shown]
	v_ashrrev_i32_e32 v7, 31, v6
	v_add_u32_e32 v8, s55, v72
	v_ashrrev_i32_e32 v11, 31, v10
	v_ashrrev_i32_e32 v13, 31, v12
	v_add_u32_e32 v14, s58, v72
	v_add_u32_e32 v16, s59, v72
	v_lshl_add_u64 v[6:7], v[6:7], 2, s[0:1]
	v_ashrrev_i32_e32 v9, 31, v8
	v_lshl_add_u64 v[10:11], v[10:11], 2, s[0:1]
	v_lshl_add_u64 v[12:13], v[12:13], 2, s[0:1]
	v_ashrrev_i32_e32 v15, 31, v14
	v_ashrrev_i32_e32 v17, 31, v16
	v_lshl_add_u64 v[8:9], v[8:9], 2, s[0:1]
	v_lshl_add_u64 v[14:15], v[14:15], 2, s[0:1]
	;; [unrolled: 1-line block ×3, first 2 shown]
	global_load_dword v20, v[6:7], off
	global_load_dword v21, v[8:9], off
	s_nop 0
	global_load_dword v10, v[10:11], off
	s_nop 0
	;; [unrolled: 2-line block ×3, first 2 shown]
	global_load_dword v12, v[14:15], off
	global_load_dword v13, v[16:17], off
	v_add_u32_e32 v6, s60, v72
	v_add_u32_e32 v8, s61, v72
	v_ashrrev_i32_e32 v7, 31, v6
	v_ashrrev_i32_e32 v9, 31, v8
	v_lshl_add_u64 v[6:7], v[6:7], 2, s[0:1]
	v_add_u32_e32 v14, s62, v72
	v_lshl_add_u64 v[8:9], v[8:9], 2, s[0:1]
	global_load_dword v30, v[6:7], off
	global_load_dword v31, v[8:9], off
	v_ashrrev_i32_e32 v15, 31, v14
	v_add_u32_e32 v16, s63, v72
	v_lshl_add_u64 v[14:15], v[14:15], 2, s[0:1]
	v_ashrrev_i32_e32 v17, 31, v16
	v_lshl_add_u64 v[16:17], v[16:17], 2, s[0:1]
	s_andn2_b64 vcc, exec, s[34:35]
	s_waitcnt vmcnt(17)
	ds_write_b32 v73, v0
	s_waitcnt vmcnt(16)
	ds_write_b32 v73, v22 offset:264
	s_waitcnt vmcnt(15)
	ds_write_b32 v73, v23 offset:528
	;; [unrolled: 2-line block ×15, first 2 shown]
	v_add_u32_e32 v18, s64, v72
	v_add_u32_e32 v20, s65, v72
	;; [unrolled: 1-line block ×6, first 2 shown]
	v_ashrrev_i32_e32 v19, 31, v18
	v_ashrrev_i32_e32 v21, 31, v20
	;; [unrolled: 1-line block ×6, first 2 shown]
	ds_read_b64 v[12:13], v74
	ds_read_b64 v[10:11], v74 offset:32
	ds_read_b64 v[8:9], v74 offset:64
	;; [unrolled: 1-line block ×3, first 2 shown]
	v_lshl_add_u64 v[18:19], v[18:19], 2, s[0:1]
	v_lshl_add_u64 v[20:21], v[20:21], 2, s[0:1]
	v_lshl_add_u64 v[22:23], v[22:23], 2, s[0:1]
	v_lshl_add_u64 v[24:25], v[24:25], 2, s[0:1]
	v_lshl_add_u64 v[26:27], v[26:27], 2, s[0:1]
	v_lshl_add_u64 v[28:29], v[28:29], 2, s[0:1]
	global_load_dword v0, v[14:15], off
	global_load_dword v32, v[16:17], off
	global_load_dword v33, v[18:19], off
	global_load_dword v34, v[20:21], off
	global_load_dword v35, v[22:23], off
	global_load_dword v36, v[24:25], off
	global_load_dword v37, v[26:27], off
	global_load_dword v38, v[28:29], off
	v_add_u32_e32 v14, s70, v72
	v_ashrrev_i32_e32 v15, 31, v14
	v_add_u32_e32 v16, s71, v72
	v_add_u32_e32 v18, s72, v72
	v_add_u32_e32 v20, s73, v72
	v_add_u32_e32 v22, s74, v72
	v_add_u32_e32 v24, s75, v72
	v_add_u32_e32 v26, s76, v72
	v_add_u32_e32 v28, s77, v72
	v_lshl_add_u64 v[14:15], v[14:15], 2, s[0:1]
	v_ashrrev_i32_e32 v17, 31, v16
	v_ashrrev_i32_e32 v19, 31, v18
	v_ashrrev_i32_e32 v21, 31, v20
	v_ashrrev_i32_e32 v23, 31, v22
	v_ashrrev_i32_e32 v25, 31, v24
	v_ashrrev_i32_e32 v27, 31, v26
	v_ashrrev_i32_e32 v29, 31, v28
	v_lshl_add_u64 v[16:17], v[16:17], 2, s[0:1]
	v_lshl_add_u64 v[18:19], v[18:19], 2, s[0:1]
	v_lshl_add_u64 v[20:21], v[20:21], 2, s[0:1]
	v_lshl_add_u64 v[22:23], v[22:23], 2, s[0:1]
	v_lshl_add_u64 v[24:25], v[24:25], 2, s[0:1]
	v_lshl_add_u64 v[26:27], v[26:27], 2, s[0:1]
	v_lshl_add_u64 v[28:29], v[28:29], 2, s[0:1]
	global_load_dword v39, v[14:15], off
	global_load_dword v40, v[16:17], off
	global_load_dword v41, v[18:19], off
	global_load_dword v42, v[20:21], off
	global_load_dword v43, v[22:23], off
	global_load_dword v44, v[24:25], off
	global_load_dword v45, v[26:27], off
	global_load_dword v46, v[28:29], off
	v_add_u32_e32 v14, s78, v72
	v_ashrrev_i32_e32 v15, 31, v14
	v_add_u32_e32 v16, s79, v72
	v_add_u32_e32 v18, s80, v72
	v_add_u32_e32 v20, s81, v72
	v_add_u32_e32 v22, s82, v72
	v_add_u32_e32 v24, s83, v72
	v_add_u32_e32 v26, s84, v72
	v_add_u32_e32 v28, s85, v72
	v_lshl_add_u64 v[14:15], v[14:15], 2, s[0:1]
	v_ashrrev_i32_e32 v17, 31, v16
	v_ashrrev_i32_e32 v19, 31, v18
	v_ashrrev_i32_e32 v21, 31, v20
	v_ashrrev_i32_e32 v23, 31, v22
	v_ashrrev_i32_e32 v25, 31, v24
	v_ashrrev_i32_e32 v27, 31, v26
	v_ashrrev_i32_e32 v29, 31, v28
	v_lshl_add_u64 v[16:17], v[16:17], 2, s[0:1]
	;; [unrolled: 32-line block ×4, first 2 shown]
	v_lshl_add_u64 v[18:19], v[18:19], 2, s[0:1]
	v_lshl_add_u64 v[20:21], v[20:21], 2, s[0:1]
	;; [unrolled: 1-line block ×6, first 2 shown]
	global_load_dword v63, v[14:15], off
	global_load_dword v64, v[16:17], off
	;; [unrolled: 1-line block ×8, first 2 shown]
	v_add_u32_e32 v14, s98, v72
	v_ashrrev_i32_e32 v15, 31, v14
	v_add_u32_e32 v16, s99, v72
	v_add_u32_e32 v18, s24, v72
	;; [unrolled: 1-line block ×5, first 2 shown]
	v_lshl_add_u64 v[14:15], v[14:15], 2, s[0:1]
	v_ashrrev_i32_e32 v17, 31, v16
	v_ashrrev_i32_e32 v19, 31, v18
	;; [unrolled: 1-line block ×5, first 2 shown]
	v_lshl_add_u64 v[16:17], v[16:17], 2, s[0:1]
	v_lshl_add_u64 v[18:19], v[18:19], 2, s[0:1]
	;; [unrolled: 1-line block ×5, first 2 shown]
	global_load_dword v76, v[14:15], off
	global_load_dword v77, v[16:17], off
	;; [unrolled: 1-line block ×6, first 2 shown]
	ds_read_b64 v[20:21], v74 offset:128
	ds_read_b64 v[18:19], v74 offset:160
	ds_read_b64 v[16:17], v74 offset:192
	ds_read_b64 v[14:15], v74 offset:224
	s_waitcnt vmcnt(47)
	ds_write_b32 v73, v30
	s_waitcnt vmcnt(46)
	ds_write_b32 v73, v31 offset:264
	s_waitcnt vmcnt(45)
	ds_write_b32 v73, v0 offset:528
	s_waitcnt vmcnt(44)
	ds_write_b32 v73, v32 offset:792
	s_waitcnt vmcnt(43)
	ds_write_b32 v73, v33 offset:1056
	s_waitcnt vmcnt(42)
	ds_write_b32 v73, v34 offset:1320
	s_waitcnt vmcnt(41)
	ds_write_b32 v73, v35 offset:1584
	s_waitcnt vmcnt(40)
	ds_write_b32 v73, v36 offset:1848
	s_waitcnt vmcnt(39)
	ds_write_b32 v73, v37 offset:2112
	s_waitcnt vmcnt(38)
	ds_write_b32 v73, v38 offset:2376
	s_waitcnt vmcnt(37)
	ds_write_b32 v73, v39 offset:2640
	s_waitcnt vmcnt(36)
	ds_write_b32 v73, v40 offset:2904
	s_waitcnt vmcnt(35)
	ds_write_b32 v73, v41 offset:3168
	s_waitcnt vmcnt(34)
	ds_write_b32 v73, v42 offset:3432
	s_waitcnt vmcnt(33)
	ds_write_b32 v73, v43 offset:3696
	s_waitcnt vmcnt(32)
	ds_write_b32 v73, v44 offset:3960
	ds_read_b64 v[38:39], v74
	ds_read_b64 v[36:37], v74 offset:32
	ds_read_b64 v[32:33], v74 offset:64
	ds_read_b64 v[30:31], v74 offset:96
	ds_read_b64 v[28:29], v74 offset:128
	ds_read_b64 v[26:27], v74 offset:160
	ds_read_b64 v[24:25], v74 offset:192
	ds_read_b64 v[22:23], v74 offset:224
	s_waitcnt vmcnt(31)
	ds_write_b32 v73, v45
	s_waitcnt vmcnt(30)
	ds_write_b32 v73, v46 offset:264
	s_waitcnt vmcnt(29)
	ds_write_b32 v73, v47 offset:528
	s_waitcnt vmcnt(28)
	ds_write_b32 v73, v48 offset:792
	s_waitcnt vmcnt(27)
	ds_write_b32 v73, v49 offset:1056
	s_waitcnt vmcnt(26)
	ds_write_b32 v73, v50 offset:1320
	s_waitcnt vmcnt(25)
	ds_write_b32 v73, v51 offset:1584
	s_waitcnt vmcnt(24)
	ds_write_b32 v73, v52 offset:1848
	s_waitcnt vmcnt(23)
	ds_write_b32 v73, v53 offset:2112
	s_waitcnt vmcnt(22)
	ds_write_b32 v73, v54 offset:2376
	s_waitcnt vmcnt(21)
	ds_write_b32 v73, v55 offset:2640
	s_waitcnt vmcnt(20)
	ds_write_b32 v73, v56 offset:2904
	s_waitcnt vmcnt(19)
	ds_write_b32 v73, v57 offset:3168
	s_waitcnt vmcnt(18)
	ds_write_b32 v73, v58 offset:3432
	s_waitcnt vmcnt(17)
	ds_write_b32 v73, v59 offset:3696
	s_waitcnt vmcnt(16)
	ds_write_b32 v73, v60 offset:3960
	ds_read_b64 v[52:53], v74
	ds_read_b64 v[50:51], v74 offset:32
	ds_read_b64 v[48:49], v74 offset:64
	ds_read_b64 v[46:47], v74 offset:96
	;; [unrolled: 40-line block ×3, first 2 shown]
	ds_read_b64 v[64:65], v74 offset:128
	ds_read_b64 v[60:61], v74 offset:160
	;; [unrolled: 1-line block ×4, first 2 shown]
	v_mov_b32_e32 v75, 0
	v_mov_b32_e32 v0, 0
	s_cbranch_vccnz .LBB123_9
; %bb.7:                                ;   in Loop: Header=BB123_6 Depth=1
	s_load_dword s23, s[36:37], 0x0
	v_mov_b32_e32 v0, 0
	v_mov_b32_e32 v75, 0
	s_waitcnt lgkmcnt(0)
	s_mul_hi_u32 vcc_lo, s23, s16
	s_add_i32 vcc_lo, s23, vcc_lo
	s_lshr_b32 vcc_lo, vcc_lo, s17
	s_cmp_ge_i32 vcc_lo, s13
	s_cbranch_scc1 .LBB123_9
; %bb.8:                                ;   in Loop: Header=BB123_6 Depth=1
	s_mul_i32 vcc_hi, vcc_lo, s18
	s_sub_i32 s23, s23, vcc_hi
	s_mul_i32 vcc_lo, vcc_lo, s20
	s_mul_i32 s23, s23, s9
	v_add_u32_e32 v0, vcc_lo, v72
	v_lshl_add_u32 v76, v0, 1, s23
	v_ashrrev_i32_e32 v77, 31, v76
	v_lshl_add_u64 v[76:77], v[76:77], 2, s[6:7]
	global_load_dwordx2 v[76:77], v[76:77], off
	s_waitcnt vmcnt(0)
	v_cvt_pk_bf16_f32 v75, v76, s0
	v_cvt_pk_bf16_f32 v0, v77, s0
.LBB123_9:                              ;   in Loop: Header=BB123_6 Depth=1
	v_mov_b32_e32 v76, 0
	s_andn2_b64 vcc, exec, s[38:39]
	v_mov_b32_e32 v78, 0
	v_mov_b32_e32 v77, 0
	s_cbranch_vccnz .LBB123_12
; %bb.10:                               ;   in Loop: Header=BB123_6 Depth=1
	s_load_dword s23, s[36:37], 0x4
	v_mov_b32_e32 v77, 0
	v_mov_b32_e32 v78, 0
	s_waitcnt lgkmcnt(0)
	s_mul_hi_u32 vcc_lo, s23, s16
	s_add_i32 vcc_lo, s23, vcc_lo
	s_lshr_b32 vcc_lo, vcc_lo, s17
	s_cmp_ge_i32 vcc_lo, s13
	s_cbranch_scc1 .LBB123_12
; %bb.11:                               ;   in Loop: Header=BB123_6 Depth=1
	s_mul_i32 vcc_hi, vcc_lo, s18
	s_sub_i32 s23, s23, vcc_hi
	s_mul_i32 vcc_lo, vcc_lo, s20
	s_mul_i32 s23, s23, s9
	v_add_u32_e32 v77, vcc_lo, v72
	v_lshl_add_u32 v78, v77, 1, s23
	v_ashrrev_i32_e32 v79, 31, v78
	v_lshl_add_u64 v[78:79], v[78:79], 2, s[6:7]
	global_load_dwordx2 v[78:79], v[78:79], off
	s_waitcnt vmcnt(0)
	v_cvt_pk_bf16_f32 v78, v78, s0
	v_cvt_pk_bf16_f32 v77, v79, s0
.LBB123_12:                             ;   in Loop: Header=BB123_6 Depth=1
	s_andn2_b64 vcc, exec, s[40:41]
	v_mov_b32_e32 v79, 0
	s_cbranch_vccnz .LBB123_5
; %bb.13:                               ;   in Loop: Header=BB123_6 Depth=1
	s_load_dword s23, s[36:37], 0x8
	v_mov_b32_e32 v79, 0
	v_mov_b32_e32 v76, 0
	s_waitcnt lgkmcnt(0)
	s_mul_hi_u32 vcc_lo, s23, s16
	s_add_i32 vcc_lo, s23, vcc_lo
	s_lshr_b32 vcc_lo, vcc_lo, s17
	s_cmp_ge_i32 vcc_lo, s13
	s_cbranch_scc1 .LBB123_5
; %bb.14:                               ;   in Loop: Header=BB123_6 Depth=1
	s_mul_i32 vcc_hi, vcc_lo, s18
	s_sub_i32 s23, s23, vcc_hi
	s_mul_i32 vcc_lo, vcc_lo, s20
	s_mul_i32 s23, s23, s9
	v_add_u32_e32 v76, vcc_lo, v72
	v_lshl_add_u32 v80, v76, 1, s23
	v_ashrrev_i32_e32 v81, 31, v80
	v_lshl_add_u64 v[80:81], v[80:81], 2, s[6:7]
	global_load_dwordx2 v[80:81], v[80:81], off
	s_waitcnt vmcnt(0)
	v_cvt_pk_bf16_f32 v76, v80, s0
	v_cvt_pk_bf16_f32 v79, v81, s0
	s_branch .LBB123_5
.LBB123_15:
	s_or_b64 exec, exec, s[4:5]
	v_readlane_b32 s24, v82, 2
	v_readlane_b32 s25, v82, 3
	;; [unrolled: 1-line block ×3, first 2 shown]
.LBB123_16:
	s_or_b64 exec, exec, s[30:31]
	v_lshl_add_u32 v0, v70, 2, 0
	v_and_b32_e32 v1, 0x3f0, v3
	v_add3_u32 v0, v0, v71, v1
	v_accvgpr_read_b32 v1, a5
	v_accvgpr_read_b32 v4, a4
	ds_write2_b32 v0, v4, v1 offset1:1
	v_accvgpr_read_b32 v1, a7
	v_accvgpr_read_b32 v4, a6
	ds_write2_b32 v0, v4, v1 offset0:2 offset1:3
	v_accvgpr_read_b32 v1, a1
	v_accvgpr_read_b32 v4, a0
	ds_write2_b32 v0, v4, v1 offset0:16 offset1:17
	;; [unrolled: 3-line block ×3, first 2 shown]
	v_accvgpr_read_b32 v1, a9
	v_accvgpr_read_b32 v4, a8
	s_lshl_b64 s[0:1], s[26:27], 2
	ds_write2_b32 v0, v4, v1 offset0:32 offset1:33
	v_accvgpr_read_b32 v1, a11
	v_accvgpr_read_b32 v4, a10
	s_add_u32 s4, s28, s0
	ds_write2_b32 v0, v4, v1 offset0:34 offset1:35
	v_accvgpr_read_b32 v1, a13
	v_accvgpr_read_b32 v4, a12
	s_addc_u32 s5, s29, s1
	ds_write2_b32 v0, v4, v1 offset0:48 offset1:49
	v_accvgpr_read_b32 v1, a15
	v_accvgpr_read_b32 v4, a14
	ds_write2_b32 v0, v4, v1 offset0:50 offset1:51
	s_cmp_gt_i32 s14, 0
	v_add_u32_e32 v0, s2, v2
	s_cselect_b64 s[6:7], -1, 0
	v_cmp_gt_i32_e64 s[0:1], s33, v0
	v_cmp_gt_u32_e32 vcc, 3, v2
	s_and_b64 s[0:1], s[6:7], s[0:1]
	v_lshl_add_u32 v5, v3, 2, 0
	v_add_u32_e32 v4, s3, v3
	v_mul_u32_u24_e32 v6, 0x108, v2
	s_and_b64 s[8:9], vcc, s[0:1]
	s_and_saveexec_b64 s[0:1], s[8:9]
	s_cbranch_execz .LBB123_19
; %bb.17:
	v_ashrrev_i32_e32 v1, 31, v0
	v_lshl_add_u64 v[8:9], v[0:1], 2, s[4:5]
	global_load_dword v1, v[8:9], off
	s_waitcnt vmcnt(0)
	v_mul_hi_u32 v3, v1, s19
	v_add_u32_e32 v3, v1, v3
	v_lshrrev_b32_e32 v3, s24, v3
	v_cmp_gt_i32_e32 vcc, s13, v3
	s_and_b64 exec, exec, vcc
	s_cbranch_execz .LBB123_19
; %bb.18:
	v_add_u32_e32 v7, v5, v6
	ds_read_b32 v7, v7
	v_mul_lo_u32 v8, v3, s25
	v_sub_u32_e32 v1, v1, v8
	v_mul_lo_u32 v3, v3, s21
	v_mul_lo_u32 v1, v1, s10
	v_readlane_b32 s8, v82, 0
	v_add3_u32 v8, v4, v3, v1
	v_mov_b32_e32 v9, 0
	v_readlane_b32 s9, v82, 1
	s_waitcnt lgkmcnt(0)
	v_add_f32_e32 v7, 0, v7
	v_lshl_add_u64 v[8:9], v[8:9], 2, s[8:9]
	global_store_dword v[8:9], v7, off
.LBB123_19:
	s_or_b64 exec, exec, s[0:1]
	v_add_u32_e32 v1, 1, v0
	v_cmp_gt_i32_e64 s[0:1], s33, v1
	v_cmp_gt_u32_e32 vcc, 2, v2
	s_and_b64 s[0:1], s[6:7], s[0:1]
	s_and_b64 s[8:9], vcc, s[0:1]
	s_and_saveexec_b64 s[0:1], s[8:9]
	s_cbranch_execz .LBB123_22
; %bb.20:
	s_ashr_i32 s3, s2, 31
	v_mov_b32_e32 v3, 0
	v_lshl_add_u64 v[8:9], v[2:3], 0, s[2:3]
	v_lshl_add_u64 v[8:9], v[8:9], 2, s[4:5]
	global_load_dword v1, v[8:9], off offset:4
	s_waitcnt vmcnt(0)
	v_mul_hi_u32 v7, v1, s19
	v_add_u32_e32 v7, v1, v7
	v_lshrrev_b32_e32 v7, s24, v7
	v_cmp_gt_i32_e32 vcc, s13, v7
	s_and_b64 exec, exec, vcc
	s_cbranch_execz .LBB123_22
; %bb.21:
	v_add_u32_e32 v8, v6, v5
	ds_read_b32 v8, v8 offset:264
	v_mul_lo_u32 v9, v7, s25
	v_sub_u32_e32 v1, v1, v9
	v_mul_lo_u32 v7, v7, s21
	v_mul_lo_u32 v1, v1, s10
	v_readlane_b32 s8, v82, 0
	s_waitcnt lgkmcnt(0)
	v_add_f32_e32 v10, 0, v8
	v_add3_u32 v8, v4, v7, v1
	v_mov_b32_e32 v9, v3
	v_readlane_b32 s9, v82, 1
	s_nop 1
	v_lshl_add_u64 v[8:9], v[8:9], 2, s[8:9]
	global_store_dword v[8:9], v10, off
.LBB123_22:
	s_or_b64 exec, exec, s[0:1]
	v_add_u32_e32 v0, 2, v0
	v_cmp_gt_i32_e64 s[0:1], s33, v0
	v_cmp_eq_u32_e32 vcc, 0, v2
	s_and_b64 s[0:1], s[6:7], s[0:1]
	s_and_b64 s[0:1], vcc, s[0:1]
	s_and_saveexec_b64 s[6:7], s[0:1]
	s_cbranch_execz .LBB123_25
; %bb.23:
	s_ashr_i32 s3, s2, 31
	s_lshl_b64 s[0:1], s[2:3], 2
	s_add_u32 s0, s4, s0
	s_addc_u32 s1, s5, s1
	s_load_dword s0, s[0:1], 0x8
	s_waitcnt lgkmcnt(0)
	s_mul_hi_u32 s1, s0, s19
	s_add_i32 s1, s0, s1
	s_lshr_b32 s1, s1, s24
	s_cmp_ge_i32 s1, s13
	s_cbranch_scc1 .LBB123_25
; %bb.24:
	v_add_u32_e32 v0, v5, v6
	ds_read_b32 v0, v0 offset:528
	s_mul_i32 s2, s1, s25
	s_sub_i32 s0, s0, s2
	s_mul_i32 s1, s1, s21
	s_mul_i32 s0, s0, s10
	s_add_i32 s0, s0, s1
	s_waitcnt lgkmcnt(0)
	v_add_f32_e32 v2, 0, v0
	v_add_u32_e32 v0, s0, v4
	v_readlane_b32 s0, v82, 0
	v_mov_b32_e32 v1, 0
	v_readlane_b32 s1, v82, 1
	s_nop 1
	v_lshl_add_u64 v[0:1], v[0:1], 2, s[0:1]
	global_store_dword v[0:1], v2, off
.LBB123_25:
	s_endpgm
	.section	.rodata,"a",@progbits
	.p2align	6, 0x0
	.amdhsa_kernel _ZL13mul_mat_f_idsI15__hip_bfloat162Li64ELi3ELi1EEvPKT_PKfPKiS7_S7_Pfiiiiiiiiiiiiii15HIP_vector_typeIjLj3EESA_
		.amdhsa_group_segment_fixed_size 0
		.amdhsa_private_segment_fixed_size 0
		.amdhsa_kernarg_size 128
		.amdhsa_user_sgpr_count 2
		.amdhsa_user_sgpr_dispatch_ptr 0
		.amdhsa_user_sgpr_queue_ptr 0
		.amdhsa_user_sgpr_kernarg_segment_ptr 1
		.amdhsa_user_sgpr_dispatch_id 0
		.amdhsa_user_sgpr_kernarg_preload_length 0
		.amdhsa_user_sgpr_kernarg_preload_offset 0
		.amdhsa_user_sgpr_private_segment_size 0
		.amdhsa_uses_dynamic_stack 0
		.amdhsa_enable_private_segment 0
		.amdhsa_system_sgpr_workgroup_id_x 1
		.amdhsa_system_sgpr_workgroup_id_y 1
		.amdhsa_system_sgpr_workgroup_id_z 1
		.amdhsa_system_sgpr_workgroup_info 0
		.amdhsa_system_vgpr_workitem_id 1
		.amdhsa_next_free_vgpr 100
		.amdhsa_next_free_sgpr 100
		.amdhsa_accum_offset 84
		.amdhsa_reserve_vcc 1
		.amdhsa_float_round_mode_32 0
		.amdhsa_float_round_mode_16_64 0
		.amdhsa_float_denorm_mode_32 3
		.amdhsa_float_denorm_mode_16_64 3
		.amdhsa_dx10_clamp 1
		.amdhsa_ieee_mode 1
		.amdhsa_fp16_overflow 0
		.amdhsa_tg_split 0
		.amdhsa_exception_fp_ieee_invalid_op 0
		.amdhsa_exception_fp_denorm_src 0
		.amdhsa_exception_fp_ieee_div_zero 0
		.amdhsa_exception_fp_ieee_overflow 0
		.amdhsa_exception_fp_ieee_underflow 0
		.amdhsa_exception_fp_ieee_inexact 0
		.amdhsa_exception_int_div_zero 0
	.end_amdhsa_kernel
	.section	.text._ZL13mul_mat_f_idsI15__hip_bfloat162Li64ELi3ELi1EEvPKT_PKfPKiS7_S7_Pfiiiiiiiiiiiiii15HIP_vector_typeIjLj3EESA_,"axG",@progbits,_ZL13mul_mat_f_idsI15__hip_bfloat162Li64ELi3ELi1EEvPKT_PKfPKiS7_S7_Pfiiiiiiiiiiiiii15HIP_vector_typeIjLj3EESA_,comdat
.Lfunc_end123:
	.size	_ZL13mul_mat_f_idsI15__hip_bfloat162Li64ELi3ELi1EEvPKT_PKfPKiS7_S7_Pfiiiiiiiiiiiiii15HIP_vector_typeIjLj3EESA_, .Lfunc_end123-_ZL13mul_mat_f_idsI15__hip_bfloat162Li64ELi3ELi1EEvPKT_PKfPKiS7_S7_Pfiiiiiiiiiiiiii15HIP_vector_typeIjLj3EESA_
                                        ; -- End function
	.set _ZL13mul_mat_f_idsI15__hip_bfloat162Li64ELi3ELi1EEvPKT_PKfPKiS7_S7_Pfiiiiiiiiiiiiii15HIP_vector_typeIjLj3EESA_.num_vgpr, 83
	.set _ZL13mul_mat_f_idsI15__hip_bfloat162Li64ELi3ELi1EEvPKT_PKfPKiS7_S7_Pfiiiiiiiiiiiiii15HIP_vector_typeIjLj3EESA_.num_agpr, 16
	.set _ZL13mul_mat_f_idsI15__hip_bfloat162Li64ELi3ELi1EEvPKT_PKfPKiS7_S7_Pfiiiiiiiiiiiiii15HIP_vector_typeIjLj3EESA_.numbered_sgpr, 100
	.set _ZL13mul_mat_f_idsI15__hip_bfloat162Li64ELi3ELi1EEvPKT_PKfPKiS7_S7_Pfiiiiiiiiiiiiii15HIP_vector_typeIjLj3EESA_.num_named_barrier, 0
	.set _ZL13mul_mat_f_idsI15__hip_bfloat162Li64ELi3ELi1EEvPKT_PKfPKiS7_S7_Pfiiiiiiiiiiiiii15HIP_vector_typeIjLj3EESA_.private_seg_size, 0
	.set _ZL13mul_mat_f_idsI15__hip_bfloat162Li64ELi3ELi1EEvPKT_PKfPKiS7_S7_Pfiiiiiiiiiiiiii15HIP_vector_typeIjLj3EESA_.uses_vcc, 1
	.set _ZL13mul_mat_f_idsI15__hip_bfloat162Li64ELi3ELi1EEvPKT_PKfPKiS7_S7_Pfiiiiiiiiiiiiii15HIP_vector_typeIjLj3EESA_.uses_flat_scratch, 0
	.set _ZL13mul_mat_f_idsI15__hip_bfloat162Li64ELi3ELi1EEvPKT_PKfPKiS7_S7_Pfiiiiiiiiiiiiii15HIP_vector_typeIjLj3EESA_.has_dyn_sized_stack, 0
	.set _ZL13mul_mat_f_idsI15__hip_bfloat162Li64ELi3ELi1EEvPKT_PKfPKiS7_S7_Pfiiiiiiiiiiiiii15HIP_vector_typeIjLj3EESA_.has_recursion, 0
	.set _ZL13mul_mat_f_idsI15__hip_bfloat162Li64ELi3ELi1EEvPKT_PKfPKiS7_S7_Pfiiiiiiiiiiiiii15HIP_vector_typeIjLj3EESA_.has_indirect_call, 0
	.section	.AMDGPU.csdata,"",@progbits
; Kernel info:
; codeLenInByte = 5212
; TotalNumSgprs: 106
; NumVgprs: 83
; NumAgprs: 16
; TotalNumVgprs: 100
; ScratchSize: 0
; MemoryBound: 0
; FloatMode: 240
; IeeeMode: 1
; LDSByteSize: 0 bytes/workgroup (compile time only)
; SGPRBlocks: 13
; VGPRBlocks: 12
; NumSGPRsForWavesPerEU: 106
; NumVGPRsForWavesPerEU: 100
; AccumOffset: 84
; Occupancy: 4
; WaveLimiterHint : 1
; COMPUTE_PGM_RSRC2:SCRATCH_EN: 0
; COMPUTE_PGM_RSRC2:USER_SGPR: 2
; COMPUTE_PGM_RSRC2:TRAP_HANDLER: 0
; COMPUTE_PGM_RSRC2:TGID_X_EN: 1
; COMPUTE_PGM_RSRC2:TGID_Y_EN: 1
; COMPUTE_PGM_RSRC2:TGID_Z_EN: 1
; COMPUTE_PGM_RSRC2:TIDIG_COMP_CNT: 1
; COMPUTE_PGM_RSRC3_GFX90A:ACCUM_OFFSET: 20
; COMPUTE_PGM_RSRC3_GFX90A:TG_SPLIT: 0
	.section	.text._ZL9mul_mat_fI15__hip_bfloat162Li64ELi3ELi1ELb1EEvPKT_PKfPKiPfiiiiiiiiiiiiiiii,"axG",@progbits,_ZL9mul_mat_fI15__hip_bfloat162Li64ELi3ELi1ELb1EEvPKT_PKfPKiPfiiiiiiiiiiiiiiii,comdat
	.globl	_ZL9mul_mat_fI15__hip_bfloat162Li64ELi3ELi1ELb1EEvPKT_PKfPKiPfiiiiiiiiiiiiiiii ; -- Begin function _ZL9mul_mat_fI15__hip_bfloat162Li64ELi3ELi1ELb1EEvPKT_PKfPKiPfiiiiiiiiiiiiiiii
	.p2align	8
	.type	_ZL9mul_mat_fI15__hip_bfloat162Li64ELi3ELi1ELb1EEvPKT_PKfPKiPfiiiiiiiiiiiiiiii,@function
_ZL9mul_mat_fI15__hip_bfloat162Li64ELi3ELi1ELb1EEvPKT_PKfPKiPfiiiiiiiiiiiiiiii: ; @_ZL9mul_mat_fI15__hip_bfloat162Li64ELi3ELi1ELb1EEvPKT_PKfPKiPfiiiiiiiiiiiiiiii
; %bb.0:
	s_load_dwordx8 s[20:27], s[0:1], 0x20
	s_waitcnt lgkmcnt(0)
	s_add_i32 s5, s21, 2
	s_mul_hi_i32 s5, s5, 0x55555556
	s_lshr_b32 s6, s5, 31
	s_add_i32 s5, s5, s6
	v_cvt_f32_u32_e32 v1, s5
	s_load_dword s6, s[0:1], 0x64
	s_add_u32 s34, s0, 0x60
	s_addc_u32 s35, s1, 0
	v_rcp_iflag_f32_e32 v1, v1
	s_sub_i32 s7, 0, s5
	s_load_dwordx4 s[28:31], s[0:1], 0x44
	s_load_dwordx2 s[8:9], s[0:1], 0x10
	v_mul_f32_e32 v1, 0x4f7ffffe, v1
	v_cvt_u32_f32_e32 v1, v1
	s_waitcnt lgkmcnt(0)
	s_abs_i32 s33, s31
	v_mul_lo_u32 v2, s7, v1
	v_mul_hi_u32 v2, v1, v2
	v_add_u32_e32 v1, v1, v2
	v_mul_hi_u32 v1, s6, v1
	v_mul_lo_u32 v2, v1, s5
	v_sub_u32_e32 v2, s6, v2
	v_add_u32_e32 v3, 1, v1
	v_subrev_u32_e32 v4, s5, v2
	v_cmp_le_u32_e32 vcc, s5, v2
	s_nop 1
	v_cndmask_b32_e32 v1, v1, v3, vcc
	v_cndmask_b32_e32 v2, v2, v4, vcc
	v_add_u32_e32 v3, 1, v1
	v_cmp_le_u32_e32 vcc, s5, v2
	v_cvt_f32_u32_e32 v4, s33
	v_rcp_iflag_f32_e32 v5, v4
	v_cndmask_b32_e32 v1, v1, v3, vcc
	v_cvt_f32_u32_e32 v2, v1
	v_sub_u32_e32 v4, 0, v1
	v_bfe_u32 v3, v0, 10, 10
	v_rcp_iflag_f32_e32 v2, v2
	s_nop 0
	v_mul_f32_e32 v2, 0x4f7ffffe, v2
	v_cvt_u32_f32_e32 v6, v2
	v_and_b32_e32 v2, 0x3ff, v0
	v_cmp_eq_u32_e32 vcc, 0, v2
	v_mul_lo_u32 v4, v4, v6
	v_mul_hi_u32 v4, v6, v4
	v_add_u32_e32 v4, v6, v4
	v_mul_hi_u32 v4, s3, v4
	s_and_saveexec_b64 s[6:7], vcc
; %bb.1:
	v_mov_b32_e32 v6, 0x100
	v_lshl_add_u32 v6, v3, 2, v6
	v_mov_b32_e32 v7, -1
	ds_write_b32 v6, v7
; %bb.2:
	s_or_b64 exec, exec, s[6:7]
	v_mul_f32_e32 v11, 0x4f7ffffe, v5
	v_mul_lo_u32 v5, v4, v1
	v_sub_u32_e32 v5, s3, v5
	v_add_u32_e32 v6, 1, v4
	v_sub_u32_e32 v7, v5, v1
	v_cmp_ge_u32_e64 s[6:7], v5, v1
	s_nop 1
	v_cndmask_b32_e64 v4, v4, v6, s[6:7]
	v_cndmask_b32_e64 v5, v5, v7, s[6:7]
	v_add_u32_e32 v6, 1, v4
	v_cmp_ge_u32_e64 s[6:7], v5, v1
	s_nop 1
	v_cndmask_b32_e64 v4, v4, v6, s[6:7]
	v_mul_lo_u32 v78, v4, 3
	v_mul_lo_u32 v1, v4, v1
	v_mul_hi_i32 v5, v78, s27
	v_mul_lo_u32 v4, v78, s27
	v_sub_u32_e32 v10, s3, v1
	v_lshlrev_b64 v[4:5], 2, v[4:5]
	v_add_u32_e32 v1, v3, v78
	v_lshl_add_u64 v[4:5], s[8:9], 0, v[4:5]
	v_cmp_gt_i32_e64 s[6:7], s22, v2
	v_cmp_gt_i32_e64 s[12:13], s21, v1
	v_mov_b32_e32 v1, 0
	s_and_saveexec_b64 s[14:15], s[12:13]
	s_cbranch_execz .LBB124_10
; %bb.3:
	v_mov_b32_e32 v1, 0
	s_and_saveexec_b64 s[16:17], s[6:7]
	s_cbranch_execz .LBB124_9
; %bb.4:
	v_mul_lo_u32 v6, v3, s27
	v_ashrrev_i32_e32 v7, 31, v6
	v_mov_b32_e32 v1, 0x100
	v_lshl_add_u64 v[6:7], v[6:7], 2, v[4:5]
	v_lshl_add_u32 v12, v3, 2, v1
	v_mul_lo_u32 v8, v2, s26
	s_lshl_b32 s3, s26, 6
	v_mov_b32_e32 v1, 0
	s_mov_b64 s[18:19], 0
	v_mov_b32_e32 v13, v2
	s_branch .LBB124_6
.LBB124_5:                              ;   in Loop: Header=BB124_6 Depth=1
	s_or_b64 exec, exec, s[36:37]
	v_add_u32_e32 v13, 64, v13
	v_cmp_le_i32_e64 s[10:11], s22, v13
	s_xor_b64 s[8:9], s[8:9], -1
	s_or_b64 s[8:9], s[8:9], s[10:11]
	s_and_b64 s[8:9], exec, s[8:9]
	s_or_b64 s[18:19], s[8:9], s[18:19]
	v_add_u32_e32 v8, s3, v8
	s_andn2_b64 exec, exec, s[18:19]
	s_cbranch_execz .LBB124_8
.LBB124_6:                              ; =>This Inner Loop Header: Depth=1
	v_ashrrev_i32_e32 v9, 31, v8
	v_lshl_add_u64 v[14:15], v[8:9], 2, v[6:7]
	global_load_dword v9, v[14:15], off
	s_waitcnt vmcnt(0)
	v_cmp_ne_u32_e64 s[8:9], v9, v10
	v_cmp_eq_u32_e64 s[10:11], v9, v10
	s_and_saveexec_b64 s[36:37], s[10:11]
	s_cbranch_execz .LBB124_5
; %bb.7:                                ;   in Loop: Header=BB124_6 Depth=1
	v_mov_b32_e32 v1, 1
	ds_write_b32 v12, v13
	s_branch .LBB124_5
.LBB124_8:
	s_or_b64 exec, exec, s[18:19]
.LBB124_9:
	s_or_b64 exec, exec, s[16:17]
.LBB124_10:
	s_or_b64 exec, exec, s[14:15]
	v_cvt_u32_f32_e32 v11, v11
	s_sub_i32 s3, 0, s33
	s_and_saveexec_b64 s[8:9], vcc
; %bb.11:
	v_mov_b32_e32 v6, 0x100
	v_lshl_add_u32 v6, v3, 2, v6
	v_mov_b32_e32 v7, -1
	ds_write_b32 v6, v7 offset:4
; %bb.12:
	s_or_b64 exec, exec, s[8:9]
	v_add_u32_e32 v79, 1, v3
	v_add_u32_e32 v6, v79, v78
	v_mul_lo_u32 v12, s3, v11
	v_cmp_gt_i32_e64 s[16:17], s21, v6
	s_and_saveexec_b64 s[14:15], s[16:17]
	s_cbranch_execz .LBB124_20
; %bb.13:
	s_and_saveexec_b64 s[18:19], s[6:7]
	s_cbranch_execz .LBB124_19
; %bb.14:
	v_mul_lo_u32 v6, v79, s27
	v_ashrrev_i32_e32 v7, 31, v6
	v_mov_b32_e32 v8, 0x100
	v_lshl_add_u64 v[6:7], v[6:7], 2, v[4:5]
	v_lshl_add_u32 v13, v3, 2, v8
	v_mul_lo_u32 v8, v2, s26
	s_lshl_b32 s3, s26, 6
	s_mov_b64 s[36:37], 0
	v_mov_b32_e32 v14, v2
	s_branch .LBB124_16
.LBB124_15:                             ;   in Loop: Header=BB124_16 Depth=1
	s_or_b64 exec, exec, s[38:39]
	v_add_u32_e32 v14, 64, v14
	v_cmp_le_i32_e64 s[10:11], s22, v14
	s_xor_b64 s[8:9], s[8:9], -1
	s_or_b64 s[8:9], s[8:9], s[10:11]
	s_and_b64 s[8:9], exec, s[8:9]
	s_or_b64 s[36:37], s[8:9], s[36:37]
	v_add_u32_e32 v8, s3, v8
	s_andn2_b64 exec, exec, s[36:37]
	s_cbranch_execz .LBB124_18
.LBB124_16:                             ; =>This Inner Loop Header: Depth=1
	v_ashrrev_i32_e32 v9, 31, v8
	v_lshl_add_u64 v[16:17], v[8:9], 2, v[6:7]
	global_load_dword v9, v[16:17], off
	s_waitcnt vmcnt(0)
	v_cmp_ne_u32_e64 s[8:9], v9, v10
	v_cmp_eq_u32_e64 s[10:11], v9, v10
	s_and_saveexec_b64 s[38:39], s[10:11]
	s_cbranch_execz .LBB124_15
; %bb.17:                               ;   in Loop: Header=BB124_16 Depth=1
	v_mov_b32_e32 v1, 1
	ds_write_b32 v13, v14 offset:4
	s_branch .LBB124_15
.LBB124_18:
	s_or_b64 exec, exec, s[36:37]
.LBB124_19:
	s_or_b64 exec, exec, s[18:19]
.LBB124_20:
	s_or_b64 exec, exec, s[14:15]
	v_mul_hi_u32 v6, v11, v12
	s_and_saveexec_b64 s[8:9], vcc
; %bb.21:
	v_mov_b32_e32 v7, 0x100
	v_lshl_add_u32 v7, v3, 2, v7
	v_mov_b32_e32 v8, -1
	ds_write_b32 v7, v8 offset:8
; %bb.22:
	s_or_b64 exec, exec, s[8:9]
	s_load_dwordx4 s[36:39], s[0:1], 0x54
	v_add_u32_e32 v80, 2, v3
	v_add_u32_e32 v8, v11, v6
	;; [unrolled: 1-line block ×3, first 2 shown]
	s_abs_i32 s3, s4
	v_cmp_gt_i32_e64 s[14:15], s21, v6
	s_and_saveexec_b64 s[8:9], s[14:15]
	s_cbranch_execz .LBB124_30
; %bb.23:
	s_and_saveexec_b64 s[10:11], s[6:7]
	s_cbranch_execz .LBB124_29
; %bb.24:
	v_mul_lo_u32 v6, v80, s27
	v_ashrrev_i32_e32 v7, 31, v6
	v_lshl_add_u64 v[4:5], v[6:7], 2, v[4:5]
	v_mov_b32_e32 v6, 0x100
	v_lshl_add_u32 v9, v3, 2, v6
	v_mul_lo_u32 v6, v2, s26
	s_lshl_b32 s5, s26, 6
	s_mov_b64 s[18:19], 0
	v_mov_b32_e32 v11, v2
	s_branch .LBB124_26
.LBB124_25:                             ;   in Loop: Header=BB124_26 Depth=1
	s_or_b64 exec, exec, s[26:27]
	v_add_u32_e32 v11, 64, v11
	v_cmp_le_i32_e64 s[6:7], s22, v11
	s_xor_b64 s[26:27], vcc, -1
	s_or_b64 s[6:7], s[26:27], s[6:7]
	s_and_b64 s[6:7], exec, s[6:7]
	s_or_b64 s[18:19], s[6:7], s[18:19]
	v_add_u32_e32 v6, s5, v6
	s_andn2_b64 exec, exec, s[18:19]
	s_cbranch_execz .LBB124_28
.LBB124_26:                             ; =>This Inner Loop Header: Depth=1
	v_ashrrev_i32_e32 v7, 31, v6
	v_lshl_add_u64 v[12:13], v[6:7], 2, v[4:5]
	global_load_dword v7, v[12:13], off
	s_waitcnt vmcnt(0)
	v_cmp_ne_u32_e32 vcc, v7, v10
	v_cmp_eq_u32_e64 s[6:7], v7, v10
	s_and_saveexec_b64 s[26:27], s[6:7]
	s_cbranch_execz .LBB124_25
; %bb.27:                               ;   in Loop: Header=BB124_26 Depth=1
	v_mov_b32_e32 v1, 1
	ds_write_b32 v9, v11 offset:8
	s_branch .LBB124_25
.LBB124_28:
	s_or_b64 exec, exec, s[18:19]
.LBB124_29:
	s_or_b64 exec, exec, s[10:11]
.LBB124_30:
	s_or_b64 exec, exec, s[8:9]
	s_load_dwordx2 s[6:7], s[34:35], 0xc
	s_load_dwordx2 s[8:9], s[0:1], 0x8
	;; [unrolled: 1-line block ×3, first 2 shown]
	v_or_b32_dpp v1, v1, v1 row_shl:1 row_mask:0xf bank_mask:0xf bound_ctrl:1
	v_mul_hi_u32 v4, s3, v8
	s_waitcnt lgkmcnt(0)
	s_and_b32 s5, s7, 0xffff
	s_lshr_b32 s7, s6, 16
	s_and_b32 s6, s6, 0xffff
	v_or_b32_dpp v1, v1, v1 row_shl:2 row_mask:0xf bank_mask:0xf bound_ctrl:1
	s_mul_i32 s10, s7, s6
	s_bfe_i32 s10, s10, 0x180000
	v_or_b32_dpp v1, v1, v1 row_shl:4 row_mask:0xf bank_mask:0xf bound_ctrl:1
	s_mul_i32 s5, s10, s5
	s_add_i32 s10, s5, 63
	v_or_b32_dpp v1, v1, v1 row_shl:8 row_mask:0xf bank_mask:0xf bound_ctrl:1
	s_bitcmp1_b32 exec_hi, 0
	s_nop 0
	v_mov_b32_dpp v5, v1 wave_shl:1 row_mask:0xf bank_mask:0xf bound_ctrl:1
	s_nop 1
	v_or_b32_dpp v1, v5, v1 row_mirror row_mask:0xf bank_mask:0xf bound_ctrl:1
	s_nop 0
	v_readlane_b32 s5, v1, 32
	s_cselect_b32 s5, s5, 0
	v_readlane_b32 s11, v1, 0
	s_or_b32 s5, s5, s11
	s_andn2_b32 s10, s10, 63
	s_cmp_lg_u32 s10, 64
	v_mov_b32_e32 v1, s5
	s_cbranch_scc0 .LBB124_37
; %bb.31:
	v_bfe_u32 v0, v0, 20, 10
	v_mbcnt_lo_u32_b32 v1, -1, 0
	v_mad_u32_u24 v0, v0, s7, v3
	v_mbcnt_hi_u32_b32 v5, -1, v1
	v_mad_u64_u32 v[0:1], s[6:7], v0, s6, v[2:3]
	v_lshrrev_b32_e32 v1, 6, v0
	v_or_b32_e32 v1, v5, v1
	v_cmp_eq_u32_e32 vcc, 0, v1
	s_and_saveexec_b64 s[6:7], vcc
; %bb.32:
	v_mov_b32_e32 v1, 0
	v_mov_b32_e32 v6, s5
	ds_write_b32 v1, v6
; %bb.33:
	s_or_b64 exec, exec, s[6:7]
	v_cmp_eq_u32_e32 vcc, 0, v5
	v_cmp_lt_u32_e64 s[6:7], 63, v0
	s_and_b64 s[10:11], s[6:7], vcc
	s_waitcnt lgkmcnt(0)
	; wave barrier
	s_and_saveexec_b64 s[6:7], s[10:11]
	s_cbranch_execz .LBB124_36
; %bb.34:
	v_mbcnt_lo_u32_b32 v0, exec_lo, 0
	v_mbcnt_hi_u32_b32 v0, exec_hi, v0
	v_cmp_eq_u32_e32 vcc, 0, v0
	s_and_b64 exec, exec, vcc
; %bb.35:
	v_mov_b32_e32 v0, 0
	v_mov_b32_e32 v1, s5
	ds_or_b32 v0, v1
.LBB124_36:
	s_or_b64 exec, exec, s[6:7]
	v_mov_b32_e32 v0, 0
	s_waitcnt lgkmcnt(0)
	; wave barrier
	ds_read_b32 v1, v0
	s_waitcnt lgkmcnt(0)
	; wave barrier
.LBB124_37:
	s_load_dwordx2 s[6:7], s[0:1], 0x0
	v_cmp_ne_u32_e32 vcc, 0, v1
	s_ashr_i32 s10, s4, 31
	s_ashr_i32 s11, s31, 31
	s_cbranch_vccz .LBB124_68
; %bb.38:
	v_lshlrev_b32_e32 v81, 6, v3
	v_add_u32_e32 v82, v81, v2
	v_cmp_le_i32_e32 vcc, s20, v82
	v_and_b32_e32 v0, 15, v2
                                        ; implicit-def: $vgpr83
	s_and_saveexec_b64 s[0:1], vcc
	s_xor_b64 s[0:1], exec, s[0:1]
; %bb.39:
	v_mul_u32_u24_e32 v83, 0x108, v0
                                        ; implicit-def: $vgpr82
                                        ; implicit-def: $vgpr4
                                        ; implicit-def: $vgpr10
                                        ; implicit-def: $vgpr0
; %bb.40:
	s_or_saveexec_b64 s[0:1], s[0:1]
	s_lshl_b32 s5, s2, 6
	v_mov_b32_e32 v1, 0
	v_accvgpr_write_b32 a0, 0
	v_accvgpr_write_b32 a1, 0
	;; [unrolled: 1-line block ×16, first 2 shown]
	s_xor_b64 exec, exec, s[0:1]
	s_cbranch_execz .LBB124_56
; %bb.41:
	v_mul_lo_u32 v5, v4, s33
	v_sub_u32_e32 v5, s3, v5
	v_add_u32_e32 v6, 1, v4
	v_subrev_u32_e32 v7, s33, v5
	v_cmp_le_u32_e32 vcc, s33, v5
	s_xor_b32 s2, s10, s11
	v_mov_b32_e32 v84, 0x100
	v_cndmask_b32_e32 v4, v4, v6, vcc
	v_cndmask_b32_e32 v5, v5, v7, vcc
	v_add_u32_e32 v6, 1, v4
	v_cmp_le_u32_e32 vcc, s33, v5
	v_mul_u32_u24_e32 v83, 0x108, v0
	v_lshrrev_b32_e32 v0, 1, v2
	v_cndmask_b32_e32 v4, v4, v6, vcc
	v_xor_b32_e32 v4, s2, v4
	v_subrev_u32_e32 v4, s2, v4
	s_mul_i32 s2, s23, s5
	s_ashr_i32 s3, s2, 31
	s_lshl_b64 s[10:11], s[2:3], 2
	s_movk_i32 s2, 0x1080
	v_mul_hi_i32 v5, v4, s36
	v_mul_lo_u32 v4, v4, s36
	v_mul_lo_u32 v6, v10, s28
	v_mad_u32_u24 v12, v3, s2, v84
	s_mul_hi_i32 s3, s37, s4
	s_mul_i32 s2, s37, s4
	v_ashrrev_i32_e32 v7, 31, v6
	v_lshlrev_b64 v[8:9], 2, v[4:5]
	s_lshl_b64 s[2:3], s[2:3], 2
	s_waitcnt lgkmcnt(0)
	v_lshl_add_u64 v[4:5], s[6:7], 0, v[8:9]
	v_lshlrev_b64 v[10:11], 2, v[6:7]
	v_mul_hi_i32 v7, s24, v78
	v_mul_lo_u32 v6, s24, v78
	s_add_u32 s2, s8, s2
	v_and_b32_e32 v0, 0x1f8, v0
	v_lshl_add_u64 v[8:9], v[8:9], 0, s[10:11]
	v_lshlrev_b64 v[6:7], 3, v[6:7]
	s_addc_u32 s3, s9, s3
	v_add3_u32 v86, v12, v83, v0
	v_lshl_add_u64 v[8:9], v[8:9], 0, v[10:11]
	v_lshlrev_b32_e32 v0, 1, v2
	v_lshl_add_u64 v[4:5], v[4:5], 0, v[10:11]
	v_lshl_add_u64 v[6:7], s[2:3], 0, v[6:7]
	v_lshl_add_u32 v85, v2, 2, v12
	v_add_u32_e32 v12, 1, v78
	v_add_u32_e32 v13, 2, v78
	s_ashr_i32 s3, s23, 31
	s_mov_b32 s2, s23
	v_lshl_add_u64 v[8:9], s[6:7], 0, v[8:9]
	v_lshl_add_u32 v87, v3, 7, v0
	v_lshlrev_b32_e32 v0, 2, v82
	v_lshl_add_u64 v[4:5], v[4:5], 0, s[10:11]
	s_lshl_b32 s28, s24, 2
	s_add_i32 s31, s23, s23
	s_mul_i32 s33, s23, 3
	s_lshl_b32 s34, s23, 2
	s_mul_i32 s35, s23, 5
	s_mul_i32 s36, s23, 6
	;; [unrolled: 1-line block ×3, first 2 shown]
	s_lshl_b32 s39, s23, 3
	s_mul_i32 s40, s23, 9
	s_mul_i32 s41, s23, 10
	;; [unrolled: 1-line block ×7, first 2 shown]
	s_lshl_b32 s47, s23, 4
	s_mul_i32 s48, s23, 17
	s_mul_i32 s49, s23, 18
	;; [unrolled: 1-line block ×15, first 2 shown]
	s_lshl_b32 s63, s23, 5
	s_mul_i32 s64, s23, 33
	s_mul_i32 s65, s23, 34
	;; [unrolled: 1-line block ×22, first 2 shown]
	v_cmp_gt_i32_e64 s[6:7], s21, v78
	s_mul_i32 s86, s23, 55
	s_mul_i32 s87, s23, 56
	s_lshl_b64 s[2:3], s[2:3], 2
	v_accvgpr_write_b32 a15, 0
	v_accvgpr_write_b32 a14, 0
	;; [unrolled: 1-line block ×16, first 2 shown]
	v_lshl_add_u64 v[8:9], v[8:9], 0, v[0:1]
	s_mul_i32 s88, s23, 57
	s_mul_i32 s89, s23, 58
	;; [unrolled: 1-line block ×7, first 2 shown]
	s_lshl_b32 s24, s24, 1
	v_cmp_gt_i32_e64 s[8:9], s21, v12
	v_cmp_gt_i32_e64 s[10:11], s21, v13
	s_mov_b64 s[22:23], 0
	s_mov_b64 s[26:27], 0x100
	s_branch .LBB124_44
.LBB124_42:                             ;   in Loop: Header=BB124_44 Depth=1
	v_mul_lo_u32 v0, v0, s29
	v_add_u32_e32 v0, s28, v0
	v_add_u32_e32 v74, v0, v87
	v_ashrrev_i32_e32 v75, 31, v74
	v_lshl_add_u64 v[74:75], v[74:75], 2, v[6:7]
	global_load_dwordx2 v[74:75], v[74:75], off
.LBB124_43:                             ;   in Loop: Header=BB124_44 Depth=1
	s_waitcnt vmcnt(0)
	v_cvt_pk_bf16_f32 v0, v74, v75
	ds_write2_b32 v85, v0, v1 offset0:148 offset1:214
	v_add_u32_e32 v0, 0x400, v85
	ds_write2_b32 v0, v1, v1 offset0:24 offset1:90
	ds_write2_b32 v0, v1, v1 offset0:156 offset1:222
	v_add_u32_e32 v0, 0x800, v85
	ds_write2_b32 v0, v1, v1 offset0:32 offset1:98
	;; [unrolled: 3-line block ×3, first 2 shown]
	ds_write2_b32 v0, v1, v1 offset0:172 offset1:238
	ds_read2_b64 v[74:77], v86 offset0:8 offset1:12
	v_add_u32_e32 v82, 64, v82
	s_waitcnt lgkmcnt(0)
	v_mfma_f32_16x16x16_bf16 a[8:11], v[42:43], v[74:75], a[8:11]
	v_cmp_le_i32_e32 vcc, s20, v82
	v_add_u32_e32 v87, 0x80, v87
	v_lshl_add_u64 v[8:9], v[8:9], 0, s[26:27]
	v_mfma_f32_16x16x16_bf16 a[12:15], v[28:29], v[74:75], a[12:15]
	s_or_b64 s[22:23], vcc, s[22:23]
	v_mfma_f32_16x16x16_bf16 a[4:7], v[56:57], v[74:75], a[4:7]
	v_mfma_f32_16x16x16_bf16 a[0:3], v[72:73], v[74:75], a[0:3]
	v_mfma_f32_16x16x16_bf16 a[8:11], v[40:41], v[76:77], a[8:11]
	ds_read2_b64 v[40:43], v86 offset0:16 offset1:20
	v_mfma_f32_16x16x16_bf16 a[12:15], v[22:23], v[76:77], a[12:15]
	v_mfma_f32_16x16x16_bf16 a[4:7], v[54:55], v[76:77], a[4:7]
	v_mfma_f32_16x16x16_bf16 a[0:3], v[70:71], v[76:77], a[0:3]
	s_waitcnt lgkmcnt(0)
	v_mfma_f32_16x16x16_bf16 a[12:15], v[20:21], v[40:41], a[12:15]
	v_mfma_f32_16x16x16_bf16 a[8:11], v[36:37], v[40:41], a[8:11]
	v_mfma_f32_16x16x16_bf16 a[4:7], v[52:53], v[40:41], a[4:7]
	v_mfma_f32_16x16x16_bf16 a[0:3], v[68:69], v[40:41], a[0:3]
	v_mfma_f32_16x16x16_bf16 a[12:15], v[18:19], v[42:43], a[12:15]
	ds_read2_b64 v[18:21], v86 offset0:24 offset1:28
	v_mfma_f32_16x16x16_bf16 a[8:11], v[34:35], v[42:43], a[8:11]
	v_mfma_f32_16x16x16_bf16 a[4:7], v[50:51], v[42:43], a[4:7]
	v_mfma_f32_16x16x16_bf16 a[0:3], v[66:67], v[42:43], a[0:3]
	s_waitcnt lgkmcnt(0)
	v_mfma_f32_16x16x16_bf16 a[12:15], v[16:17], v[18:19], a[12:15]
	v_mfma_f32_16x16x16_bf16 a[8:11], v[32:33], v[18:19], a[8:11]
	;; [unrolled: 10-line block ×3, first 2 shown]
	v_mfma_f32_16x16x16_bf16 a[4:7], v[44:45], v[14:15], a[4:7]
	v_mfma_f32_16x16x16_bf16 a[0:3], v[60:61], v[14:15], a[0:3]
	;; [unrolled: 1-line block ×6, first 2 shown]
	s_andn2_b64 exec, exec, s[22:23]
	s_cbranch_execz .LBB124_55
.LBB124_44:                             ; =>This Inner Loop Header: Depth=1
	v_lshl_add_u64 v[10:11], v[8:9], 0, s[2:3]
	global_load_dword v0, v[8:9], off
	global_load_dword v26, v[10:11], off
	v_add_u32_e32 v10, s31, v82
	v_add_u32_e32 v14, s34, v82
	;; [unrolled: 1-line block ×5, first 2 shown]
	v_ashrrev_i32_e32 v11, 31, v10
	v_add_u32_e32 v12, s33, v82
	v_ashrrev_i32_e32 v15, 31, v14
	v_ashrrev_i32_e32 v17, 31, v16
	;; [unrolled: 1-line block ×3, first 2 shown]
	v_add_u32_e32 v20, s37, v82
	v_ashrrev_i32_e32 v23, 31, v22
	v_add_u32_e32 v24, s40, v82
	v_lshl_add_u64 v[10:11], v[10:11], 2, v[4:5]
	v_ashrrev_i32_e32 v13, 31, v12
	v_lshl_add_u64 v[14:15], v[14:15], 2, v[4:5]
	v_lshl_add_u64 v[16:17], v[16:17], 2, v[4:5]
	;; [unrolled: 1-line block ×3, first 2 shown]
	v_ashrrev_i32_e32 v21, 31, v20
	v_lshl_add_u64 v[22:23], v[22:23], 2, v[4:5]
	v_ashrrev_i32_e32 v25, 31, v24
	v_lshl_add_u64 v[12:13], v[12:13], 2, v[4:5]
	v_lshl_add_u64 v[20:21], v[20:21], 2, v[4:5]
	;; [unrolled: 1-line block ×3, first 2 shown]
	global_load_dword v27, v[10:11], off
	global_load_dword v28, v[12:13], off
	;; [unrolled: 1-line block ×6, first 2 shown]
	s_nop 0
	global_load_dword v22, v[22:23], off
	s_nop 0
	global_load_dword v23, v[24:25], off
	v_add_u32_e32 v10, s41, v82
	v_add_u32_e32 v14, s43, v82
	;; [unrolled: 1-line block ×4, first 2 shown]
	v_ashrrev_i32_e32 v11, 31, v10
	v_add_u32_e32 v12, s42, v82
	v_ashrrev_i32_e32 v15, 31, v14
	v_ashrrev_i32_e32 v17, 31, v16
	;; [unrolled: 1-line block ×3, first 2 shown]
	v_add_u32_e32 v20, s46, v82
	v_lshl_add_u64 v[10:11], v[10:11], 2, v[4:5]
	v_ashrrev_i32_e32 v13, 31, v12
	v_lshl_add_u64 v[14:15], v[14:15], 2, v[4:5]
	v_lshl_add_u64 v[16:17], v[16:17], 2, v[4:5]
	;; [unrolled: 1-line block ×3, first 2 shown]
	v_ashrrev_i32_e32 v21, 31, v20
	v_lshl_add_u64 v[12:13], v[12:13], 2, v[4:5]
	v_lshl_add_u64 v[20:21], v[20:21], 2, v[4:5]
	global_load_dword v24, v[10:11], off
	global_load_dword v25, v[12:13], off
	s_nop 0
	global_load_dword v15, v[14:15], off
	s_nop 0
	;; [unrolled: 2-line block ×4, first 2 shown]
	global_load_dword v18, v[20:21], off
	v_add_u32_e32 v10, s47, v82
	v_add_u32_e32 v12, s48, v82
	v_ashrrev_i32_e32 v11, 31, v10
	v_add_u32_e32 v14, s49, v82
	v_ashrrev_i32_e32 v13, 31, v12
	v_lshl_add_u64 v[10:11], v[10:11], 2, v[4:5]
	v_lshl_add_u64 v[12:13], v[12:13], 2, v[4:5]
	global_load_dword v33, v[10:11], off
	global_load_dword v34, v[12:13], off
	v_add_u32_e32 v12, s50, v82
	v_add_u32_e32 v20, s54, v82
	v_ashrrev_i32_e32 v13, 31, v12
	v_ashrrev_i32_e32 v21, 31, v20
	v_lshl_add_u64 v[12:13], v[12:13], 2, v[4:5]
	v_lshl_add_u64 v[20:21], v[20:21], 2, v[4:5]
	s_andn2_b64 vcc, exec, s[6:7]
	v_mov_b32_e32 v76, 0
	v_mov_b32_e32 v77, 0
	s_waitcnt vmcnt(17)
	ds_write_b32 v85, v0 offset:64
	s_waitcnt vmcnt(16)
	ds_write_b32 v85, v26 offset:328
	;; [unrolled: 2-line block ×16, first 2 shown]
	v_ashrrev_i32_e32 v15, 31, v14
	v_lshl_add_u64 v[10:11], v[14:15], 2, v[4:5]
	v_add_u32_e32 v14, s51, v82
	v_add_u32_e32 v16, s52, v82
	;; [unrolled: 1-line block ×5, first 2 shown]
	v_ashrrev_i32_e32 v15, 31, v14
	v_ashrrev_i32_e32 v17, 31, v16
	;; [unrolled: 1-line block ×5, first 2 shown]
	v_lshl_add_u64 v[14:15], v[14:15], 2, v[4:5]
	v_lshl_add_u64 v[16:17], v[16:17], 2, v[4:5]
	v_lshl_add_u64 v[18:19], v[18:19], 2, v[4:5]
	v_lshl_add_u64 v[22:23], v[22:23], 2, v[4:5]
	v_lshl_add_u64 v[24:25], v[24:25], 2, v[4:5]
	global_load_dword v0, v[10:11], off
	global_load_dword v26, v[12:13], off
	global_load_dword v27, v[14:15], off
	global_load_dword v30, v[16:17], off
	global_load_dword v31, v[18:19], off
	global_load_dword v32, v[20:21], off
	global_load_dword v35, v[22:23], off
	global_load_dword v36, v[24:25], off
	v_add_u32_e32 v10, s57, v82
	v_ashrrev_i32_e32 v11, 31, v10
	v_add_u32_e32 v12, s58, v82
	v_add_u32_e32 v14, s59, v82
	v_add_u32_e32 v16, s60, v82
	v_add_u32_e32 v18, s61, v82
	v_add_u32_e32 v20, s62, v82
	v_add_u32_e32 v22, s63, v82
	v_add_u32_e32 v24, s64, v82
	v_lshl_add_u64 v[10:11], v[10:11], 2, v[4:5]
	v_ashrrev_i32_e32 v13, 31, v12
	v_ashrrev_i32_e32 v15, 31, v14
	v_ashrrev_i32_e32 v17, 31, v16
	v_ashrrev_i32_e32 v19, 31, v18
	v_ashrrev_i32_e32 v21, 31, v20
	v_ashrrev_i32_e32 v23, 31, v22
	v_ashrrev_i32_e32 v25, 31, v24
	v_lshl_add_u64 v[12:13], v[12:13], 2, v[4:5]
	v_lshl_add_u64 v[14:15], v[14:15], 2, v[4:5]
	v_lshl_add_u64 v[16:17], v[16:17], 2, v[4:5]
	v_lshl_add_u64 v[18:19], v[18:19], 2, v[4:5]
	v_lshl_add_u64 v[20:21], v[20:21], 2, v[4:5]
	v_lshl_add_u64 v[22:23], v[22:23], 2, v[4:5]
	v_lshl_add_u64 v[24:25], v[24:25], 2, v[4:5]
	global_load_dword v37, v[10:11], off
	global_load_dword v38, v[12:13], off
	global_load_dword v39, v[14:15], off
	global_load_dword v40, v[16:17], off
	global_load_dword v41, v[18:19], off
	global_load_dword v42, v[20:21], off
	global_load_dword v44, v[22:23], off
	global_load_dword v45, v[24:25], off
	v_add_u32_e32 v10, s65, v82
	v_ashrrev_i32_e32 v11, 31, v10
	v_add_u32_e32 v12, s66, v82
	v_add_u32_e32 v14, s67, v82
	v_add_u32_e32 v16, s68, v82
	v_add_u32_e32 v18, s69, v82
	v_add_u32_e32 v20, s70, v82
	v_add_u32_e32 v22, s71, v82
	v_add_u32_e32 v24, s72, v82
	v_lshl_add_u64 v[10:11], v[10:11], 2, v[4:5]
	v_ashrrev_i32_e32 v13, 31, v12
	v_ashrrev_i32_e32 v15, 31, v14
	v_ashrrev_i32_e32 v17, 31, v16
	v_ashrrev_i32_e32 v19, 31, v18
	v_ashrrev_i32_e32 v21, 31, v20
	v_ashrrev_i32_e32 v23, 31, v22
	v_ashrrev_i32_e32 v25, 31, v24
	v_lshl_add_u64 v[12:13], v[12:13], 2, v[4:5]
	v_lshl_add_u64 v[14:15], v[14:15], 2, v[4:5]
	;; [unrolled: 32-line block ×4, first 2 shown]
	v_lshl_add_u64 v[16:17], v[16:17], 2, v[4:5]
	v_lshl_add_u64 v[18:19], v[18:19], 2, v[4:5]
	;; [unrolled: 1-line block ×5, first 2 shown]
	global_load_dword v62, v[10:11], off
	global_load_dword v63, v[12:13], off
	;; [unrolled: 1-line block ×8, first 2 shown]
	v_add_u32_e32 v10, s89, v82
	v_ashrrev_i32_e32 v11, 31, v10
	v_add_u32_e32 v12, s90, v82
	v_lshl_add_u64 v[10:11], v[10:11], 2, v[4:5]
	v_ashrrev_i32_e32 v13, 31, v12
	v_lshl_add_u64 v[12:13], v[12:13], 2, v[4:5]
	global_load_dword v70, v[10:11], off
	global_load_dword v71, v[12:13], off
	v_add_u32_e32 v10, s91, v82
	v_ashrrev_i32_e32 v11, 31, v10
	v_add_u32_e32 v12, s92, v82
	v_add_u32_e32 v14, s93, v82
	;; [unrolled: 1-line block ×3, first 2 shown]
	v_lshl_add_u64 v[10:11], v[10:11], 2, v[4:5]
	v_ashrrev_i32_e32 v13, 31, v12
	v_ashrrev_i32_e32 v15, 31, v14
	v_ashrrev_i32_e32 v17, 31, v16
	v_lshl_add_u64 v[12:13], v[12:13], 2, v[4:5]
	v_lshl_add_u64 v[14:15], v[14:15], 2, v[4:5]
	;; [unrolled: 1-line block ×3, first 2 shown]
	global_load_dword v72, v[10:11], off
	global_load_dword v73, v[12:13], off
	global_load_dword v74, v[14:15], off
	global_load_dword v75, v[16:17], off
	ds_read_b64 v[28:29], v86 offset:64
	ds_read_b64 v[22:23], v86 offset:96
	ds_read_b64 v[20:21], v86 offset:128
	ds_read_b64 v[18:19], v86 offset:160
	ds_read_b64 v[16:17], v86 offset:192
	ds_read_b64 v[14:15], v86 offset:224
	ds_read_b64 v[12:13], v86 offset:256
	ds_read_b64 v[10:11], v86 offset:288
	s_waitcnt vmcnt(47)
	ds_write_b32 v85, v33 offset:64
	s_waitcnt vmcnt(46)
	ds_write_b32 v85, v34 offset:328
	s_waitcnt vmcnt(45)
	ds_write_b32 v85, v0 offset:592
	s_waitcnt vmcnt(44)
	ds_write_b32 v85, v26 offset:856
	s_waitcnt vmcnt(43)
	ds_write_b32 v85, v27 offset:1120
	s_waitcnt vmcnt(42)
	ds_write_b32 v85, v30 offset:1384
	s_waitcnt vmcnt(41)
	ds_write_b32 v85, v31 offset:1648
	s_waitcnt vmcnt(40)
	ds_write_b32 v85, v32 offset:1912
	s_waitcnt vmcnt(39)
	ds_write_b32 v85, v35 offset:2176
	s_waitcnt vmcnt(38)
	ds_write_b32 v85, v36 offset:2440
	s_waitcnt vmcnt(37)
	ds_write_b32 v85, v37 offset:2704
	s_waitcnt vmcnt(36)
	ds_write_b32 v85, v38 offset:2968
	s_waitcnt vmcnt(35)
	ds_write_b32 v85, v39 offset:3232
	s_waitcnt vmcnt(34)
	ds_write_b32 v85, v40 offset:3496
	s_waitcnt vmcnt(33)
	ds_write_b32 v85, v41 offset:3760
	s_waitcnt vmcnt(32)
	ds_write_b32 v85, v42 offset:4024
	ds_read_b64 v[42:43], v86 offset:64
	ds_read_b64 v[40:41], v86 offset:96
	ds_read_b64 v[36:37], v86 offset:128
	ds_read_b64 v[34:35], v86 offset:160
	ds_read_b64 v[32:33], v86 offset:192
	ds_read_b64 v[30:31], v86 offset:224
	ds_read_b64 v[26:27], v86 offset:256
	ds_read_b64 v[24:25], v86 offset:288
	s_waitcnt vmcnt(31)
	ds_write_b32 v85, v44 offset:64
	s_waitcnt vmcnt(30)
	ds_write_b32 v85, v45 offset:328
	s_waitcnt vmcnt(29)
	ds_write_b32 v85, v46 offset:592
	s_waitcnt vmcnt(28)
	ds_write_b32 v85, v47 offset:856
	s_waitcnt vmcnt(27)
	ds_write_b32 v85, v48 offset:1120
	s_waitcnt vmcnt(26)
	ds_write_b32 v85, v49 offset:1384
	s_waitcnt vmcnt(25)
	ds_write_b32 v85, v50 offset:1648
	s_waitcnt vmcnt(24)
	ds_write_b32 v85, v51 offset:1912
	s_waitcnt vmcnt(23)
	ds_write_b32 v85, v52 offset:2176
	s_waitcnt vmcnt(22)
	ds_write_b32 v85, v53 offset:2440
	s_waitcnt vmcnt(21)
	ds_write_b32 v85, v54 offset:2704
	s_waitcnt vmcnt(20)
	ds_write_b32 v85, v55 offset:2968
	s_waitcnt vmcnt(19)
	ds_write_b32 v85, v56 offset:3232
	s_waitcnt vmcnt(18)
	ds_write_b32 v85, v57 offset:3496
	s_waitcnt vmcnt(17)
	ds_write_b32 v85, v58 offset:3760
	s_waitcnt vmcnt(16)
	ds_write_b32 v85, v59 offset:4024
	;; [unrolled: 40-line block ×3, first 2 shown]
	ds_read_b64 v[72:73], v86 offset:64
	ds_read_b64 v[70:71], v86 offset:96
	;; [unrolled: 1-line block ×8, first 2 shown]
	v_mov_b32_e32 v74, 0
	s_cbranch_vccnz .LBB124_48
; %bb.45:                               ;   in Loop: Header=BB124_44 Depth=1
	ds_read_b32 v0, v84
	s_waitcnt lgkmcnt(0)
	v_cmp_gt_i32_e32 vcc, 0, v0
	s_cbranch_vccnz .LBB124_47
; %bb.46:                               ;   in Loop: Header=BB124_44 Depth=1
	v_mul_lo_u32 v0, v0, s29
	v_add_u32_e32 v76, v87, v0
	v_ashrrev_i32_e32 v77, 31, v76
	v_lshl_add_u64 v[76:77], v[76:77], 2, v[6:7]
	global_load_dwordx2 v[76:77], v[76:77], off
	s_branch .LBB124_48
.LBB124_47:                             ;   in Loop: Header=BB124_44 Depth=1
	v_mov_b32_e32 v76, 0
	v_mov_b32_e32 v77, 0
.LBB124_48:                             ;   in Loop: Header=BB124_44 Depth=1
	s_waitcnt vmcnt(0)
	v_cvt_pk_bf16_f32 v0, v76, v77
	s_andn2_b64 vcc, exec, s[8:9]
	v_mov_b32_e32 v76, 0
	v_mov_b32_e32 v77, 0
	ds_write_b32 v85, v0 offset:64
	s_cbranch_vccnz .LBB124_52
; %bb.49:                               ;   in Loop: Header=BB124_44 Depth=1
	ds_read_b32 v0, v84 offset:4
	s_waitcnt lgkmcnt(0)
	v_cmp_gt_i32_e32 vcc, 0, v0
	s_cbranch_vccnz .LBB124_51
; %bb.50:                               ;   in Loop: Header=BB124_44 Depth=1
	v_mul_lo_u32 v0, v0, s29
	v_add_u32_e32 v0, s24, v0
	v_add_u32_e32 v76, v0, v87
	v_ashrrev_i32_e32 v77, 31, v76
	v_lshl_add_u64 v[76:77], v[76:77], 2, v[6:7]
	global_load_dwordx2 v[76:77], v[76:77], off
	s_branch .LBB124_52
.LBB124_51:                             ;   in Loop: Header=BB124_44 Depth=1
	v_mov_b32_e32 v76, 0
	v_mov_b32_e32 v77, 0
.LBB124_52:                             ;   in Loop: Header=BB124_44 Depth=1
	s_waitcnt vmcnt(0)
	v_cvt_pk_bf16_f32 v0, v76, v77
	s_andn2_b64 vcc, exec, s[10:11]
	v_mov_b32_e32 v75, 0
	ds_write_b32 v85, v0 offset:328
	s_cbranch_vccnz .LBB124_43
; %bb.53:                               ;   in Loop: Header=BB124_44 Depth=1
	ds_read_b32 v0, v84 offset:8
	s_waitcnt lgkmcnt(0)
	v_cmp_gt_i32_e32 vcc, 0, v0
	s_cbranch_vccz .LBB124_42
; %bb.54:                               ;   in Loop: Header=BB124_44 Depth=1
	v_mov_b32_e32 v74, 0
	v_mov_b32_e32 v75, 0
	s_branch .LBB124_43
.LBB124_55:
	s_or_b64 exec, exec, s[22:23]
.LBB124_56:
	s_or_b64 exec, exec, s[0:1]
	v_mov_b32_e32 v0, 0x100
	v_lshl_add_u32 v4, v81, 2, v0
	v_and_b32_e32 v1, 0x3f0, v2
	v_add3_u32 v1, v4, v83, v1
	v_accvgpr_read_b32 v5, a13
	v_accvgpr_read_b32 v6, a12
	ds_write2_b32 v1, v6, v5 offset0:16 offset1:17
	v_accvgpr_read_b32 v5, a15
	v_accvgpr_read_b32 v6, a14
	ds_write2_b32 v1, v6, v5 offset0:18 offset1:19
	;; [unrolled: 3-line block ×8, first 2 shown]
	v_lshl_add_u32 v5, v2, 2, v0
	s_movk_i32 s0, 0x108
	v_mad_u32_u24 v0, v3, s0, v5
	ds_read_b32 v6, v0 offset:64
	v_cmp_gt_u32_e32 vcc, 3, v3
	v_mov_b32_e32 v7, -1
	s_and_saveexec_b64 s[0:1], vcc
; %bb.57:
	s_movk_i32 s2, 0xff04
	v_mad_i32_i24 v0, v3, s2, v4
	ds_read_b32 v7, v0
; %bb.58:
	s_or_b64 exec, exec, s[0:1]
	s_mul_hi_i32 s1, s38, s4
	s_mul_i32 s0, s38, s4
	s_lshl_b64 s[0:1], s[0:1], 2
	v_mul_hi_i32 v1, v78, s25
	v_mul_lo_u32 v0, v78, s25
	s_add_u32 s0, s18, s0
	s_addc_u32 s1, s19, s1
	v_lshlrev_b64 v[0:1], 2, v[0:1]
	s_waitcnt lgkmcnt(0)
	v_cmp_lt_i32_e32 vcc, -1, v7
	v_mul_u32_u24_e32 v8, 0x108, v3
	v_add_u32_e32 v2, s5, v2
	v_lshl_add_u64 v[0:1], s[0:1], 0, v[0:1]
	s_and_b64 s[2:3], vcc, s[12:13]
	s_and_saveexec_b64 s[0:1], s[2:3]
	s_cbranch_execz .LBB124_60
; %bb.59:
	v_add_f32_e32 v9, 0, v6
	v_mul_lo_u32 v6, v7, s30
	v_mul_lo_u32 v7, v3, s25
	v_add3_u32 v6, v2, v7, v6
	v_mov_b32_e32 v7, 0
	v_lshl_add_u64 v[6:7], v[6:7], 2, v[0:1]
	global_store_dword v[6:7], v9, off
.LBB124_60:
	s_or_b64 exec, exec, s[0:1]
	v_add_u32_e32 v5, v8, v5
	ds_read_b32 v6, v5 offset:328
	v_cmp_gt_u32_e32 vcc, 2, v3
	v_mov_b32_e32 v7, -1
	s_and_saveexec_b64 s[0:1], vcc
; %bb.61:
	s_movk_i32 s2, 0xff04
	v_mad_i32_i24 v4, v3, s2, v4
	ds_read_b32 v7, v4 offset:4
; %bb.62:
	s_or_b64 exec, exec, s[0:1]
	s_waitcnt lgkmcnt(0)
	v_cmp_lt_i32_e32 vcc, -1, v7
	s_and_b64 s[2:3], vcc, s[16:17]
	s_and_saveexec_b64 s[0:1], s[2:3]
	s_cbranch_execz .LBB124_64
; %bb.63:
	v_add_f32_e32 v4, 0, v6
	v_mul_lo_u32 v6, v7, s30
	v_mul_lo_u32 v7, v79, s25
	v_add3_u32 v6, v2, v7, v6
	v_mov_b32_e32 v7, 0
	v_lshl_add_u64 v[6:7], v[6:7], 2, v[0:1]
	global_store_dword v[6:7], v4, off
.LBB124_64:
	s_or_b64 exec, exec, s[0:1]
	ds_read_b32 v4, v5 offset:592
	v_cmp_eq_u32_e32 vcc, 0, v3
	v_mov_b32_e32 v3, -1
	s_and_saveexec_b64 s[0:1], vcc
; %bb.65:
	v_mov_b32_e32 v3, 0x100
	ds_read_b32 v3, v3 offset:8
; %bb.66:
	s_or_b64 exec, exec, s[0:1]
	s_waitcnt lgkmcnt(0)
	v_cmp_lt_i32_e32 vcc, -1, v3
	s_and_b64 s[0:1], vcc, s[14:15]
	s_and_saveexec_b64 s[2:3], s[0:1]
	s_cbranch_execz .LBB124_68
; %bb.67:
	v_mul_lo_u32 v3, v3, s30
	v_mul_lo_u32 v5, v80, s25
	v_add3_u32 v2, v2, v5, v3
	v_mov_b32_e32 v3, 0
	v_add_f32_e32 v4, 0, v4
	v_lshl_add_u64 v[0:1], v[2:3], 2, v[0:1]
	global_store_dword v[0:1], v4, off
.LBB124_68:
	s_endpgm
	.section	.rodata,"a",@progbits
	.p2align	6, 0x0
	.amdhsa_kernel _ZL9mul_mat_fI15__hip_bfloat162Li64ELi3ELi1ELb1EEvPKT_PKfPKiPfiiiiiiiiiiiiiiii
		.amdhsa_group_segment_fixed_size 256
		.amdhsa_private_segment_fixed_size 0
		.amdhsa_kernarg_size 352
		.amdhsa_user_sgpr_count 2
		.amdhsa_user_sgpr_dispatch_ptr 0
		.amdhsa_user_sgpr_queue_ptr 0
		.amdhsa_user_sgpr_kernarg_segment_ptr 1
		.amdhsa_user_sgpr_dispatch_id 0
		.amdhsa_user_sgpr_kernarg_preload_length 0
		.amdhsa_user_sgpr_kernarg_preload_offset 0
		.amdhsa_user_sgpr_private_segment_size 0
		.amdhsa_uses_dynamic_stack 0
		.amdhsa_enable_private_segment 0
		.amdhsa_system_sgpr_workgroup_id_x 1
		.amdhsa_system_sgpr_workgroup_id_y 1
		.amdhsa_system_sgpr_workgroup_id_z 1
		.amdhsa_system_sgpr_workgroup_info 0
		.amdhsa_system_vgpr_workitem_id 2
		.amdhsa_next_free_vgpr 104
		.amdhsa_next_free_sgpr 95
		.amdhsa_accum_offset 88
		.amdhsa_reserve_vcc 1
		.amdhsa_float_round_mode_32 0
		.amdhsa_float_round_mode_16_64 0
		.amdhsa_float_denorm_mode_32 3
		.amdhsa_float_denorm_mode_16_64 3
		.amdhsa_dx10_clamp 1
		.amdhsa_ieee_mode 1
		.amdhsa_fp16_overflow 0
		.amdhsa_tg_split 0
		.amdhsa_exception_fp_ieee_invalid_op 0
		.amdhsa_exception_fp_denorm_src 0
		.amdhsa_exception_fp_ieee_div_zero 0
		.amdhsa_exception_fp_ieee_overflow 0
		.amdhsa_exception_fp_ieee_underflow 0
		.amdhsa_exception_fp_ieee_inexact 0
		.amdhsa_exception_int_div_zero 0
	.end_amdhsa_kernel
	.section	.text._ZL9mul_mat_fI15__hip_bfloat162Li64ELi3ELi1ELb1EEvPKT_PKfPKiPfiiiiiiiiiiiiiiii,"axG",@progbits,_ZL9mul_mat_fI15__hip_bfloat162Li64ELi3ELi1ELb1EEvPKT_PKfPKiPfiiiiiiiiiiiiiiii,comdat
.Lfunc_end124:
	.size	_ZL9mul_mat_fI15__hip_bfloat162Li64ELi3ELi1ELb1EEvPKT_PKfPKiPfiiiiiiiiiiiiiiii, .Lfunc_end124-_ZL9mul_mat_fI15__hip_bfloat162Li64ELi3ELi1ELb1EEvPKT_PKfPKiPfiiiiiiiiiiiiiiii
                                        ; -- End function
	.set _ZL9mul_mat_fI15__hip_bfloat162Li64ELi3ELi1ELb1EEvPKT_PKfPKiPfiiiiiiiiiiiiiiii.num_vgpr, 88
	.set _ZL9mul_mat_fI15__hip_bfloat162Li64ELi3ELi1ELb1EEvPKT_PKfPKiPfiiiiiiiiiiiiiiii.num_agpr, 16
	.set _ZL9mul_mat_fI15__hip_bfloat162Li64ELi3ELi1ELb1EEvPKT_PKfPKiPfiiiiiiiiiiiiiiii.numbered_sgpr, 95
	.set _ZL9mul_mat_fI15__hip_bfloat162Li64ELi3ELi1ELb1EEvPKT_PKfPKiPfiiiiiiiiiiiiiiii.num_named_barrier, 0
	.set _ZL9mul_mat_fI15__hip_bfloat162Li64ELi3ELi1ELb1EEvPKT_PKfPKiPfiiiiiiiiiiiiiiii.private_seg_size, 0
	.set _ZL9mul_mat_fI15__hip_bfloat162Li64ELi3ELi1ELb1EEvPKT_PKfPKiPfiiiiiiiiiiiiiiii.uses_vcc, 1
	.set _ZL9mul_mat_fI15__hip_bfloat162Li64ELi3ELi1ELb1EEvPKT_PKfPKiPfiiiiiiiiiiiiiiii.uses_flat_scratch, 0
	.set _ZL9mul_mat_fI15__hip_bfloat162Li64ELi3ELi1ELb1EEvPKT_PKfPKiPfiiiiiiiiiiiiiiii.has_dyn_sized_stack, 0
	.set _ZL9mul_mat_fI15__hip_bfloat162Li64ELi3ELi1ELb1EEvPKT_PKfPKiPfiiiiiiiiiiiiiiii.has_recursion, 0
	.set _ZL9mul_mat_fI15__hip_bfloat162Li64ELi3ELi1ELb1EEvPKT_PKfPKiPfiiiiiiiiiiiiiiii.has_indirect_call, 0
	.section	.AMDGPU.csdata,"",@progbits
; Kernel info:
; codeLenInByte = 6424
; TotalNumSgprs: 101
; NumVgprs: 88
; NumAgprs: 16
; TotalNumVgprs: 104
; ScratchSize: 0
; MemoryBound: 0
; FloatMode: 240
; IeeeMode: 1
; LDSByteSize: 256 bytes/workgroup (compile time only)
; SGPRBlocks: 12
; VGPRBlocks: 12
; NumSGPRsForWavesPerEU: 101
; NumVGPRsForWavesPerEU: 104
; AccumOffset: 88
; Occupancy: 4
; WaveLimiterHint : 0
; COMPUTE_PGM_RSRC2:SCRATCH_EN: 0
; COMPUTE_PGM_RSRC2:USER_SGPR: 2
; COMPUTE_PGM_RSRC2:TRAP_HANDLER: 0
; COMPUTE_PGM_RSRC2:TGID_X_EN: 1
; COMPUTE_PGM_RSRC2:TGID_Y_EN: 1
; COMPUTE_PGM_RSRC2:TGID_Z_EN: 1
; COMPUTE_PGM_RSRC2:TIDIG_COMP_CNT: 2
; COMPUTE_PGM_RSRC3_GFX90A:ACCUM_OFFSET: 21
; COMPUTE_PGM_RSRC3_GFX90A:TG_SPLIT: 0
	.section	.text._ZL9mul_mat_fI15__hip_bfloat162Li64ELi3ELi1ELb0EEvPKT_PKfPKiPfiiiiiiiiiiiiiiii,"axG",@progbits,_ZL9mul_mat_fI15__hip_bfloat162Li64ELi3ELi1ELb0EEvPKT_PKfPKiPfiiiiiiiiiiiiiiii,comdat
	.globl	_ZL9mul_mat_fI15__hip_bfloat162Li64ELi3ELi1ELb0EEvPKT_PKfPKiPfiiiiiiiiiiiiiiii ; -- Begin function _ZL9mul_mat_fI15__hip_bfloat162Li64ELi3ELi1ELb0EEvPKT_PKfPKiPfiiiiiiiiiiiiiiii
	.p2align	8
	.type	_ZL9mul_mat_fI15__hip_bfloat162Li64ELi3ELi1ELb0EEvPKT_PKfPKiPfiiiiiiiiiiiiiiii,@function
_ZL9mul_mat_fI15__hip_bfloat162Li64ELi3ELi1ELb0EEvPKT_PKfPKiPfiiiiiiiiiiiiiiii: ; @_ZL9mul_mat_fI15__hip_bfloat162Li64ELi3ELi1ELb0EEvPKT_PKfPKiPfiiiiiiiiiiiiiiii
; %bb.0:
	s_load_dword s5, s[0:1], 0x20
	s_load_dwordx4 s[16:19], s[0:1], 0x2c
	v_bfe_u32 v84, v0, 10, 10
	v_lshlrev_b32_e32 v86, 6, v84
	v_and_b32_e32 v85, 0x3ff, v0
	v_or_b32_e32 v87, v86, v85
	s_waitcnt lgkmcnt(0)
	s_ashr_i32 s19, s4, 31
	v_cmp_le_i32_e32 vcc, s5, v87
	v_and_b32_e32 v1, 15, v85
                                        ; implicit-def: $vgpr88
	s_and_saveexec_b64 s[6:7], vcc
	s_xor_b64 s[6:7], exec, s[6:7]
; %bb.1:
	v_mul_u32_u24_e32 v88, 0x108, v1
                                        ; implicit-def: $vgpr87
                                        ; implicit-def: $vgpr1
; %bb.2:
	s_or_saveexec_b64 s[24:25], s[6:7]
	s_load_dwordx8 s[8:15], s[0:1], 0x40
	s_load_dwordx2 s[6:7], s[0:1], 0x18
	s_lshl_b32 s2, s2, 6
	v_mov_b32_e32 v3, 0
	v_accvgpr_write_b32 a0, 0
	v_accvgpr_write_b32 a1, 0
	v_accvgpr_write_b32 a2, 0
	v_accvgpr_write_b32 a3, 0
	v_accvgpr_write_b32 a4, 0
	v_accvgpr_write_b32 a5, 0
	v_accvgpr_write_b32 a6, 0
	v_accvgpr_write_b32 a7, 0
	v_accvgpr_write_b32 a8, 0
	v_accvgpr_write_b32 a9, 0
	v_accvgpr_write_b32 a10, 0
	v_accvgpr_write_b32 a11, 0
	v_accvgpr_write_b32 a12, 0
	v_accvgpr_write_b32 a13, 0
	v_accvgpr_write_b32 a14, 0
	v_accvgpr_write_b32 a15, 0
	v_lshlrev_b32_e32 v0, 2, v85
	s_xor_b64 exec, exec, s[24:25]
	s_cbranch_execz .LBB125_6
; %bb.3:
	s_waitcnt lgkmcnt(0)
	s_abs_i32 s26, s8
	v_cvt_f32_u32_e32 v2, s26
	s_abs_i32 s27, s12
	v_cvt_f32_u32_e32 v4, s27
	s_sub_i32 s20, 0, s26
	v_rcp_iflag_f32_e32 v2, v2
	s_abs_i32 s28, s3
	v_rcp_iflag_f32_e32 v4, v4
	s_sub_i32 s21, 0, s27
	v_mul_f32_e32 v2, 0x4f7ffffe, v2
	v_cvt_u32_f32_e32 v2, v2
	v_mul_f32_e32 v4, 0x4f7ffffe, v4
	v_cvt_u32_f32_e32 v4, v4
	s_abs_i32 s29, s4
	v_mul_lo_u32 v5, s20, v2
	v_mul_hi_u32 v5, v2, v5
	v_add_u32_e32 v2, v2, v5
	v_mul_hi_u32 v2, s28, v2
	v_mul_lo_u32 v6, s21, v4
	v_mul_lo_u32 v5, v2, s26
	v_mul_hi_u32 v6, v4, v6
	v_sub_u32_e32 v5, s28, v5
	v_add_u32_e32 v4, v4, v6
	v_subrev_u32_e32 v7, s26, v5
	v_cmp_le_u32_e32 vcc, s26, v5
	v_mul_hi_u32 v4, s29, v4
	v_add_u32_e32 v6, 1, v2
	v_cndmask_b32_e32 v5, v5, v7, vcc
	v_cndmask_b32_e32 v2, v2, v6, vcc
	v_cmp_le_u32_e32 vcc, s26, v5
	v_mul_lo_u32 v5, v4, s27
	s_load_dwordx4 s[20:23], s[0:1], 0x0
	s_ashr_i32 s0, s3, 31
	s_ashr_i32 s1, s8, 31
	v_add_u32_e32 v6, 1, v2
	v_sub_u32_e32 v5, s29, v5
	s_xor_b32 s0, s0, s1
	v_cndmask_b32_e32 v2, v2, v6, vcc
	v_add_u32_e32 v6, 1, v4
	v_subrev_u32_e32 v7, s27, v5
	v_cmp_le_u32_e32 vcc, s27, v5
	v_xor_b32_e32 v2, s0, v2
	s_ashr_i32 s8, s12, 31
	v_cndmask_b32_e32 v4, v4, v6, vcc
	v_cndmask_b32_e32 v5, v5, v7, vcc
	v_subrev_u32_e32 v2, s0, v2
	v_add_u32_e32 v6, 1, v4
	v_cmp_le_u32_e32 vcc, s27, v5
	s_xor_b32 s0, s19, s8
	s_mul_i32 s8, s14, s4
	v_cndmask_b32_e32 v4, v4, v6, vcc
	v_mul_lo_u32 v6, v2, s9
	s_mul_hi_i32 s9, s14, s4
	v_xor_b32_e32 v4, s0, v4
	s_lshl_b64 s[26:27], s[8:9], 2
	v_subrev_u32_e32 v4, s0, v4
	s_mul_i32 s0, s16, s2
	s_mul_i32 s28, s10, s3
	s_waitcnt lgkmcnt(0)
	s_add_u32 s8, s22, s26
	v_mul_hi_i32 v5, v4, s13
	v_mul_lo_u32 v4, v4, s13
	s_addc_u32 s9, s23, s27
	s_ashr_i32 s1, s0, 31
	s_ashr_i32 s29, s28, 31
	v_ashrrev_i32_e32 v7, 31, v6
	v_lshlrev_b64 v[8:9], 2, v[4:5]
	s_lshl_b64 s[12:13], s[0:1], 2
	s_lshl_b64 s[28:29], s[28:29], 2
	v_lshl_add_u64 v[4:5], s[20:21], 0, v[8:9]
	v_lshlrev_b64 v[6:7], 2, v[6:7]
	s_add_u32 s0, s8, s28
	s_movk_i32 s8, 0x1080
	v_mul_u32_u24_e32 v88, 0x108, v1
	v_lshrrev_b32_e32 v1, 1, v85
	v_lshl_add_u64 v[4:5], v[4:5], 0, v[6:7]
	v_mad_u32_u24 v2, v84, s8, 0
	v_and_b32_e32 v1, 0x1f8, v1
	v_lshl_add_u64 v[6:7], v[6:7], 0, s[12:13]
	s_addc_u32 s1, s9, s29
	v_add_u32_e32 v89, v2, v0
	v_add3_u32 v90, v2, v88, v1
	s_ashr_i32 s9, s16, 31
	s_mov_b32 s8, s16
	s_ashr_i32 s75, s17, 31
	s_mov_b32 s74, s17
	v_lshlrev_b32_e32 v2, 8, v84
	v_lshl_add_u64 v[6:7], v[6:7], 0, v[8:9]
	v_lshl_add_u64 v[4:5], v[4:5], 0, s[12:13]
	s_add_i32 s10, s16, s16
	s_add_i32 s14, s17, s17
	s_lshl_b32 s30, s16, 2
	s_lshl_b32 s35, s16, 3
	s_lshl_b32 s43, s16, 4
	s_lshl_b32 s59, s16, 5
	s_lshl_b64 s[8:9], s[8:9], 2
	s_lshl_b64 s[12:13], s[74:75], 3
	v_lshl_add_u64 v[6:7], v[6:7], 0, v[2:3]
	v_lshlrev_b32_e32 v2, 9, v84
	s_add_u32 s22, s22, s28
	v_mov_b32_e32 v1, v3
	v_lshl_add_u64 v[8:9], s[26:27], 0, v[2:3]
	v_lshlrev_b32_e32 v2, 3, v85
	s_addc_u32 s23, s23, s29
	v_lshl_add_u64 v[6:7], v[6:7], 0, v[0:1]
	v_lshl_add_u64 v[8:9], v[8:9], 0, v[2:3]
	s_mul_i32 s19, s16, 3
	s_mul_i32 s31, s16, 5
	;; [unrolled: 1-line block ×41, first 2 shown]
	v_lshl_add_u64 v[6:7], s[20:21], 0, v[6:7]
	s_mul_i32 s73, s16, 48
	s_mul_i32 s74, s16, 49
	;; [unrolled: 1-line block ×6, first 2 shown]
	v_lshl_add_u64 v[8:9], s[22:23], 0, v[8:9]
	s_mul_i32 s77, s16, 54
	s_mul_i32 s78, s16, 55
	v_accvgpr_write_b32 a15, 0
	v_accvgpr_write_b32 a14, 0
	;; [unrolled: 1-line block ×16, first 2 shown]
	s_mul_i32 s79, s16, 56
	s_mul_i32 s80, s16, 57
	;; [unrolled: 1-line block ×8, first 2 shown]
	s_mov_b64 s[16:17], 0
	s_mov_b64 s[20:21], 0x100
	;; [unrolled: 1-line block ×3, first 2 shown]
.LBB125_4:                              ; =>This Inner Loop Header: Depth=1
	v_add_u32_e32 v82, s10, v87
	v_add_u32_e32 v66, s19, v87
	;; [unrolled: 1-line block ×3, first 2 shown]
	v_lshl_add_u64 v[62:63], v[6:7], 0, s[8:9]
	v_add_u32_e32 v76, s31, v87
	v_add_u32_e32 v78, s33, v87
	v_ashrrev_i32_e32 v83, 31, v82
	v_ashrrev_i32_e32 v67, 31, v66
	;; [unrolled: 1-line block ×3, first 2 shown]
	v_add_u32_e32 v72, s34, v87
	v_add_u32_e32 v74, s35, v87
	global_load_dword v1, v[62:63], off
	v_lshl_add_u64 v[62:63], v[82:83], 2, v[4:5]
	v_lshl_add_u64 v[66:67], v[66:67], 2, v[4:5]
	;; [unrolled: 1-line block ×3, first 2 shown]
	v_ashrrev_i32_e32 v77, 31, v76
	v_ashrrev_i32_e32 v79, 31, v78
	v_add_u32_e32 v68, s36, v87
	v_add_u32_e32 v70, s37, v87
	global_load_dword v2, v[62:63], off
	global_load_dword v80, v[66:67], off
	;; [unrolled: 1-line block ×3, first 2 shown]
	v_lshl_add_u64 v[76:77], v[76:77], 2, v[4:5]
	v_lshl_add_u64 v[82:83], v[78:79], 2, v[4:5]
	v_ashrrev_i32_e32 v73, 31, v72
	v_ashrrev_i32_e32 v75, 31, v74
	v_add_u32_e32 v60, s38, v87
	v_add_u32_e32 v64, s39, v87
	global_load_dword v78, v[76:77], off
	global_load_dword v79, v[82:83], off
	v_lshl_add_u64 v[72:73], v[72:73], 2, v[4:5]
	v_lshl_add_u64 v[82:83], v[74:75], 2, v[4:5]
	v_ashrrev_i32_e32 v69, 31, v68
	v_ashrrev_i32_e32 v71, 31, v70
	v_add_u32_e32 v54, s40, v87
	v_add_u32_e32 v58, s41, v87
	global_load_dword v74, v[72:73], off
	global_load_dword v75, v[82:83], off
	;; [unrolled: 8-line block ×3, first 2 shown]
	v_lshl_add_u64 v[60:61], v[60:61], 2, v[4:5]
	v_lshl_add_u64 v[82:83], v[64:65], 2, v[4:5]
	v_ashrrev_i32_e32 v55, 31, v54
	v_ashrrev_i32_e32 v59, 31, v58
	v_add_u32_e32 v40, s44, v87
	v_add_u32_e32 v46, s45, v87
	;; [unrolled: 1-line block ×6, first 2 shown]
	global_load_dword v64, v[60:61], off
	global_load_dword v65, v[82:83], off
	v_lshl_add_u64 v[54:55], v[54:55], 2, v[4:5]
	v_lshl_add_u64 v[82:83], v[58:59], 2, v[4:5]
	v_ashrrev_i32_e32 v45, 31, v44
	v_ashrrev_i32_e32 v57, 31, v56
	v_add_u32_e32 v36, s47, v87
	v_add_u32_e32 v16, s51, v87
	;; [unrolled: 1-line block ×4, first 2 shown]
	global_load_dword v58, v[54:55], off
	global_load_dword v59, v[82:83], off
	v_lshl_add_u64 v[44:45], v[44:45], 2, v[4:5]
	v_lshl_add_u64 v[82:83], v[56:57], 2, v[4:5]
	v_ashrrev_i32_e32 v41, 31, v40
	v_ashrrev_i32_e32 v47, 31, v46
	;; [unrolled: 1-line block ×6, first 2 shown]
	v_add_u32_e32 v14, s54, v87
	v_add_u32_e32 v22, s55, v87
	global_load_dword v57, v[44:45], off
	global_load_dword v56, v[82:83], off
	v_lshl_add_u64 v[40:41], v[40:41], 2, v[4:5]
	v_lshl_add_u64 v[82:83], v[46:47], 2, v[4:5]
	v_ashrrev_i32_e32 v37, 31, v36
	v_lshl_add_u64 v[32:33], v[32:33], 2, v[4:5]
	v_lshl_add_u64 v[24:25], v[24:25], 2, v[4:5]
	;; [unrolled: 1-line block ×3, first 2 shown]
	v_ashrrev_i32_e32 v17, 31, v16
	v_lshl_add_u64 v[12:13], v[12:13], 2, v[4:5]
	v_ashrrev_i32_e32 v11, 31, v10
	v_ashrrev_i32_e32 v19, 31, v18
	v_add_u32_e32 v20, s56, v87
	v_add_u32_e32 v30, s57, v87
	global_load_dword v46, v[40:41], off
	global_load_dword v47, v[82:83], off
	v_lshl_add_u64 v[82:83], v[36:37], 2, v[4:5]
	global_load_dword v36, v[32:33], off
	global_load_dword v37, v[82:83], off
	s_nop 0
	global_load_dword v24, v[24:25], off
	s_nop 0
	global_load_dword v25, v[28:29], off
	v_lshl_add_u64 v[16:17], v[16:17], 2, v[4:5]
	global_load_dword v28, v[12:13], off
	global_load_dword v29, v[16:17], off
	v_lshl_add_u64 v[10:11], v[10:11], 2, v[4:5]
	v_lshl_add_u64 v[12:13], v[18:19], 2, v[4:5]
	v_ashrrev_i32_e32 v15, 31, v14
	v_ashrrev_i32_e32 v23, 31, v22
	v_add_u32_e32 v26, s58, v87
	v_add_u32_e32 v38, s59, v87
	global_load_dword v82, v[10:11], off
	global_load_dword v83, v[12:13], off
	v_lshl_add_u64 v[10:11], v[14:15], 2, v[4:5]
	v_lshl_add_u64 v[12:13], v[22:23], 2, v[4:5]
	v_ashrrev_i32_e32 v21, 31, v20
	v_ashrrev_i32_e32 v31, 31, v30
	v_add_u32_e32 v34, s60, v87
	v_add_u32_e32 v48, s61, v87
	;; [unrolled: 8-line block ×10, first 2 shown]
	global_load_dword v50, v[10:11], off
	global_load_dword v51, v[12:13], off
	v_lshl_add_u64 v[10:11], v[44:45], 2, v[4:5]
	v_lshl_add_u64 v[12:13], v[40:41], 2, v[4:5]
	v_ashrrev_i32_e32 v33, 31, v32
	v_ashrrev_i32_e32 v93, 31, v92
	v_add_u32_e32 v94, s76, v87
	global_load_dword v40, v[10:11], off
	global_load_dword v41, v[12:13], off
	v_lshl_add_u64 v[12:13], v[32:33], 2, v[4:5]
	v_lshl_add_u64 v[14:15], v[92:93], 2, v[4:5]
	v_ashrrev_i32_e32 v17, 31, v16
	v_ashrrev_i32_e32 v19, 31, v18
	v_add_u32_e32 v96, s26, v87
	v_add_u32_e32 v98, s27, v87
	global_load_dword v33, v[12:13], off
	global_load_dword v32, v[14:15], off
	v_lshl_add_u64 v[14:15], v[16:17], 2, v[4:5]
	v_lshl_add_u64 v[16:17], v[18:19], 2, v[4:5]
	v_ashrrev_i32_e32 v95, 31, v94
	v_add_u32_e32 v100, s77, v87
	v_add_u32_e32 v52, s78, v87
	global_load_dword v60, v[14:15], off
	global_load_dword v61, v[16:17], off
	v_ashrrev_i32_e32 v97, 31, v96
	v_lshl_add_u64 v[16:17], v[94:95], 2, v[4:5]
	v_ashrrev_i32_e32 v99, 31, v98
	v_add_u32_e32 v62, s79, v87
	v_add_u32_e32 v66, s80, v87
	v_lshl_add_u64 v[18:19], v[96:97], 2, v[4:5]
	global_load_dword v72, v[16:17], off
	global_load_dword v73, v[18:19], off
	v_lshl_add_u64 v[16:17], v[98:99], 2, v[4:5]
	v_ashrrev_i32_e32 v101, 31, v100
	v_ashrrev_i32_e32 v53, 31, v52
	v_add_u32_e32 v68, s81, v87
	global_load_dword v76, v[16:17], off
	global_load_dword v77, v[6:7], off
	v_lshl_add_u64 v[16:17], v[100:101], 2, v[4:5]
	v_lshl_add_u64 v[44:45], v[52:53], 2, v[4:5]
	v_ashrrev_i32_e32 v63, 31, v62
	v_ashrrev_i32_e32 v67, 31, v66
	v_add_u32_e32 v54, s82, v87
	global_load_dword v91, v[16:17], off
	global_load_dword v92, v[44:45], off
	s_nop 0
	global_load_dwordx2 v[16:17], v[8:9], off
	v_lshl_add_u64 v[44:45], v[62:63], 2, v[4:5]
	v_lshl_add_u64 v[52:53], v[66:67], 2, v[4:5]
	v_ashrrev_i32_e32 v69, 31, v68
	global_load_dword v62, v[44:45], off
	global_load_dword v63, v[52:53], off
	v_ashrrev_i32_e32 v55, 31, v54
	v_lshl_add_u64 v[52:53], v[68:69], 2, v[4:5]
	v_lshl_add_u64 v[44:45], v[8:9], 0, s[12:13]
	;; [unrolled: 1-line block ×3, first 2 shown]
	global_load_dword v66, v[52:53], off
	global_load_dword v67, v[54:55], off
	v_add_u32_e32 v52, s14, v87
	v_add_u32_e32 v10, s83, v87
	;; [unrolled: 1-line block ×5, first 2 shown]
	global_load_dwordx2 v[44:45], v[44:45], off
	v_ashrrev_i32_e32 v53, 31, v52
	v_ashrrev_i32_e32 v11, 31, v10
	;; [unrolled: 1-line block ×5, first 2 shown]
	v_lshl_add_u64 v[52:53], v[52:53], 3, s[0:1]
	v_lshl_add_u64 v[10:11], v[10:11], 2, v[4:5]
	;; [unrolled: 1-line block ×5, first 2 shown]
	global_load_dwordx2 v[52:53], v[52:53], off
	s_nop 0
	global_load_dword v68, v[10:11], off
	global_load_dword v69, v[12:13], off
	;; [unrolled: 1-line block ×4, first 2 shown]
	s_waitcnt vmcnt(62)
	ds_write_b32 v89, v1 offset:264
	v_accvgpr_read_b32 v97, a9
	v_accvgpr_read_b32 v96, a8
	;; [unrolled: 1-line block ×4, first 2 shown]
	v_accvgpr_mov_b32 a6, a12
	v_accvgpr_read_b32 v100, a4
	v_accvgpr_read_b32 v99, a11
	;; [unrolled: 1-line block ×3, first 2 shown]
	v_accvgpr_mov_b32 a7, a13
	v_accvgpr_mov_b32 a8, a14
	;; [unrolled: 1-line block ×3, first 2 shown]
	v_accvgpr_read_b32 v101, a5
	v_accvgpr_write_b32 a10, v96
	v_accvgpr_mov_b32 a17, a3
	v_accvgpr_mov_b32 a16, a2
	v_accvgpr_write_b32 a2, v100
	v_accvgpr_write_b32 a11, v97
	;; [unrolled: 1-line block ×7, first 2 shown]
	v_accvgpr_mov_b32 a15, a1
	v_accvgpr_mov_b32 a14, a0
	v_add_u32_e32 v87, 64, v87
	v_cmp_le_i32_e32 vcc, s5, v87
	v_lshl_add_u64 v[6:7], v[6:7], 0, s[20:21]
	s_or_b64 s[16:17], vcc, s[16:17]
	v_lshl_add_u64 v[8:9], v[8:9], 0, s[22:23]
	s_waitcnt vmcnt(13)
	ds_write_b32 v89, v77
	ds_write_b32 v89, v2 offset:528
	ds_write_b32 v89, v80 offset:792
	;; [unrolled: 1-line block ×14, first 2 shown]
	s_waitcnt vmcnt(10)
	v_cvt_pk_bf16_f32 v77, v16, v17
	s_waitcnt vmcnt(5)
	v_cvt_pk_bf16_f32 v1, v44, v45
	;; [unrolled: 2-line block ×3, first 2 shown]
	ds_read_b64 v[10:11], v90
	ds_read_b64 v[12:13], v90 offset:32
	ds_read_b64 v[14:15], v90 offset:64
	ds_read_b64 v[16:17], v90 offset:96
	ds_read_b64 v[18:19], v90 offset:128
	ds_read_b64 v[44:45], v90 offset:160
	ds_read_b64 v[52:53], v90 offset:192
	ds_read_b64 v[54:55], v90 offset:224
	ds_write_b32 v89, v56
	ds_write_b32 v89, v46 offset:264
	ds_write_b32 v89, v47 offset:528
	;; [unrolled: 1-line block ×15, first 2 shown]
	ds_read_b64 v[20:21], v90
	ds_read_b64 v[22:23], v90 offset:32
	ds_read_b64 v[24:25], v90 offset:64
	;; [unrolled: 1-line block ×7, first 2 shown]
	ds_write_b32 v89, v26
	ds_write_b32 v89, v30 offset:264
	ds_write_b32 v89, v31 offset:528
	ds_write_b32 v89, v34 offset:792
	ds_write_b32 v89, v35 offset:1056
	ds_write_b32 v89, v38 offset:1320
	ds_write_b32 v89, v39 offset:1584
	ds_write_b32 v89, v42 offset:1848
	ds_write_b32 v89, v43 offset:2112
	ds_write_b32 v89, v48 offset:2376
	ds_write_b32 v89, v49 offset:2640
	ds_write_b32 v89, v50 offset:2904
	ds_write_b32 v89, v51 offset:3168
	ds_write_b32 v89, v40 offset:3432
	ds_write_b32 v89, v41 offset:3696
	ds_write_b32 v89, v33 offset:3960
	ds_read_b64 v[26:27], v90
	ds_read_b64 v[30:31], v90 offset:32
	ds_read_b64 v[34:35], v90 offset:64
	ds_read_b64 v[38:39], v90 offset:96
	ds_read_b64 v[40:41], v90 offset:128
	ds_read_b64 v[42:43], v90 offset:160
	ds_read_b64 v[48:49], v90 offset:192
	ds_read_b64 v[50:51], v90 offset:224
	ds_write_b32 v89, v32
	ds_write_b32 v89, v60 offset:264
	ds_write_b32 v89, v61 offset:528
	;; [unrolled: 1-line block ×11, first 2 shown]
	s_waitcnt vmcnt(3)
	ds_write_b32 v89, v68 offset:3168
	s_waitcnt vmcnt(2)
	ds_write_b32 v89, v69 offset:3432
	;; [unrolled: 2-line block ×4, first 2 shown]
	ds_read_b64 v[32:33], v90
	ds_read_b64 v[60:61], v90 offset:32
	ds_read_b64 v[62:63], v90 offset:64
	;; [unrolled: 1-line block ×7, first 2 shown]
	ds_write_b32 v89, v77
	ds_write_b32 v89, v1 offset:264
	ds_write_b32 v89, v2 offset:528
	;; [unrolled: 1-line block ×15, first 2 shown]
	ds_read_b64 v[74:75], v90
	s_waitcnt lgkmcnt(0)
	v_mfma_f32_16x16x16_bf16 a[6:9], v[10:11], v[74:75], a[6:9]
	ds_read_b64 v[10:11], v90 offset:32
	v_mfma_f32_16x16x16_bf16 a[10:13], v[20:21], v[74:75], a[10:13]
	v_mfma_f32_16x16x16_bf16 a[2:5], v[26:27], v[74:75], a[2:5]
	;; [unrolled: 1-line block ×3, first 2 shown]
	s_waitcnt lgkmcnt(0)
	v_mfma_f32_16x16x16_bf16 a[6:9], v[12:13], v[10:11], a[6:9]
	v_mfma_f32_16x16x16_bf16 a[10:13], v[22:23], v[10:11], a[10:13]
	v_mfma_f32_16x16x16_bf16 a[0:3], v[30:31], v[10:11], a[2:5]
	v_mfma_f32_16x16x16_bf16 a[14:17], v[60:61], v[10:11], a[14:17]
	ds_read_b64 v[10:11], v90 offset:64
	s_waitcnt lgkmcnt(0)
	v_mfma_f32_16x16x16_bf16 a[4:7], v[14:15], v[10:11], a[6:9]
	v_mfma_f32_16x16x16_bf16 a[8:11], v[24:25], v[10:11], a[10:13]
	v_mfma_f32_16x16x16_bf16 a[0:3], v[34:35], v[10:11], a[0:3]
	v_mfma_f32_16x16x16_bf16 a[12:15], v[62:63], v[10:11], a[14:17]
	ds_read_b64 v[10:11], v90 offset:96
	;; [unrolled: 6-line block ×6, first 2 shown]
	s_waitcnt lgkmcnt(0)
	v_mfma_f32_16x16x16_bf16 a[12:15], v[54:55], v[10:11], a[4:7]
	v_mfma_f32_16x16x16_bf16 a[8:11], v[58:59], v[10:11], a[8:11]
	;; [unrolled: 1-line block ×4, first 2 shown]
	s_andn2_b64 exec, exec, s[16:17]
	s_cbranch_execnz .LBB125_4
; %bb.5:
	s_or_b64 exec, exec, s[16:17]
.LBB125_6:
	s_or_b64 exec, exec, s[24:25]
	v_lshl_add_u32 v1, v86, 2, 0
	v_and_b32_e32 v2, 0x3f0, v85
	v_add3_u32 v1, v1, v88, v2
	v_accvgpr_read_b32 v2, a13
	v_accvgpr_read_b32 v3, a12
	ds_write2_b32 v1, v3, v2 offset1:1
	v_accvgpr_read_b32 v2, a15
	v_accvgpr_read_b32 v3, a14
	ds_write2_b32 v1, v3, v2 offset0:2 offset1:3
	v_accvgpr_read_b32 v2, a9
	v_accvgpr_read_b32 v3, a8
	ds_write2_b32 v1, v3, v2 offset0:16 offset1:17
	v_accvgpr_read_b32 v2, a11
	v_accvgpr_read_b32 v3, a10
	ds_write2_b32 v1, v3, v2 offset0:18 offset1:19
	v_accvgpr_read_b32 v2, a5
	v_accvgpr_read_b32 v3, a4
	ds_write2_b32 v1, v3, v2 offset0:32 offset1:33
	v_accvgpr_read_b32 v2, a7
	v_accvgpr_read_b32 v3, a6
	ds_write2_b32 v1, v3, v2 offset0:34 offset1:35
	v_accvgpr_read_b32 v2, a1
	v_accvgpr_read_b32 v3, a0
	ds_write2_b32 v1, v3, v2 offset0:48 offset1:49
	v_accvgpr_read_b32 v2, a3
	v_accvgpr_read_b32 v3, a2
	s_waitcnt lgkmcnt(0)
	s_mul_hi_i32 s1, s15, s4
	s_mul_i32 s0, s15, s4
	ds_write2_b32 v1, v3, v2 offset0:50 offset1:51
	v_mul_u32_u24_e32 v1, 0x108, v84
	s_lshl_b64 s[0:1], s[0:1], 2
	v_add3_u32 v6, 0, v0, v1
	s_add_u32 s4, s6, s0
	s_mul_i32 s0, s11, s3
	ds_read2_b32 v[0:1], v6 offset1:66
	s_addc_u32 s5, s7, s1
	s_ashr_i32 s1, s0, 31
	s_lshl_b64 s[0:1], s[0:1], 2
	s_add_u32 s0, s4, s0
	v_mul_lo_u32 v2, v84, s18
	s_addc_u32 s1, s5, s1
	v_add3_u32 v2, s2, v85, v2
	v_mov_b32_e32 v3, 0
	s_waitcnt lgkmcnt(0)
	v_add_f32_e32 v0, 0, v0
	v_lshl_add_u64 v[4:5], v[2:3], 2, s[0:1]
	global_store_dword v[4:5], v0, off
	ds_read_b32 v4, v6 offset:528
	v_add_u32_e32 v2, s18, v2
	v_add_f32_e32 v5, 0, v1
	v_lshl_add_u64 v[0:1], v[2:3], 2, s[0:1]
	v_add_u32_e32 v2, s18, v2
	global_store_dword v[0:1], v5, off
	s_waitcnt lgkmcnt(0)
	v_add_f32_e32 v4, 0, v4
	v_lshl_add_u64 v[0:1], v[2:3], 2, s[0:1]
	global_store_dword v[0:1], v4, off
	s_endpgm
	.section	.rodata,"a",@progbits
	.p2align	6, 0x0
	.amdhsa_kernel _ZL9mul_mat_fI15__hip_bfloat162Li64ELi3ELi1ELb0EEvPKT_PKfPKiPfiiiiiiiiiiiiiiii
		.amdhsa_group_segment_fixed_size 0
		.amdhsa_private_segment_fixed_size 0
		.amdhsa_kernarg_size 96
		.amdhsa_user_sgpr_count 2
		.amdhsa_user_sgpr_dispatch_ptr 0
		.amdhsa_user_sgpr_queue_ptr 0
		.amdhsa_user_sgpr_kernarg_segment_ptr 1
		.amdhsa_user_sgpr_dispatch_id 0
		.amdhsa_user_sgpr_kernarg_preload_length 0
		.amdhsa_user_sgpr_kernarg_preload_offset 0
		.amdhsa_user_sgpr_private_segment_size 0
		.amdhsa_uses_dynamic_stack 0
		.amdhsa_enable_private_segment 0
		.amdhsa_system_sgpr_workgroup_id_x 1
		.amdhsa_system_sgpr_workgroup_id_y 1
		.amdhsa_system_sgpr_workgroup_id_z 1
		.amdhsa_system_sgpr_workgroup_info 0
		.amdhsa_system_vgpr_workitem_id 1
		.amdhsa_next_free_vgpr 124
		.amdhsa_next_free_sgpr 87
		.amdhsa_accum_offset 104
		.amdhsa_reserve_vcc 1
		.amdhsa_float_round_mode_32 0
		.amdhsa_float_round_mode_16_64 0
		.amdhsa_float_denorm_mode_32 3
		.amdhsa_float_denorm_mode_16_64 3
		.amdhsa_dx10_clamp 1
		.amdhsa_ieee_mode 1
		.amdhsa_fp16_overflow 0
		.amdhsa_tg_split 0
		.amdhsa_exception_fp_ieee_invalid_op 0
		.amdhsa_exception_fp_denorm_src 0
		.amdhsa_exception_fp_ieee_div_zero 0
		.amdhsa_exception_fp_ieee_overflow 0
		.amdhsa_exception_fp_ieee_underflow 0
		.amdhsa_exception_fp_ieee_inexact 0
		.amdhsa_exception_int_div_zero 0
	.end_amdhsa_kernel
	.section	.text._ZL9mul_mat_fI15__hip_bfloat162Li64ELi3ELi1ELb0EEvPKT_PKfPKiPfiiiiiiiiiiiiiiii,"axG",@progbits,_ZL9mul_mat_fI15__hip_bfloat162Li64ELi3ELi1ELb0EEvPKT_PKfPKiPfiiiiiiiiiiiiiiii,comdat
.Lfunc_end125:
	.size	_ZL9mul_mat_fI15__hip_bfloat162Li64ELi3ELi1ELb0EEvPKT_PKfPKiPfiiiiiiiiiiiiiiii, .Lfunc_end125-_ZL9mul_mat_fI15__hip_bfloat162Li64ELi3ELi1ELb0EEvPKT_PKfPKiPfiiiiiiiiiiiiiiii
                                        ; -- End function
	.set _ZL9mul_mat_fI15__hip_bfloat162Li64ELi3ELi1ELb0EEvPKT_PKfPKiPfiiiiiiiiiiiiiiii.num_vgpr, 104
	.set _ZL9mul_mat_fI15__hip_bfloat162Li64ELi3ELi1ELb0EEvPKT_PKfPKiPfiiiiiiiiiiiiiiii.num_agpr, 20
	.set _ZL9mul_mat_fI15__hip_bfloat162Li64ELi3ELi1ELb0EEvPKT_PKfPKiPfiiiiiiiiiiiiiiii.numbered_sgpr, 87
	.set _ZL9mul_mat_fI15__hip_bfloat162Li64ELi3ELi1ELb0EEvPKT_PKfPKiPfiiiiiiiiiiiiiiii.num_named_barrier, 0
	.set _ZL9mul_mat_fI15__hip_bfloat162Li64ELi3ELi1ELb0EEvPKT_PKfPKiPfiiiiiiiiiiiiiiii.private_seg_size, 0
	.set _ZL9mul_mat_fI15__hip_bfloat162Li64ELi3ELi1ELb0EEvPKT_PKfPKiPfiiiiiiiiiiiiiiii.uses_vcc, 1
	.set _ZL9mul_mat_fI15__hip_bfloat162Li64ELi3ELi1ELb0EEvPKT_PKfPKiPfiiiiiiiiiiiiiiii.uses_flat_scratch, 0
	.set _ZL9mul_mat_fI15__hip_bfloat162Li64ELi3ELi1ELb0EEvPKT_PKfPKiPfiiiiiiiiiiiiiiii.has_dyn_sized_stack, 0
	.set _ZL9mul_mat_fI15__hip_bfloat162Li64ELi3ELi1ELb0EEvPKT_PKfPKiPfiiiiiiiiiiiiiiii.has_recursion, 0
	.set _ZL9mul_mat_fI15__hip_bfloat162Li64ELi3ELi1ELb0EEvPKT_PKfPKiPfiiiiiiiiiiiiiiii.has_indirect_call, 0
	.section	.AMDGPU.csdata,"",@progbits
; Kernel info:
; codeLenInByte = 4656
; TotalNumSgprs: 93
; NumVgprs: 104
; NumAgprs: 20
; TotalNumVgprs: 124
; ScratchSize: 0
; MemoryBound: 0
; FloatMode: 240
; IeeeMode: 1
; LDSByteSize: 0 bytes/workgroup (compile time only)
; SGPRBlocks: 11
; VGPRBlocks: 15
; NumSGPRsForWavesPerEU: 93
; NumVGPRsForWavesPerEU: 124
; AccumOffset: 104
; Occupancy: 4
; WaveLimiterHint : 0
; COMPUTE_PGM_RSRC2:SCRATCH_EN: 0
; COMPUTE_PGM_RSRC2:USER_SGPR: 2
; COMPUTE_PGM_RSRC2:TRAP_HANDLER: 0
; COMPUTE_PGM_RSRC2:TGID_X_EN: 1
; COMPUTE_PGM_RSRC2:TGID_Y_EN: 1
; COMPUTE_PGM_RSRC2:TGID_Z_EN: 1
; COMPUTE_PGM_RSRC2:TIDIG_COMP_CNT: 1
; COMPUTE_PGM_RSRC3_GFX90A:ACCUM_OFFSET: 25
; COMPUTE_PGM_RSRC3_GFX90A:TG_SPLIT: 0
	.section	.text._ZL13mul_mat_f_idsI15__hip_bfloat162Li64ELi3ELi2EEvPKT_PKfPKiS7_S7_Pfiiiiiiiiiiiiii15HIP_vector_typeIjLj3EESA_,"axG",@progbits,_ZL13mul_mat_f_idsI15__hip_bfloat162Li64ELi3ELi2EEvPKT_PKfPKiS7_S7_Pfiiiiiiiiiiiiii15HIP_vector_typeIjLj3EESA_,comdat
	.globl	_ZL13mul_mat_f_idsI15__hip_bfloat162Li64ELi3ELi2EEvPKT_PKfPKiS7_S7_Pfiiiiiiiiiiiiii15HIP_vector_typeIjLj3EESA_ ; -- Begin function _ZL13mul_mat_f_idsI15__hip_bfloat162Li64ELi3ELi2EEvPKT_PKfPKiS7_S7_Pfiiiiiiiiiiiiii15HIP_vector_typeIjLj3EESA_
	.p2align	8
	.type	_ZL13mul_mat_f_idsI15__hip_bfloat162Li64ELi3ELi2EEvPKT_PKfPKiS7_S7_Pfiiiiiiiiiiiiii15HIP_vector_typeIjLj3EESA_,@function
_ZL13mul_mat_f_idsI15__hip_bfloat162Li64ELi3ELi2EEvPKT_PKfPKiS7_S7_Pfiiiiiiiiiiiiii15HIP_vector_typeIjLj3EESA_: ; @_ZL13mul_mat_f_idsI15__hip_bfloat162Li64ELi3ELi2EEvPKT_PKfPKiS7_S7_Pfiiiiiiiiiiiiii15HIP_vector_typeIjLj3EESA_
; %bb.0:
	s_load_dwordx2 s[6:7], s[0:1], 0x20
	s_mov_b32 s34, s3
	s_ashr_i32 s35, s3, 31
	s_lshl_b64 s[8:9], s[34:35], 2
	s_waitcnt lgkmcnt(0)
	s_add_u32 s6, s6, s8
	s_addc_u32 s7, s7, s9
	s_load_dwordx2 s[26:27], s[6:7], 0x0
	s_waitcnt lgkmcnt(0)
	s_sub_i32 s33, s27, s26
	s_add_i32 s3, s33, 2
	s_mul_hi_i32 s3, s3, 0x55555556
	s_lshr_b32 s5, s3, 31
	s_add_i32 s3, s3, s5
	s_cmp_ge_i32 s4, s3
	s_cbranch_scc1 .LBB126_23
; %bb.1:
	v_bfe_u32 v68, v0, 10, 10
	v_lshlrev_b32_e32 v70, 6, v68
	v_and_b32_e32 v69, 0x3ff, v0
	s_load_dwordx4 s[12:15], s[0:1], 0x30
	s_load_dwordx2 s[20:21], s[0:1], 0x40
	s_load_dwordx4 s[8:11], s[0:1], 0x4c
	s_load_dwordx4 s[16:19], s[0:1], 0x68
	s_load_dwordx2 s[24:25], s[0:1], 0x78
	v_add_u32_e32 v72, v70, v69
	s_ashr_i32 s27, s26, 31
	s_waitcnt lgkmcnt(0)
	v_cmp_le_i32_e32 vcc, s12, v72
	v_and_b32_e32 v71, 15, v69
	s_and_saveexec_b64 s[6:7], vcc
	s_xor_b64 s[6:7], exec, s[6:7]
; %bb.2:
	v_and_b32_e32 v71, 15, v69
                                        ; implicit-def: $vgpr72
; %bb.3:
	s_or_saveexec_b64 s[30:31], s[6:7]
	s_load_dwordx2 s[28:29], s[0:1], 0x18
	s_load_dwordx2 s[6:7], s[0:1], 0x28
                                        ; implicit-def: $vgpr82 : SGPR spill to VGPR lane
	s_lshl_b32 s3, s2, 6
	s_mul_i32 s2, s4, 3
	v_mov_b32_e32 v1, 0
	v_accvgpr_write_b32 a4, 0
	s_waitcnt lgkmcnt(0)
	v_writelane_b32 v82, s6, 0
	v_accvgpr_write_b32 a5, 0
	v_accvgpr_write_b32 a6, 0
	;; [unrolled: 1-line block ×15, first 2 shown]
	v_writelane_b32 v82, s7, 1
	s_xor_b64 exec, exec, s[30:31]
	s_cbranch_execz .LBB126_16
; %bb.4:
	s_load_dwordx4 s[4:7], s[0:1], 0x0
	s_load_dwordx2 s[22:23], s[0:1], 0x10
	s_mul_i32 s0, s8, s34
	s_ashr_i32 s1, s0, 31
	v_writelane_b32 v82, s24, 2
	s_lshl_b64 s[44:45], s[0:1], 2
	s_waitcnt lgkmcnt(0)
	s_add_u32 s0, s4, s44
	v_writelane_b32 v82, s25, 3
	s_mul_i32 s24, s15, s3
	s_addc_u32 s1, s5, s45
	s_ashr_i32 s25, s24, 31
	s_lshl_b64 s[46:47], s[24:25], 2
	s_add_u32 s0, s0, s46
	s_addc_u32 s1, s1, s47
	s_lshl_b64 s[24:25], s[26:27], 2
	s_add_u32 s8, s22, s24
	s_addc_u32 s24, s23, s25
	v_writelane_b32 v82, s3, 4
	s_movk_i32 s3, 0x1080
	s_cmp_lt_i32 s2, s33
	v_mad_u32_u24 v0, v68, s3, 0
	s_cselect_b64 s[34:35], -1, 0
	s_ashr_i32 s3, s2, 31
	s_lshl_b64 s[22:23], s[2:3], 2
	s_add_u32 s36, s8, s22
	s_addc_u32 s37, s24, s23
	s_add_i32 s3, s2, 1
	s_cmp_lt_i32 s3, s33
	s_cselect_b64 s[38:39], -1, 0
	s_add_i32 s3, s2, 2
	s_cmp_lt_i32 s3, s33
	s_cselect_b64 s[40:41], -1, 0
	s_ashr_i32 s23, s15, 31
	s_mov_b32 s22, s15
	v_lshrrev_b32_e32 v4, 1, v69
	s_add_i32 s3, s15, s15
	s_lshl_b32 s48, s15, 2
	s_lshl_b32 s52, s15, 3
	;; [unrolled: 1-line block ×4, first 2 shown]
	s_lshl_b64 s[42:43], s[22:23], 2
	v_lshlrev_b32_e32 v2, 2, v69
	v_mul_u32_u24_e32 v3, 0x108, v71
	v_and_b32_e32 v4, 0x1f8, v4
	s_add_u32 s22, s44, s46
	v_add_u32_e32 v73, v0, v2
	v_add3_u32 v74, v0, v3, v4
	s_addc_u32 s23, s45, s47
	v_lshlrev_b32_e32 v0, 8, v68
	v_lshl_add_u64 v[4:5], s[22:23], 0, v[0:1]
	v_mov_b32_e32 v3, v1
	v_lshl_add_u64 v[2:3], v[4:5], 0, v[2:3]
	s_mul_i32 s8, s15, 3
	s_mul_i32 s49, s15, 5
	s_mul_i32 s50, s15, 6
	s_mul_i32 s51, s15, 7
	s_mul_i32 s53, s15, 9
	s_mul_i32 s54, s15, 10
	s_mul_i32 s55, s15, 11
	s_mul_i32 s56, s15, 12
	s_mul_i32 s57, s15, 13
	s_mul_i32 s58, s15, 14
	s_mul_i32 s59, s15, 15
	s_mul_i32 s61, s15, 17
	s_mul_i32 s62, s15, 18
	s_mul_i32 s63, s15, 19
	s_mul_i32 s64, s15, 20
	s_mul_i32 s65, s15, 21
	s_mul_i32 s66, s15, 22
	s_mul_i32 s67, s15, 23
	s_mul_i32 s68, s15, 24
	s_mul_i32 s69, s15, 25
	s_mul_i32 s70, s15, 26
	s_mul_i32 s71, s15, 27
	s_mul_i32 s72, s15, 28
	s_mul_i32 s73, s15, 29
	s_mul_i32 s74, s15, 30
	s_mul_i32 s75, s15, 31
	s_mul_i32 s77, s15, 33
	s_mul_i32 s78, s15, 34
	s_mul_i32 s79, s15, 35
	s_mul_i32 s80, s15, 36
	s_mul_i32 s81, s15, 37
	s_mul_i32 s82, s15, 38
	s_mul_i32 s83, s15, 39
	s_mul_i32 s84, s15, 40
	s_mul_i32 s85, s15, 41
	s_mul_i32 s44, s15, 42
	s_mul_i32 s45, s15, 43
	s_mul_i32 s46, s15, 44
	s_mul_i32 s47, s15, 45
	s_mul_i32 s86, s15, 46
	s_mul_i32 s87, s15, 47
	s_mul_i32 s88, s15, 48
	s_mul_i32 s89, s15, 49
	v_accvgpr_write_b32 a15, 0
	v_accvgpr_write_b32 a14, 0
	;; [unrolled: 1-line block ×16, first 2 shown]
	v_lshl_add_u64 v[2:3], s[4:5], 0, v[2:3]
	s_mul_i32 s90, s15, 50
	s_mul_i32 s91, s15, 51
	;; [unrolled: 1-line block ×14, first 2 shown]
	s_mov_b32 s23, 0x5040100
	s_mov_b64 s[4:5], 0
	s_branch .LBB126_6
.LBB126_5:                              ;   in Loop: Header=BB126_6 Depth=1
	v_perm_b32 v0, v0, v75, s23
	v_perm_b32 v75, v77, v78, s23
	ds_write2_b32 v73, v0, v75 offset1:66
	v_perm_b32 v0, v79, v76, s23
	ds_write2_b32 v73, v0, v1 offset0:132 offset1:198
	v_add_u32_e32 v0, 0x400, v73
	ds_write2_b32 v0, v1, v1 offset0:8 offset1:74
	ds_write2_b32 v0, v1, v1 offset0:140 offset1:206
	v_add_u32_e32 v0, 0x800, v73
	ds_write2_b32 v0, v1, v1 offset0:16 offset1:82
	;; [unrolled: 3-line block ×3, first 2 shown]
	ds_write2_b32 v0, v1, v1 offset0:156 offset1:222
	ds_read2_b64 v[76:79], v74 offset1:4
	s_waitcnt lgkmcnt(0)
	v_mfma_f32_16x16x16_bf16 a[4:7], v[10:11], v[76:77], a[4:7]
	v_add_u32_e32 v72, 0x80, v72
	s_mov_b64 vcc, 0x200
	v_lshl_add_u64 v[2:3], v[2:3], 0, vcc
	v_mfma_f32_16x16x16_bf16 a[0:3], v[36:37], v[76:77], a[0:3]
	v_cmp_le_i32_e32 vcc, s12, v72
	s_or_b64 s[4:5], vcc, s[4:5]
	v_mfma_f32_16x16x16_bf16 a[8:11], v[50:51], v[76:77], a[8:11]
	v_mfma_f32_16x16x16_bf16 a[12:15], v[66:67], v[76:77], a[12:15]
	;; [unrolled: 1-line block ×3, first 2 shown]
	ds_read2_b64 v[8:11], v74 offset0:8 offset1:12
	v_mfma_f32_16x16x16_bf16 a[0:3], v[34:35], v[78:79], a[0:3]
	v_mfma_f32_16x16x16_bf16 a[8:11], v[48:49], v[78:79], a[8:11]
	;; [unrolled: 1-line block ×3, first 2 shown]
	s_waitcnt lgkmcnt(0)
	v_mfma_f32_16x16x16_bf16 a[4:7], v[6:7], v[8:9], a[4:7]
	v_mfma_f32_16x16x16_bf16 a[0:3], v[30:31], v[8:9], a[0:3]
	;; [unrolled: 1-line block ×5, first 2 shown]
	ds_read2_b64 v[4:7], v74 offset0:16 offset1:20
	v_mfma_f32_16x16x16_bf16 a[0:3], v[28:29], v[10:11], a[0:3]
	v_mfma_f32_16x16x16_bf16 a[8:11], v[44:45], v[10:11], a[8:11]
	;; [unrolled: 1-line block ×3, first 2 shown]
	s_waitcnt lgkmcnt(0)
	v_mfma_f32_16x16x16_bf16 a[4:7], v[18:19], v[4:5], a[4:7]
	v_mfma_f32_16x16x16_bf16 a[0:3], v[26:27], v[4:5], a[0:3]
	;; [unrolled: 1-line block ×8, first 2 shown]
	ds_read2_b64 v[4:7], v74 offset0:24 offset1:28
	s_waitcnt lgkmcnt(0)
	v_mfma_f32_16x16x16_bf16 a[4:7], v[14:15], v[4:5], a[4:7]
	v_mfma_f32_16x16x16_bf16 a[0:3], v[22:23], v[4:5], a[0:3]
	;; [unrolled: 1-line block ×8, first 2 shown]
	s_andn2_b64 exec, exec, s[4:5]
	s_cbranch_execz .LBB126_15
.LBB126_6:                              ; =>This Inner Loop Header: Depth=1
	v_lshl_add_u64 v[4:5], v[2:3], 0, s[42:43]
	global_load_dword v0, v[2:3], off
	global_load_dword v20, v[4:5], off
	v_add_u32_e32 v4, s3, v72
	v_add_u32_e32 v8, s48, v72
	;; [unrolled: 1-line block ×4, first 2 shown]
	v_ashrrev_i32_e32 v5, 31, v4
	v_add_u32_e32 v6, s8, v72
	v_ashrrev_i32_e32 v9, 31, v8
	v_ashrrev_i32_e32 v11, 31, v10
	v_add_u32_e32 v12, s50, v72
	v_add_u32_e32 v14, s51, v72
	v_ashrrev_i32_e32 v17, 31, v16
	v_add_u32_e32 v18, s53, v72
	v_lshl_add_u64 v[4:5], v[4:5], 2, s[0:1]
	v_ashrrev_i32_e32 v7, 31, v6
	v_lshl_add_u64 v[8:9], v[8:9], 2, s[0:1]
	v_lshl_add_u64 v[10:11], v[10:11], 2, s[0:1]
	v_ashrrev_i32_e32 v13, 31, v12
	v_ashrrev_i32_e32 v15, 31, v14
	v_lshl_add_u64 v[16:17], v[16:17], 2, s[0:1]
	v_ashrrev_i32_e32 v19, 31, v18
	v_lshl_add_u64 v[6:7], v[6:7], 2, s[0:1]
	v_lshl_add_u64 v[12:13], v[12:13], 2, s[0:1]
	;; [unrolled: 1-line block ×4, first 2 shown]
	global_load_dword v21, v[4:5], off
	global_load_dword v22, v[6:7], off
	;; [unrolled: 1-line block ×6, first 2 shown]
	s_nop 0
	global_load_dword v16, v[16:17], off
	s_nop 0
	global_load_dword v17, v[18:19], off
	v_add_u32_e32 v4, s54, v72
	v_add_u32_e32 v8, s56, v72
	;; [unrolled: 1-line block ×3, first 2 shown]
	v_ashrrev_i32_e32 v5, 31, v4
	v_add_u32_e32 v6, s55, v72
	v_ashrrev_i32_e32 v9, 31, v8
	v_ashrrev_i32_e32 v11, 31, v10
	v_add_u32_e32 v12, s58, v72
	v_add_u32_e32 v14, s59, v72
	v_lshl_add_u64 v[4:5], v[4:5], 2, s[0:1]
	v_ashrrev_i32_e32 v7, 31, v6
	v_lshl_add_u64 v[8:9], v[8:9], 2, s[0:1]
	v_lshl_add_u64 v[10:11], v[10:11], 2, s[0:1]
	v_ashrrev_i32_e32 v13, 31, v12
	v_ashrrev_i32_e32 v15, 31, v14
	v_lshl_add_u64 v[6:7], v[6:7], 2, s[0:1]
	v_lshl_add_u64 v[12:13], v[12:13], 2, s[0:1]
	;; [unrolled: 1-line block ×3, first 2 shown]
	global_load_dword v18, v[4:5], off
	global_load_dword v19, v[6:7], off
	s_nop 0
	global_load_dword v8, v[8:9], off
	s_nop 0
	;; [unrolled: 2-line block ×3, first 2 shown]
	global_load_dword v10, v[12:13], off
	global_load_dword v11, v[14:15], off
	v_add_u32_e32 v4, s60, v72
	v_add_u32_e32 v6, s61, v72
	v_ashrrev_i32_e32 v5, 31, v4
	v_ashrrev_i32_e32 v7, 31, v6
	v_lshl_add_u64 v[4:5], v[4:5], 2, s[0:1]
	v_add_u32_e32 v12, s62, v72
	v_lshl_add_u64 v[6:7], v[6:7], 2, s[0:1]
	global_load_dword v28, v[4:5], off
	global_load_dword v29, v[6:7], off
	v_ashrrev_i32_e32 v13, 31, v12
	v_add_u32_e32 v14, s63, v72
	v_lshl_add_u64 v[12:13], v[12:13], 2, s[0:1]
	v_ashrrev_i32_e32 v15, 31, v14
	v_lshl_add_u64 v[14:15], v[14:15], 2, s[0:1]
	s_andn2_b64 vcc, exec, s[34:35]
	s_waitcnt vmcnt(17)
	ds_write_b32 v73, v0
	s_waitcnt vmcnt(16)
	ds_write_b32 v73, v20 offset:264
	s_waitcnt vmcnt(15)
	ds_write_b32 v73, v21 offset:528
	;; [unrolled: 2-line block ×15, first 2 shown]
	v_add_u32_e32 v16, s64, v72
	v_add_u32_e32 v18, s65, v72
	;; [unrolled: 1-line block ×6, first 2 shown]
	v_ashrrev_i32_e32 v17, 31, v16
	v_ashrrev_i32_e32 v19, 31, v18
	;; [unrolled: 1-line block ×6, first 2 shown]
	ds_read_b64 v[10:11], v74
	ds_read_b64 v[8:9], v74 offset:32
	ds_read_b64 v[6:7], v74 offset:64
	;; [unrolled: 1-line block ×3, first 2 shown]
	v_lshl_add_u64 v[16:17], v[16:17], 2, s[0:1]
	v_lshl_add_u64 v[18:19], v[18:19], 2, s[0:1]
	v_lshl_add_u64 v[20:21], v[20:21], 2, s[0:1]
	v_lshl_add_u64 v[22:23], v[22:23], 2, s[0:1]
	v_lshl_add_u64 v[24:25], v[24:25], 2, s[0:1]
	v_lshl_add_u64 v[26:27], v[26:27], 2, s[0:1]
	global_load_dword v0, v[12:13], off
	global_load_dword v30, v[14:15], off
	global_load_dword v31, v[16:17], off
	global_load_dword v32, v[18:19], off
	global_load_dword v33, v[20:21], off
	global_load_dword v34, v[22:23], off
	global_load_dword v35, v[24:25], off
	global_load_dword v36, v[26:27], off
	v_add_u32_e32 v12, s70, v72
	v_ashrrev_i32_e32 v13, 31, v12
	v_add_u32_e32 v14, s71, v72
	v_add_u32_e32 v16, s72, v72
	v_add_u32_e32 v18, s73, v72
	v_add_u32_e32 v20, s74, v72
	v_add_u32_e32 v22, s75, v72
	v_add_u32_e32 v24, s76, v72
	v_add_u32_e32 v26, s77, v72
	v_lshl_add_u64 v[12:13], v[12:13], 2, s[0:1]
	v_ashrrev_i32_e32 v15, 31, v14
	v_ashrrev_i32_e32 v17, 31, v16
	v_ashrrev_i32_e32 v19, 31, v18
	v_ashrrev_i32_e32 v21, 31, v20
	v_ashrrev_i32_e32 v23, 31, v22
	v_ashrrev_i32_e32 v25, 31, v24
	v_ashrrev_i32_e32 v27, 31, v26
	v_lshl_add_u64 v[14:15], v[14:15], 2, s[0:1]
	v_lshl_add_u64 v[16:17], v[16:17], 2, s[0:1]
	v_lshl_add_u64 v[18:19], v[18:19], 2, s[0:1]
	v_lshl_add_u64 v[20:21], v[20:21], 2, s[0:1]
	v_lshl_add_u64 v[22:23], v[22:23], 2, s[0:1]
	v_lshl_add_u64 v[24:25], v[24:25], 2, s[0:1]
	v_lshl_add_u64 v[26:27], v[26:27], 2, s[0:1]
	global_load_dword v37, v[12:13], off
	global_load_dword v38, v[14:15], off
	global_load_dword v39, v[16:17], off
	global_load_dword v40, v[18:19], off
	global_load_dword v41, v[20:21], off
	global_load_dword v42, v[22:23], off
	global_load_dword v43, v[24:25], off
	global_load_dword v44, v[26:27], off
	v_add_u32_e32 v12, s78, v72
	v_ashrrev_i32_e32 v13, 31, v12
	v_add_u32_e32 v14, s79, v72
	v_add_u32_e32 v16, s80, v72
	v_add_u32_e32 v18, s81, v72
	v_add_u32_e32 v20, s82, v72
	v_add_u32_e32 v22, s83, v72
	v_add_u32_e32 v24, s84, v72
	v_add_u32_e32 v26, s85, v72
	v_lshl_add_u64 v[12:13], v[12:13], 2, s[0:1]
	v_ashrrev_i32_e32 v15, 31, v14
	v_ashrrev_i32_e32 v17, 31, v16
	v_ashrrev_i32_e32 v19, 31, v18
	v_ashrrev_i32_e32 v21, 31, v20
	v_ashrrev_i32_e32 v23, 31, v22
	v_ashrrev_i32_e32 v25, 31, v24
	v_ashrrev_i32_e32 v27, 31, v26
	v_lshl_add_u64 v[14:15], v[14:15], 2, s[0:1]
	;; [unrolled: 32-line block ×4, first 2 shown]
	v_lshl_add_u64 v[16:17], v[16:17], 2, s[0:1]
	v_lshl_add_u64 v[18:19], v[18:19], 2, s[0:1]
	;; [unrolled: 1-line block ×6, first 2 shown]
	global_load_dword v61, v[12:13], off
	global_load_dword v62, v[14:15], off
	;; [unrolled: 1-line block ×8, first 2 shown]
	v_add_u32_e32 v12, s98, v72
	v_ashrrev_i32_e32 v13, 31, v12
	v_add_u32_e32 v14, s99, v72
	v_add_u32_e32 v16, s24, v72
	;; [unrolled: 1-line block ×5, first 2 shown]
	v_lshl_add_u64 v[12:13], v[12:13], 2, s[0:1]
	v_ashrrev_i32_e32 v15, 31, v14
	v_ashrrev_i32_e32 v17, 31, v16
	;; [unrolled: 1-line block ×5, first 2 shown]
	v_lshl_add_u64 v[14:15], v[14:15], 2, s[0:1]
	v_lshl_add_u64 v[16:17], v[16:17], 2, s[0:1]
	;; [unrolled: 1-line block ×5, first 2 shown]
	global_load_dword v76, v[12:13], off
	global_load_dword v77, v[14:15], off
	;; [unrolled: 1-line block ×6, first 2 shown]
	ds_read_b64 v[18:19], v74 offset:128
	ds_read_b64 v[16:17], v74 offset:160
	ds_read_b64 v[14:15], v74 offset:192
	ds_read_b64 v[12:13], v74 offset:224
	s_waitcnt vmcnt(47)
	ds_write_b32 v73, v28
	s_waitcnt vmcnt(46)
	ds_write_b32 v73, v29 offset:264
	s_waitcnt vmcnt(45)
	ds_write_b32 v73, v0 offset:528
	s_waitcnt vmcnt(44)
	ds_write_b32 v73, v30 offset:792
	s_waitcnt vmcnt(43)
	ds_write_b32 v73, v31 offset:1056
	s_waitcnt vmcnt(42)
	ds_write_b32 v73, v32 offset:1320
	s_waitcnt vmcnt(41)
	ds_write_b32 v73, v33 offset:1584
	s_waitcnt vmcnt(40)
	ds_write_b32 v73, v34 offset:1848
	s_waitcnt vmcnt(39)
	ds_write_b32 v73, v35 offset:2112
	s_waitcnt vmcnt(38)
	ds_write_b32 v73, v36 offset:2376
	s_waitcnt vmcnt(37)
	ds_write_b32 v73, v37 offset:2640
	s_waitcnt vmcnt(36)
	ds_write_b32 v73, v38 offset:2904
	s_waitcnt vmcnt(35)
	ds_write_b32 v73, v39 offset:3168
	s_waitcnt vmcnt(34)
	ds_write_b32 v73, v40 offset:3432
	s_waitcnt vmcnt(33)
	ds_write_b32 v73, v41 offset:3696
	s_waitcnt vmcnt(32)
	ds_write_b32 v73, v42 offset:3960
	ds_read_b64 v[36:37], v74
	ds_read_b64 v[34:35], v74 offset:32
	ds_read_b64 v[30:31], v74 offset:64
	ds_read_b64 v[28:29], v74 offset:96
	ds_read_b64 v[26:27], v74 offset:128
	ds_read_b64 v[24:25], v74 offset:160
	ds_read_b64 v[22:23], v74 offset:192
	ds_read_b64 v[20:21], v74 offset:224
	s_waitcnt vmcnt(31)
	ds_write_b32 v73, v43
	s_waitcnt vmcnt(30)
	ds_write_b32 v73, v44 offset:264
	s_waitcnt vmcnt(29)
	ds_write_b32 v73, v45 offset:528
	s_waitcnt vmcnt(28)
	ds_write_b32 v73, v46 offset:792
	s_waitcnt vmcnt(27)
	ds_write_b32 v73, v47 offset:1056
	s_waitcnt vmcnt(26)
	ds_write_b32 v73, v48 offset:1320
	s_waitcnt vmcnt(25)
	ds_write_b32 v73, v49 offset:1584
	s_waitcnt vmcnt(24)
	ds_write_b32 v73, v50 offset:1848
	s_waitcnt vmcnt(23)
	ds_write_b32 v73, v51 offset:2112
	s_waitcnt vmcnt(22)
	ds_write_b32 v73, v52 offset:2376
	s_waitcnt vmcnt(21)
	ds_write_b32 v73, v53 offset:2640
	s_waitcnt vmcnt(20)
	ds_write_b32 v73, v54 offset:2904
	s_waitcnt vmcnt(19)
	ds_write_b32 v73, v55 offset:3168
	s_waitcnt vmcnt(18)
	ds_write_b32 v73, v56 offset:3432
	s_waitcnt vmcnt(17)
	ds_write_b32 v73, v57 offset:3696
	s_waitcnt vmcnt(16)
	ds_write_b32 v73, v58 offset:3960
	ds_read_b64 v[50:51], v74
	ds_read_b64 v[48:49], v74 offset:32
	ds_read_b64 v[46:47], v74 offset:64
	ds_read_b64 v[44:45], v74 offset:96
	;; [unrolled: 40-line block ×3, first 2 shown]
	ds_read_b64 v[62:63], v74 offset:128
	ds_read_b64 v[58:59], v74 offset:160
	;; [unrolled: 1-line block ×4, first 2 shown]
	v_mov_b32_e32 v75, 0
	v_mov_b32_e32 v0, 0
	s_cbranch_vccnz .LBB126_9
; %bb.7:                                ;   in Loop: Header=BB126_6 Depth=1
	s_load_dword vcc_lo, s[36:37], 0x0
	v_mov_b32_e32 v0, 0
	v_mov_b32_e32 v75, 0
	s_waitcnt lgkmcnt(0)
	s_mul_hi_u32 vcc_hi, vcc_lo, s16
	s_add_i32 vcc_hi, vcc_lo, vcc_hi
	s_lshr_b32 s11, vcc_hi, s17
	s_cmp_ge_i32 s11, s13
	s_cbranch_scc1 .LBB126_9
; %bb.8:                                ;   in Loop: Header=BB126_6 Depth=1
	s_mul_i32 vcc_hi, s11, s18
	s_sub_i32 vcc_lo, vcc_lo, vcc_hi
	s_mul_i32 s11, s11, s20
	s_mul_i32 vcc_lo, vcc_lo, s9
	v_add_u32_e32 v0, s11, v72
	v_lshl_add_u32 v76, v0, 1, vcc_lo
	v_ashrrev_i32_e32 v77, 31, v76
	v_lshl_add_u64 v[76:77], v[76:77], 2, s[6:7]
	global_load_dwordx2 v[76:77], v[76:77], off
	s_waitcnt vmcnt(0)
	v_cvt_pk_bf16_f32 v75, v76, s0
	v_cvt_pk_bf16_f32 v0, v77, s0
.LBB126_9:                              ;   in Loop: Header=BB126_6 Depth=1
	v_mov_b32_e32 v76, 0
	s_andn2_b64 vcc, exec, s[38:39]
	v_mov_b32_e32 v78, 0
	v_mov_b32_e32 v77, 0
	s_cbranch_vccnz .LBB126_12
; %bb.10:                               ;   in Loop: Header=BB126_6 Depth=1
	s_load_dword vcc_lo, s[36:37], 0x4
	v_mov_b32_e32 v77, 0
	v_mov_b32_e32 v78, 0
	s_waitcnt lgkmcnt(0)
	s_mul_hi_u32 s11, vcc_lo, s16
	s_add_i32 s11, vcc_lo, s11
	s_lshr_b32 vcc_hi, s11, s17
	s_cmp_ge_i32 vcc_hi, s13
	s_cbranch_scc1 .LBB126_12
; %bb.11:                               ;   in Loop: Header=BB126_6 Depth=1
	s_mul_i32 s11, vcc_hi, s18
	s_sub_i32 s11, vcc_lo, s11
	s_mul_i32 vcc_hi, vcc_hi, s20
	s_mul_i32 s11, s11, s9
	v_add_u32_e32 v77, vcc_hi, v72
	v_lshl_add_u32 v78, v77, 1, s11
	v_ashrrev_i32_e32 v79, 31, v78
	v_lshl_add_u64 v[78:79], v[78:79], 2, s[6:7]
	global_load_dwordx2 v[78:79], v[78:79], off
	s_waitcnt vmcnt(0)
	v_cvt_pk_bf16_f32 v78, v78, s0
	v_cvt_pk_bf16_f32 v77, v79, s0
.LBB126_12:                             ;   in Loop: Header=BB126_6 Depth=1
	s_andn2_b64 vcc, exec, s[40:41]
	v_mov_b32_e32 v79, 0
	s_cbranch_vccnz .LBB126_5
; %bb.13:                               ;   in Loop: Header=BB126_6 Depth=1
	s_load_dword vcc_lo, s[36:37], 0x8
	v_mov_b32_e32 v79, 0
	v_mov_b32_e32 v76, 0
	s_waitcnt lgkmcnt(0)
	s_mul_hi_u32 s11, vcc_lo, s16
	s_add_i32 s11, vcc_lo, s11
	s_lshr_b32 vcc_hi, s11, s17
	s_cmp_ge_i32 vcc_hi, s13
	s_cbranch_scc1 .LBB126_5
; %bb.14:                               ;   in Loop: Header=BB126_6 Depth=1
	s_mul_i32 s11, vcc_hi, s18
	s_sub_i32 s11, vcc_lo, s11
	s_mul_i32 vcc_hi, vcc_hi, s20
	s_mul_i32 s11, s11, s9
	v_add_u32_e32 v76, vcc_hi, v72
	v_lshl_add_u32 v80, v76, 1, s11
	v_ashrrev_i32_e32 v81, 31, v80
	v_lshl_add_u64 v[80:81], v[80:81], 2, s[6:7]
	global_load_dwordx2 v[80:81], v[80:81], off
	s_waitcnt vmcnt(0)
	v_cvt_pk_bf16_f32 v76, v80, s0
	v_cvt_pk_bf16_f32 v79, v81, s0
	s_branch .LBB126_5
.LBB126_15:
	s_or_b64 exec, exec, s[4:5]
	v_readlane_b32 s24, v82, 2
	v_readlane_b32 s25, v82, 3
	;; [unrolled: 1-line block ×3, first 2 shown]
.LBB126_16:
	s_or_b64 exec, exec, s[30:31]
	v_lshl_add_u32 v0, v70, 2, 0
	v_mul_u32_u24_e32 v1, 0x208, v71
	v_and_b32_e32 v2, 0x3f0, v69
	v_add3_u32 v0, v0, v1, v2
	v_accvgpr_read_b32 v1, a5
	v_accvgpr_read_b32 v2, a4
	s_barrier
	ds_write2_b32 v0, v2, v1 offset1:1
	v_accvgpr_read_b32 v1, a7
	v_accvgpr_read_b32 v2, a6
	ds_write2_b32 v0, v2, v1 offset0:2 offset1:3
	v_accvgpr_read_b32 v1, a1
	v_accvgpr_read_b32 v2, a0
	ds_write2_b32 v0, v2, v1 offset0:16 offset1:17
	;; [unrolled: 3-line block ×3, first 2 shown]
	v_accvgpr_read_b32 v1, a9
	v_accvgpr_read_b32 v2, a8
	s_lshl_b64 s[0:1], s[26:27], 2
	ds_write2_b32 v0, v2, v1 offset0:32 offset1:33
	v_accvgpr_read_b32 v1, a11
	v_accvgpr_read_b32 v2, a10
	s_add_u32 s4, s28, s0
	ds_write2_b32 v0, v2, v1 offset0:34 offset1:35
	v_accvgpr_read_b32 v1, a13
	v_accvgpr_read_b32 v2, a12
	s_addc_u32 s5, s29, s1
	ds_write2_b32 v0, v2, v1 offset0:48 offset1:49
	v_accvgpr_read_b32 v1, a15
	v_accvgpr_read_b32 v2, a14
	ds_write2_b32 v0, v2, v1 offset0:50 offset1:51
	s_cmp_gt_i32 s14, 0
	v_add_u32_e32 v0, s2, v68
	s_cselect_b64 s[6:7], -1, 0
	v_cmp_gt_i32_e64 s[0:1], s33, v0
	v_cmp_gt_u32_e32 vcc, 3, v68
	s_and_b64 s[0:1], s[6:7], s[0:1]
	v_lshl_add_u32 v3, v69, 2, 0
	v_add_u32_e32 v2, s3, v69
	s_and_b64 s[8:9], vcc, s[0:1]
	s_waitcnt lgkmcnt(0)
	s_barrier
	s_and_saveexec_b64 s[0:1], s[8:9]
	s_cbranch_execz .LBB126_19
; %bb.17:
	v_ashrrev_i32_e32 v1, 31, v0
	v_lshl_add_u64 v[0:1], v[0:1], 2, s[4:5]
	global_load_dword v0, v[0:1], off
	s_waitcnt vmcnt(0)
	v_mul_hi_u32 v1, v0, s19
	v_add_u32_e32 v1, v0, v1
	v_lshrrev_b32_e32 v1, s24, v1
	v_cmp_gt_i32_e32 vcc, s13, v1
	s_and_b64 exec, exec, vcc
	s_cbranch_execz .LBB126_19
; %bb.18:
	s_movk_i32 s3, 0x208
	v_mad_u32_u24 v4, v68, s3, v3
	ds_read2st64_b32 v[4:5], v4 offset1:1
	v_mul_lo_u32 v6, v1, s25
	v_sub_u32_e32 v0, v0, v6
	v_mul_lo_u32 v1, v1, s21
	v_mul_lo_u32 v0, v0, s10
	v_readlane_b32 s8, v82, 0
	s_waitcnt lgkmcnt(0)
	v_add_f32_e32 v4, 0, v4
	v_add3_u32 v0, v2, v1, v0
	v_mov_b32_e32 v1, 0
	v_readlane_b32 s9, v82, 1
	v_add_f32_e32 v4, v4, v5
	s_nop 0
	v_lshl_add_u64 v[0:1], v[0:1], 2, s[8:9]
	global_store_dword v[0:1], v4, off
.LBB126_19:
	s_or_b64 exec, exec, s[0:1]
	v_cmp_eq_u32_e32 vcc, 0, v68
	s_and_saveexec_b64 s[0:1], vcc
	s_cbranch_execz .LBB126_23
; %bb.20:
	s_add_i32 s0, s2, 2
	s_cmp_ge_i32 s0, s33
	s_cselect_b64 s[0:1], -1, 0
	s_xor_b64 s[6:7], s[6:7], -1
	s_or_b64 s[0:1], s[6:7], s[0:1]
	s_and_b64 vcc, exec, s[0:1]
	s_cbranch_vccnz .LBB126_23
; %bb.21:
	s_ashr_i32 s3, s2, 31
	s_lshl_b64 s[0:1], s[2:3], 2
	s_add_u32 s0, s4, s0
	s_addc_u32 s1, s5, s1
	s_load_dword s0, s[0:1], 0x8
	s_waitcnt lgkmcnt(0)
	s_mul_hi_u32 s1, s0, s19
	s_add_i32 s1, s0, s1
	s_lshr_b32 s1, s1, s24
	s_cmp_ge_i32 s1, s13
	s_cbranch_scc1 .LBB126_23
; %bb.22:
	v_add_u32_e32 v0, 16, v3
	ds_read2st64_b32 v[0:1], v0 offset0:4 offset1:5
	s_mul_i32 s2, s1, s25
	s_sub_i32 s0, s0, s2
	s_mul_i32 s1, s1, s21
	s_mul_i32 s0, s0, s10
	s_waitcnt lgkmcnt(0)
	v_add_f32_e32 v0, 0, v0
	s_add_i32 s0, s0, s1
	v_add_f32_e32 v3, v0, v1
	v_add_u32_e32 v0, s0, v2
	v_readlane_b32 s0, v82, 0
	v_mov_b32_e32 v1, 0
	v_readlane_b32 s1, v82, 1
	s_nop 1
	v_lshl_add_u64 v[0:1], v[0:1], 2, s[0:1]
	global_store_dword v[0:1], v3, off
.LBB126_23:
	s_endpgm
	.section	.rodata,"a",@progbits
	.p2align	6, 0x0
	.amdhsa_kernel _ZL13mul_mat_f_idsI15__hip_bfloat162Li64ELi3ELi2EEvPKT_PKfPKiS7_S7_Pfiiiiiiiiiiiiii15HIP_vector_typeIjLj3EESA_
		.amdhsa_group_segment_fixed_size 0
		.amdhsa_private_segment_fixed_size 0
		.amdhsa_kernarg_size 128
		.amdhsa_user_sgpr_count 2
		.amdhsa_user_sgpr_dispatch_ptr 0
		.amdhsa_user_sgpr_queue_ptr 0
		.amdhsa_user_sgpr_kernarg_segment_ptr 1
		.amdhsa_user_sgpr_dispatch_id 0
		.amdhsa_user_sgpr_kernarg_preload_length 0
		.amdhsa_user_sgpr_kernarg_preload_offset 0
		.amdhsa_user_sgpr_private_segment_size 0
		.amdhsa_uses_dynamic_stack 0
		.amdhsa_enable_private_segment 0
		.amdhsa_system_sgpr_workgroup_id_x 1
		.amdhsa_system_sgpr_workgroup_id_y 1
		.amdhsa_system_sgpr_workgroup_id_z 1
		.amdhsa_system_sgpr_workgroup_info 0
		.amdhsa_system_vgpr_workitem_id 1
		.amdhsa_next_free_vgpr 100
		.amdhsa_next_free_sgpr 100
		.amdhsa_accum_offset 84
		.amdhsa_reserve_vcc 1
		.amdhsa_float_round_mode_32 0
		.amdhsa_float_round_mode_16_64 0
		.amdhsa_float_denorm_mode_32 3
		.amdhsa_float_denorm_mode_16_64 3
		.amdhsa_dx10_clamp 1
		.amdhsa_ieee_mode 1
		.amdhsa_fp16_overflow 0
		.amdhsa_tg_split 0
		.amdhsa_exception_fp_ieee_invalid_op 0
		.amdhsa_exception_fp_denorm_src 0
		.amdhsa_exception_fp_ieee_div_zero 0
		.amdhsa_exception_fp_ieee_overflow 0
		.amdhsa_exception_fp_ieee_underflow 0
		.amdhsa_exception_fp_ieee_inexact 0
		.amdhsa_exception_int_div_zero 0
	.end_amdhsa_kernel
	.section	.text._ZL13mul_mat_f_idsI15__hip_bfloat162Li64ELi3ELi2EEvPKT_PKfPKiS7_S7_Pfiiiiiiiiiiiiii15HIP_vector_typeIjLj3EESA_,"axG",@progbits,_ZL13mul_mat_f_idsI15__hip_bfloat162Li64ELi3ELi2EEvPKT_PKfPKiS7_S7_Pfiiiiiiiiiiiiii15HIP_vector_typeIjLj3EESA_,comdat
.Lfunc_end126:
	.size	_ZL13mul_mat_f_idsI15__hip_bfloat162Li64ELi3ELi2EEvPKT_PKfPKiS7_S7_Pfiiiiiiiiiiiiii15HIP_vector_typeIjLj3EESA_, .Lfunc_end126-_ZL13mul_mat_f_idsI15__hip_bfloat162Li64ELi3ELi2EEvPKT_PKfPKiS7_S7_Pfiiiiiiiiiiiiii15HIP_vector_typeIjLj3EESA_
                                        ; -- End function
	.set _ZL13mul_mat_f_idsI15__hip_bfloat162Li64ELi3ELi2EEvPKT_PKfPKiS7_S7_Pfiiiiiiiiiiiiii15HIP_vector_typeIjLj3EESA_.num_vgpr, 83
	.set _ZL13mul_mat_f_idsI15__hip_bfloat162Li64ELi3ELi2EEvPKT_PKfPKiS7_S7_Pfiiiiiiiiiiiiii15HIP_vector_typeIjLj3EESA_.num_agpr, 16
	.set _ZL13mul_mat_f_idsI15__hip_bfloat162Li64ELi3ELi2EEvPKT_PKfPKiS7_S7_Pfiiiiiiiiiiiiii15HIP_vector_typeIjLj3EESA_.numbered_sgpr, 100
	.set _ZL13mul_mat_f_idsI15__hip_bfloat162Li64ELi3ELi2EEvPKT_PKfPKiS7_S7_Pfiiiiiiiiiiiiii15HIP_vector_typeIjLj3EESA_.num_named_barrier, 0
	.set _ZL13mul_mat_f_idsI15__hip_bfloat162Li64ELi3ELi2EEvPKT_PKfPKiS7_S7_Pfiiiiiiiiiiiiii15HIP_vector_typeIjLj3EESA_.private_seg_size, 0
	.set _ZL13mul_mat_f_idsI15__hip_bfloat162Li64ELi3ELi2EEvPKT_PKfPKiS7_S7_Pfiiiiiiiiiiiiii15HIP_vector_typeIjLj3EESA_.uses_vcc, 1
	.set _ZL13mul_mat_f_idsI15__hip_bfloat162Li64ELi3ELi2EEvPKT_PKfPKiS7_S7_Pfiiiiiiiiiiiiii15HIP_vector_typeIjLj3EESA_.uses_flat_scratch, 0
	.set _ZL13mul_mat_f_idsI15__hip_bfloat162Li64ELi3ELi2EEvPKT_PKfPKiS7_S7_Pfiiiiiiiiiiiiii15HIP_vector_typeIjLj3EESA_.has_dyn_sized_stack, 0
	.set _ZL13mul_mat_f_idsI15__hip_bfloat162Li64ELi3ELi2EEvPKT_PKfPKiS7_S7_Pfiiiiiiiiiiiiii15HIP_vector_typeIjLj3EESA_.has_recursion, 0
	.set _ZL13mul_mat_f_idsI15__hip_bfloat162Li64ELi3ELi2EEvPKT_PKfPKiS7_S7_Pfiiiiiiiiiiiiii15HIP_vector_typeIjLj3EESA_.has_indirect_call, 0
	.section	.AMDGPU.csdata,"",@progbits
; Kernel info:
; codeLenInByte = 5056
; TotalNumSgprs: 106
; NumVgprs: 83
; NumAgprs: 16
; TotalNumVgprs: 100
; ScratchSize: 0
; MemoryBound: 0
; FloatMode: 240
; IeeeMode: 1
; LDSByteSize: 0 bytes/workgroup (compile time only)
; SGPRBlocks: 13
; VGPRBlocks: 12
; NumSGPRsForWavesPerEU: 106
; NumVGPRsForWavesPerEU: 100
; AccumOffset: 84
; Occupancy: 4
; WaveLimiterHint : 1
; COMPUTE_PGM_RSRC2:SCRATCH_EN: 0
; COMPUTE_PGM_RSRC2:USER_SGPR: 2
; COMPUTE_PGM_RSRC2:TRAP_HANDLER: 0
; COMPUTE_PGM_RSRC2:TGID_X_EN: 1
; COMPUTE_PGM_RSRC2:TGID_Y_EN: 1
; COMPUTE_PGM_RSRC2:TGID_Z_EN: 1
; COMPUTE_PGM_RSRC2:TIDIG_COMP_CNT: 1
; COMPUTE_PGM_RSRC3_GFX90A:ACCUM_OFFSET: 20
; COMPUTE_PGM_RSRC3_GFX90A:TG_SPLIT: 0
	.section	.text._ZL9mul_mat_fI15__hip_bfloat162Li64ELi3ELi2ELb1EEvPKT_PKfPKiPfiiiiiiiiiiiiiiii,"axG",@progbits,_ZL9mul_mat_fI15__hip_bfloat162Li64ELi3ELi2ELb1EEvPKT_PKfPKiPfiiiiiiiiiiiiiiii,comdat
	.globl	_ZL9mul_mat_fI15__hip_bfloat162Li64ELi3ELi2ELb1EEvPKT_PKfPKiPfiiiiiiiiiiiiiiii ; -- Begin function _ZL9mul_mat_fI15__hip_bfloat162Li64ELi3ELi2ELb1EEvPKT_PKfPKiPfiiiiiiiiiiiiiiii
	.p2align	8
	.type	_ZL9mul_mat_fI15__hip_bfloat162Li64ELi3ELi2ELb1EEvPKT_PKfPKiPfiiiiiiiiiiiiiiii,@function
_ZL9mul_mat_fI15__hip_bfloat162Li64ELi3ELi2ELb1EEvPKT_PKfPKiPfiiiiiiiiiiiiiiii: ; @_ZL9mul_mat_fI15__hip_bfloat162Li64ELi3ELi2ELb1EEvPKT_PKfPKiPfiiiiiiiiiiiiiiii
; %bb.0:
	s_load_dwordx8 s[16:23], s[0:1], 0x20
	s_load_dwordx2 s[8:9], s[0:1], 0x10
	s_waitcnt lgkmcnt(0)
	s_add_i32 s5, s17, 2
	s_mul_hi_i32 s5, s5, 0x55555556
	s_lshr_b32 s6, s5, 31
	s_add_i32 s5, s5, s6
	v_cvt_f32_u32_e32 v1, s5
	s_load_dwordx4 s[24:27], s[0:1], 0x44
	s_load_dword s6, s[0:1], 0x64
	s_add_u32 s34, s0, 0x60
	s_addc_u32 s35, s1, 0
	v_rcp_iflag_f32_e32 v1, v1
	s_sub_i32 s7, 0, s5
	s_waitcnt lgkmcnt(0)
	s_abs_i32 s33, s27
	v_mul_f32_e32 v1, 0x4f7ffffe, v1
	v_cvt_u32_f32_e32 v1, v1
	v_mul_lo_u32 v2, s7, v1
	v_mul_hi_u32 v2, v1, v2
	v_add_u32_e32 v1, v1, v2
	v_mul_hi_u32 v1, s6, v1
	v_mul_lo_u32 v2, v1, s5
	v_sub_u32_e32 v2, s6, v2
	v_add_u32_e32 v3, 1, v1
	v_subrev_u32_e32 v4, s5, v2
	v_cmp_le_u32_e32 vcc, s5, v2
	s_nop 1
	v_cndmask_b32_e32 v1, v1, v3, vcc
	v_cndmask_b32_e32 v2, v2, v4, vcc
	v_add_u32_e32 v3, 1, v1
	v_cmp_le_u32_e32 vcc, s5, v2
	s_sub_i32 s5, 0, s33
	s_nop 0
	v_cndmask_b32_e32 v1, v1, v3, vcc
	v_cvt_f32_u32_e32 v2, v1
	v_cvt_f32_u32_e32 v3, s33
	v_rcp_iflag_f32_e32 v2, v2
	v_rcp_iflag_f32_e32 v3, v3
	v_mul_f32_e32 v2, 0x4f7ffffe, v2
	v_cvt_u32_f32_e32 v2, v2
	v_mul_f32_e32 v3, 0x4f7ffffe, v3
	v_cvt_u32_f32_e32 v11, v3
	v_sub_u32_e32 v3, 0, v1
	v_mul_lo_u32 v3, v3, v2
	v_mul_hi_u32 v3, v2, v3
	v_add_u32_e32 v2, v2, v3
	v_mul_hi_u32 v4, s3, v2
	v_and_b32_e32 v2, 0x3ff, v0
	v_bfe_u32 v3, v0, 10, 10
	v_cmp_eq_u32_e32 vcc, 0, v2
	s_and_saveexec_b64 s[6:7], vcc
; %bb.1:
	v_mov_b32_e32 v5, 0x100
	v_lshl_add_u32 v5, v3, 2, v5
	v_mov_b32_e32 v6, -1
	ds_write_b32 v5, v6
; %bb.2:
	s_or_b64 exec, exec, s[6:7]
	v_mul_lo_u32 v5, v4, v1
	v_sub_u32_e32 v5, s3, v5
	v_add_u32_e32 v6, 1, v4
	v_sub_u32_e32 v7, v5, v1
	v_cmp_ge_u32_e64 s[6:7], v5, v1
	v_mul_lo_u32 v12, s5, v11
	s_nop 0
	v_cndmask_b32_e64 v4, v4, v6, s[6:7]
	v_cndmask_b32_e64 v5, v5, v7, s[6:7]
	v_add_u32_e32 v6, 1, v4
	v_cmp_ge_u32_e64 s[6:7], v5, v1
	s_nop 1
	v_cndmask_b32_e64 v4, v4, v6, s[6:7]
	v_mul_lo_u32 v78, v4, 3
	v_mul_lo_u32 v1, v4, v1
	v_mul_hi_i32 v5, v78, s23
	v_mul_lo_u32 v4, v78, s23
	v_sub_u32_e32 v10, s3, v1
	v_lshlrev_b64 v[4:5], 2, v[4:5]
	v_add_u32_e32 v1, v3, v78
	v_lshl_add_u64 v[4:5], s[8:9], 0, v[4:5]
	v_cmp_gt_i32_e64 s[6:7], s18, v2
	v_cmp_gt_i32_e64 s[10:11], s17, v1
	v_mov_b32_e32 v1, 0
	s_and_saveexec_b64 s[14:15], s[10:11]
	s_cbranch_execz .LBB127_10
; %bb.3:
	v_mov_b32_e32 v1, 0
	s_and_saveexec_b64 s[28:29], s[6:7]
	s_cbranch_execz .LBB127_9
; %bb.4:
	v_mul_lo_u32 v6, v3, s23
	v_ashrrev_i32_e32 v7, 31, v6
	v_mov_b32_e32 v1, 0x100
	v_lshl_add_u64 v[6:7], v[6:7], 2, v[4:5]
	v_lshl_add_u32 v13, v3, 2, v1
	v_mul_lo_u32 v8, v2, s22
	s_lshl_b32 s3, s22, 6
	v_mov_b32_e32 v1, 0
	s_mov_b64 s[30:31], 0
	v_mov_b32_e32 v14, v2
	s_branch .LBB127_6
.LBB127_5:                              ;   in Loop: Header=BB127_6 Depth=1
	s_or_b64 exec, exec, s[36:37]
	v_add_u32_e32 v14, 64, v14
	v_cmp_le_i32_e64 s[12:13], s18, v14
	s_xor_b64 s[8:9], s[8:9], -1
	s_or_b64 s[8:9], s[8:9], s[12:13]
	s_and_b64 s[8:9], exec, s[8:9]
	s_or_b64 s[30:31], s[8:9], s[30:31]
	v_add_u32_e32 v8, s3, v8
	s_andn2_b64 exec, exec, s[30:31]
	s_cbranch_execz .LBB127_8
.LBB127_6:                              ; =>This Inner Loop Header: Depth=1
	v_ashrrev_i32_e32 v9, 31, v8
	v_lshl_add_u64 v[16:17], v[8:9], 2, v[6:7]
	global_load_dword v9, v[16:17], off
	s_waitcnt vmcnt(0)
	v_cmp_ne_u32_e64 s[8:9], v9, v10
	v_cmp_eq_u32_e64 s[12:13], v9, v10
	s_and_saveexec_b64 s[36:37], s[12:13]
	s_cbranch_execz .LBB127_5
; %bb.7:                                ;   in Loop: Header=BB127_6 Depth=1
	v_mov_b32_e32 v1, 1
	ds_write_b32 v13, v14
	s_branch .LBB127_5
.LBB127_8:
	s_or_b64 exec, exec, s[30:31]
.LBB127_9:
	s_or_b64 exec, exec, s[28:29]
.LBB127_10:
	s_or_b64 exec, exec, s[14:15]
	v_mul_hi_u32 v6, v11, v12
	s_and_saveexec_b64 s[8:9], vcc
; %bb.11:
	v_mov_b32_e32 v7, 0x100
	v_lshl_add_u32 v7, v3, 2, v7
	v_mov_b32_e32 v8, -1
	ds_write_b32 v7, v8 offset:8
; %bb.12:
	s_or_b64 exec, exec, s[8:9]
	s_load_dwordx4 s[28:31], s[0:1], 0x54
	v_add_u32_e32 v8, v11, v6
	v_add_u32_e32 v6, 2, v3
	;; [unrolled: 1-line block ×3, first 2 shown]
	s_abs_i32 s3, s4
	v_cmp_gt_i32_e64 s[12:13], s17, v7
	s_and_saveexec_b64 s[8:9], s[12:13]
	s_cbranch_execz .LBB127_20
; %bb.13:
	s_and_saveexec_b64 s[14:15], s[6:7]
	s_cbranch_execz .LBB127_19
; %bb.14:
	v_mul_lo_u32 v6, v6, s23
	v_ashrrev_i32_e32 v7, 31, v6
	v_lshl_add_u64 v[4:5], v[6:7], 2, v[4:5]
	v_mov_b32_e32 v6, 0x100
	v_lshl_add_u32 v9, v3, 2, v6
	v_mul_lo_u32 v6, v2, s22
	s_lshl_b32 s5, s22, 6
	s_mov_b64 s[22:23], 0
	v_mov_b32_e32 v11, v2
	s_branch .LBB127_16
.LBB127_15:                             ;   in Loop: Header=BB127_16 Depth=1
	s_or_b64 exec, exec, s[36:37]
	v_add_u32_e32 v11, 64, v11
	v_cmp_le_i32_e64 s[6:7], s18, v11
	s_xor_b64 s[36:37], vcc, -1
	s_or_b64 s[6:7], s[36:37], s[6:7]
	s_and_b64 s[6:7], exec, s[6:7]
	s_or_b64 s[22:23], s[6:7], s[22:23]
	v_add_u32_e32 v6, s5, v6
	s_andn2_b64 exec, exec, s[22:23]
	s_cbranch_execz .LBB127_18
.LBB127_16:                             ; =>This Inner Loop Header: Depth=1
	v_ashrrev_i32_e32 v7, 31, v6
	v_lshl_add_u64 v[12:13], v[6:7], 2, v[4:5]
	global_load_dword v7, v[12:13], off
	s_waitcnt vmcnt(0)
	v_cmp_ne_u32_e32 vcc, v7, v10
	v_cmp_eq_u32_e64 s[6:7], v7, v10
	s_and_saveexec_b64 s[36:37], s[6:7]
	s_cbranch_execz .LBB127_15
; %bb.17:                               ;   in Loop: Header=BB127_16 Depth=1
	v_mov_b32_e32 v1, 1
	ds_write_b32 v9, v11 offset:8
	s_branch .LBB127_15
.LBB127_18:
	s_or_b64 exec, exec, s[22:23]
.LBB127_19:
	s_or_b64 exec, exec, s[14:15]
.LBB127_20:
	s_or_b64 exec, exec, s[8:9]
	s_load_dwordx2 s[6:7], s[34:35], 0xc
	s_load_dwordx2 s[8:9], s[0:1], 0x8
	;; [unrolled: 1-line block ×3, first 2 shown]
	v_or_b32_dpp v1, v1, v1 row_shl:1 row_mask:0xf bank_mask:0xf bound_ctrl:1
	v_mul_hi_u32 v4, s3, v8
	s_waitcnt lgkmcnt(0)
	s_and_b32 s5, s7, 0xffff
	s_lshr_b32 s7, s6, 16
	s_and_b32 s6, s6, 0xffff
	v_or_b32_dpp v1, v1, v1 row_shl:2 row_mask:0xf bank_mask:0xf bound_ctrl:1
	s_mul_i32 s18, s7, s6
	s_bfe_i32 s18, s18, 0x180000
	v_or_b32_dpp v1, v1, v1 row_shl:4 row_mask:0xf bank_mask:0xf bound_ctrl:1
	s_mul_i32 s5, s18, s5
	s_add_i32 s18, s5, 63
	v_or_b32_dpp v1, v1, v1 row_shl:8 row_mask:0xf bank_mask:0xf bound_ctrl:1
	s_bitcmp1_b32 exec_hi, 0
	s_nop 0
	v_mov_b32_dpp v5, v1 wave_shl:1 row_mask:0xf bank_mask:0xf bound_ctrl:1
	s_nop 1
	v_or_b32_dpp v1, v5, v1 row_mirror row_mask:0xf bank_mask:0xf bound_ctrl:1
	s_nop 0
	v_readlane_b32 s5, v1, 32
	s_cselect_b32 s5, s5, 0
	v_readlane_b32 s22, v1, 0
	s_or_b32 s5, s5, s22
	s_andn2_b32 s18, s18, 63
	s_cmp_lg_u32 s18, 64
	v_mov_b32_e32 v1, s5
	s_cbranch_scc0 .LBB127_27
; %bb.21:
	v_bfe_u32 v0, v0, 20, 10
	v_mbcnt_lo_u32_b32 v1, -1, 0
	v_mad_u32_u24 v0, v0, s7, v3
	v_mbcnt_hi_u32_b32 v5, -1, v1
	v_mad_u64_u32 v[0:1], s[6:7], v0, s6, v[2:3]
	v_lshrrev_b32_e32 v1, 6, v0
	v_or_b32_e32 v1, v5, v1
	v_cmp_eq_u32_e32 vcc, 0, v1
	s_and_saveexec_b64 s[6:7], vcc
; %bb.22:
	v_mov_b32_e32 v1, 0
	v_mov_b32_e32 v6, s5
	ds_write_b32 v1, v6
; %bb.23:
	s_or_b64 exec, exec, s[6:7]
	v_cmp_eq_u32_e32 vcc, 0, v5
	v_cmp_lt_u32_e64 s[6:7], 63, v0
	s_and_b64 s[22:23], s[6:7], vcc
	s_waitcnt lgkmcnt(0)
	s_barrier
	s_and_saveexec_b64 s[6:7], s[22:23]
	s_cbranch_execz .LBB127_26
; %bb.24:
	v_mbcnt_lo_u32_b32 v0, exec_lo, 0
	v_mbcnt_hi_u32_b32 v0, exec_hi, v0
	v_cmp_eq_u32_e32 vcc, 0, v0
	s_and_b64 exec, exec, vcc
; %bb.25:
	v_mov_b32_e32 v0, 0
	v_mov_b32_e32 v1, s5
	ds_or_b32 v0, v1
.LBB127_26:
	s_or_b64 exec, exec, s[6:7]
	v_mov_b32_e32 v0, 0
	s_waitcnt lgkmcnt(0)
	s_barrier
	ds_read_b32 v1, v0
	s_waitcnt lgkmcnt(0)
	s_barrier
.LBB127_27:
	s_load_dwordx2 s[0:1], s[0:1], 0x0
	v_cmp_ne_u32_e32 vcc, 0, v1
	s_ashr_i32 s18, s4, 31
	s_ashr_i32 s27, s27, 31
	s_cbranch_vccz .LBB127_53
; %bb.28:
	v_lshlrev_b32_e32 v79, 6, v3
	v_add_u32_e32 v81, v79, v2
	v_cmp_le_i32_e32 vcc, s16, v81
	v_and_b32_e32 v80, 15, v2
	s_and_saveexec_b64 s[6:7], vcc
	s_xor_b64 s[6:7], exec, s[6:7]
; %bb.29:
	v_and_b32_e32 v80, 15, v2
                                        ; implicit-def: $vgpr81
                                        ; implicit-def: $vgpr4
                                        ; implicit-def: $vgpr10
; %bb.30:
	s_or_saveexec_b64 s[22:23], s[6:7]
	s_lshl_b32 s5, s2, 6
	v_mov_b32_e32 v1, 0
	v_accvgpr_write_b32 a0, 0
	v_accvgpr_write_b32 a1, 0
	;; [unrolled: 1-line block ×16, first 2 shown]
	s_xor_b64 exec, exec, s[22:23]
	s_cbranch_execz .LBB127_46
; %bb.31:
	v_mul_lo_u32 v0, v4, s33
	v_sub_u32_e32 v0, s3, v0
	v_add_u32_e32 v5, 1, v4
	v_subrev_u32_e32 v6, s33, v0
	v_cmp_le_u32_e32 vcc, s33, v0
	s_xor_b32 s2, s18, s27
	v_mov_b32_e32 v82, 0x100
	v_cndmask_b32_e32 v4, v4, v5, vcc
	v_cndmask_b32_e32 v0, v0, v6, vcc
	v_add_u32_e32 v5, 1, v4
	v_cmp_le_u32_e32 vcc, s33, v0
	v_mul_lo_u32 v6, v10, s24
	v_ashrrev_i32_e32 v7, 31, v6
	v_cndmask_b32_e32 v0, v4, v5, vcc
	v_xor_b32_e32 v0, s2, v0
	v_subrev_u32_e32 v0, s2, v0
	s_mul_i32 s2, s19, s5
	s_ashr_i32 s3, s2, 31
	s_lshl_b64 s[6:7], s[2:3], 2
	s_movk_i32 s2, 0x1080
	v_mul_hi_i32 v5, v0, s28
	v_mul_lo_u32 v4, v0, s28
	v_mad_u32_u24 v0, v3, s2, v82
	s_mul_hi_i32 s3, s29, s4
	s_mul_i32 s2, s29, s4
	v_lshlrev_b64 v[8:9], 2, v[4:5]
	s_lshl_b64 s[2:3], s[2:3], 2
	v_lshrrev_b32_e32 v13, 1, v2
	s_waitcnt lgkmcnt(0)
	v_lshl_add_u64 v[4:5], s[0:1], 0, v[8:9]
	v_lshlrev_b64 v[10:11], 2, v[6:7]
	v_mul_hi_i32 v7, s20, v78
	v_mul_lo_u32 v6, s20, v78
	s_add_u32 s2, s8, s2
	v_mul_u32_u24_e32 v12, 0x108, v80
	v_and_b32_e32 v13, 0x1f8, v13
	v_lshl_add_u64 v[8:9], v[8:9], 0, s[6:7]
	v_lshlrev_b64 v[6:7], 3, v[6:7]
	s_addc_u32 s3, s9, s3
	v_lshl_add_u32 v83, v2, 2, v0
	v_add3_u32 v84, v0, v12, v13
	v_lshl_add_u64 v[8:9], v[8:9], 0, v[10:11]
	v_lshlrev_b32_e32 v0, 1, v2
	v_lshl_add_u64 v[4:5], v[4:5], 0, v[10:11]
	v_lshl_add_u64 v[6:7], s[2:3], 0, v[6:7]
	v_add_u32_e32 v12, 1, v78
	v_add_u32_e32 v13, 2, v78
	s_ashr_i32 s3, s19, 31
	s_mov_b32 s2, s19
	v_lshl_add_u64 v[8:9], s[0:1], 0, v[8:9]
	v_lshl_add_u32 v85, v3, 7, v0
	v_lshlrev_b32_e32 v0, 2, v81
	v_lshl_add_u64 v[4:5], v[4:5], 0, s[6:7]
	s_lshl_b32 s24, s20, 2
	s_add_i32 s27, s19, s19
	s_mul_i32 s31, s19, 3
	s_lshl_b32 s33, s19, 2
	s_mul_i32 s34, s19, 5
	s_mul_i32 s35, s19, 6
	;; [unrolled: 1-line block ×3, first 2 shown]
	s_lshl_b32 s37, s19, 3
	s_mul_i32 s38, s19, 9
	s_mul_i32 s39, s19, 10
	;; [unrolled: 1-line block ×7, first 2 shown]
	s_lshl_b32 s45, s19, 4
	s_mul_i32 s46, s19, 17
	s_mul_i32 s47, s19, 18
	;; [unrolled: 1-line block ×15, first 2 shown]
	s_lshl_b32 s61, s19, 5
	s_mul_i32 s62, s19, 33
	s_mul_i32 s63, s19, 34
	;; [unrolled: 1-line block ×22, first 2 shown]
	v_cmp_gt_i32_e64 s[0:1], s17, v78
	s_mul_i32 s84, s19, 55
	s_mul_i32 s85, s19, 56
	s_lshl_b64 s[2:3], s[2:3], 2
	v_accvgpr_write_b32 a15, 0
	v_accvgpr_write_b32 a14, 0
	v_accvgpr_write_b32 a13, 0
	v_accvgpr_write_b32 a12, 0
	v_accvgpr_write_b32 a11, 0
	v_accvgpr_write_b32 a10, 0
	v_accvgpr_write_b32 a9, 0
	v_accvgpr_write_b32 a8, 0
	v_accvgpr_write_b32 a7, 0
	v_accvgpr_write_b32 a6, 0
	v_accvgpr_write_b32 a5, 0
	v_accvgpr_write_b32 a4, 0
	v_accvgpr_write_b32 a3, 0
	v_accvgpr_write_b32 a2, 0
	v_accvgpr_write_b32 a1, 0
	v_accvgpr_write_b32 a0, 0
	v_lshl_add_u64 v[8:9], v[8:9], 0, v[0:1]
	s_mul_i32 s86, s19, 57
	s_mul_i32 s87, s19, 58
	;; [unrolled: 1-line block ×7, first 2 shown]
	s_lshl_b32 s20, s20, 1
	v_cmp_gt_i32_e64 s[6:7], s17, v12
	v_cmp_gt_i32_e64 s[8:9], s17, v13
	s_mov_b64 s[18:19], 0
	s_mov_b64 s[28:29], 0x200
	s_branch .LBB127_34
.LBB127_32:                             ;   in Loop: Header=BB127_34 Depth=1
	v_mul_lo_u32 v0, v0, s25
	v_add_u32_e32 v0, s24, v0
	v_add_u32_e32 v74, v0, v85
	v_ashrrev_i32_e32 v75, 31, v74
	v_lshl_add_u64 v[74:75], v[74:75], 2, v[6:7]
	global_load_dwordx2 v[74:75], v[74:75], off
.LBB127_33:                             ;   in Loop: Header=BB127_34 Depth=1
	s_waitcnt vmcnt(0)
	v_cvt_pk_bf16_f32 v0, v74, v75
	ds_write2_b32 v83, v0, v1 offset0:148 offset1:214
	v_add_u32_e32 v0, 0x400, v83
	ds_write2_b32 v0, v1, v1 offset0:24 offset1:90
	ds_write2_b32 v0, v1, v1 offset0:156 offset1:222
	v_add_u32_e32 v0, 0x800, v83
	ds_write2_b32 v0, v1, v1 offset0:32 offset1:98
	;; [unrolled: 3-line block ×3, first 2 shown]
	ds_write2_b32 v0, v1, v1 offset0:172 offset1:238
	ds_read2_b64 v[74:77], v84 offset0:8 offset1:12
	v_add_u32_e32 v81, 0x80, v81
	s_waitcnt lgkmcnt(0)
	v_mfma_f32_16x16x16_bf16 a[8:11], v[42:43], v[74:75], a[8:11]
	v_cmp_le_i32_e32 vcc, s16, v81
	v_add_u32_e32 v85, 0x100, v85
	v_lshl_add_u64 v[8:9], v[8:9], 0, s[28:29]
	v_mfma_f32_16x16x16_bf16 a[12:15], v[28:29], v[74:75], a[12:15]
	s_or_b64 s[18:19], vcc, s[18:19]
	v_mfma_f32_16x16x16_bf16 a[4:7], v[56:57], v[74:75], a[4:7]
	v_mfma_f32_16x16x16_bf16 a[0:3], v[72:73], v[74:75], a[0:3]
	v_mfma_f32_16x16x16_bf16 a[8:11], v[40:41], v[76:77], a[8:11]
	ds_read2_b64 v[40:43], v84 offset0:16 offset1:20
	v_mfma_f32_16x16x16_bf16 a[12:15], v[22:23], v[76:77], a[12:15]
	v_mfma_f32_16x16x16_bf16 a[4:7], v[54:55], v[76:77], a[4:7]
	v_mfma_f32_16x16x16_bf16 a[0:3], v[70:71], v[76:77], a[0:3]
	s_waitcnt lgkmcnt(0)
	v_mfma_f32_16x16x16_bf16 a[12:15], v[20:21], v[40:41], a[12:15]
	v_mfma_f32_16x16x16_bf16 a[8:11], v[36:37], v[40:41], a[8:11]
	v_mfma_f32_16x16x16_bf16 a[4:7], v[52:53], v[40:41], a[4:7]
	v_mfma_f32_16x16x16_bf16 a[0:3], v[68:69], v[40:41], a[0:3]
	v_mfma_f32_16x16x16_bf16 a[12:15], v[18:19], v[42:43], a[12:15]
	ds_read2_b64 v[18:21], v84 offset0:24 offset1:28
	v_mfma_f32_16x16x16_bf16 a[8:11], v[34:35], v[42:43], a[8:11]
	v_mfma_f32_16x16x16_bf16 a[4:7], v[50:51], v[42:43], a[4:7]
	v_mfma_f32_16x16x16_bf16 a[0:3], v[66:67], v[42:43], a[0:3]
	s_waitcnt lgkmcnt(0)
	v_mfma_f32_16x16x16_bf16 a[12:15], v[16:17], v[18:19], a[12:15]
	v_mfma_f32_16x16x16_bf16 a[8:11], v[32:33], v[18:19], a[8:11]
	;; [unrolled: 10-line block ×3, first 2 shown]
	v_mfma_f32_16x16x16_bf16 a[4:7], v[44:45], v[14:15], a[4:7]
	v_mfma_f32_16x16x16_bf16 a[0:3], v[60:61], v[14:15], a[0:3]
	;; [unrolled: 1-line block ×6, first 2 shown]
	s_andn2_b64 exec, exec, s[18:19]
	s_cbranch_execz .LBB127_45
.LBB127_34:                             ; =>This Inner Loop Header: Depth=1
	v_lshl_add_u64 v[10:11], v[8:9], 0, s[2:3]
	global_load_dword v0, v[8:9], off
	global_load_dword v26, v[10:11], off
	v_add_u32_e32 v10, s27, v81
	v_add_u32_e32 v14, s33, v81
	;; [unrolled: 1-line block ×5, first 2 shown]
	v_ashrrev_i32_e32 v11, 31, v10
	v_add_u32_e32 v12, s31, v81
	v_ashrrev_i32_e32 v15, 31, v14
	v_ashrrev_i32_e32 v17, 31, v16
	;; [unrolled: 1-line block ×3, first 2 shown]
	v_add_u32_e32 v20, s36, v81
	v_ashrrev_i32_e32 v23, 31, v22
	v_add_u32_e32 v24, s38, v81
	v_lshl_add_u64 v[10:11], v[10:11], 2, v[4:5]
	v_ashrrev_i32_e32 v13, 31, v12
	v_lshl_add_u64 v[14:15], v[14:15], 2, v[4:5]
	v_lshl_add_u64 v[16:17], v[16:17], 2, v[4:5]
	;; [unrolled: 1-line block ×3, first 2 shown]
	v_ashrrev_i32_e32 v21, 31, v20
	v_lshl_add_u64 v[22:23], v[22:23], 2, v[4:5]
	v_ashrrev_i32_e32 v25, 31, v24
	v_lshl_add_u64 v[12:13], v[12:13], 2, v[4:5]
	v_lshl_add_u64 v[20:21], v[20:21], 2, v[4:5]
	;; [unrolled: 1-line block ×3, first 2 shown]
	global_load_dword v27, v[10:11], off
	global_load_dword v28, v[12:13], off
	;; [unrolled: 1-line block ×6, first 2 shown]
	s_nop 0
	global_load_dword v22, v[22:23], off
	s_nop 0
	global_load_dword v23, v[24:25], off
	v_add_u32_e32 v10, s39, v81
	v_add_u32_e32 v14, s41, v81
	v_add_u32_e32 v16, s42, v81
	v_add_u32_e32 v18, s43, v81
	v_ashrrev_i32_e32 v11, 31, v10
	v_add_u32_e32 v12, s40, v81
	v_ashrrev_i32_e32 v15, 31, v14
	v_ashrrev_i32_e32 v17, 31, v16
	;; [unrolled: 1-line block ×3, first 2 shown]
	v_add_u32_e32 v20, s44, v81
	v_lshl_add_u64 v[10:11], v[10:11], 2, v[4:5]
	v_ashrrev_i32_e32 v13, 31, v12
	v_lshl_add_u64 v[14:15], v[14:15], 2, v[4:5]
	v_lshl_add_u64 v[16:17], v[16:17], 2, v[4:5]
	;; [unrolled: 1-line block ×3, first 2 shown]
	v_ashrrev_i32_e32 v21, 31, v20
	v_lshl_add_u64 v[12:13], v[12:13], 2, v[4:5]
	v_lshl_add_u64 v[20:21], v[20:21], 2, v[4:5]
	global_load_dword v24, v[10:11], off
	global_load_dword v25, v[12:13], off
	s_nop 0
	global_load_dword v15, v[14:15], off
	s_nop 0
	;; [unrolled: 2-line block ×4, first 2 shown]
	global_load_dword v18, v[20:21], off
	v_add_u32_e32 v10, s45, v81
	v_add_u32_e32 v12, s46, v81
	v_ashrrev_i32_e32 v11, 31, v10
	v_add_u32_e32 v14, s47, v81
	v_ashrrev_i32_e32 v13, 31, v12
	v_lshl_add_u64 v[10:11], v[10:11], 2, v[4:5]
	v_lshl_add_u64 v[12:13], v[12:13], 2, v[4:5]
	global_load_dword v33, v[10:11], off
	global_load_dword v34, v[12:13], off
	v_add_u32_e32 v12, s48, v81
	v_add_u32_e32 v20, s52, v81
	v_ashrrev_i32_e32 v13, 31, v12
	v_ashrrev_i32_e32 v21, 31, v20
	v_lshl_add_u64 v[12:13], v[12:13], 2, v[4:5]
	v_lshl_add_u64 v[20:21], v[20:21], 2, v[4:5]
	s_andn2_b64 vcc, exec, s[0:1]
	v_mov_b32_e32 v76, 0
	v_mov_b32_e32 v77, 0
	s_waitcnt vmcnt(17)
	ds_write_b32 v83, v0 offset:64
	s_waitcnt vmcnt(16)
	ds_write_b32 v83, v26 offset:328
	;; [unrolled: 2-line block ×16, first 2 shown]
	v_ashrrev_i32_e32 v15, 31, v14
	v_lshl_add_u64 v[10:11], v[14:15], 2, v[4:5]
	v_add_u32_e32 v14, s49, v81
	v_add_u32_e32 v16, s50, v81
	;; [unrolled: 1-line block ×5, first 2 shown]
	v_ashrrev_i32_e32 v15, 31, v14
	v_ashrrev_i32_e32 v17, 31, v16
	;; [unrolled: 1-line block ×5, first 2 shown]
	v_lshl_add_u64 v[14:15], v[14:15], 2, v[4:5]
	v_lshl_add_u64 v[16:17], v[16:17], 2, v[4:5]
	v_lshl_add_u64 v[18:19], v[18:19], 2, v[4:5]
	v_lshl_add_u64 v[22:23], v[22:23], 2, v[4:5]
	v_lshl_add_u64 v[24:25], v[24:25], 2, v[4:5]
	global_load_dword v0, v[10:11], off
	global_load_dword v26, v[12:13], off
	global_load_dword v27, v[14:15], off
	global_load_dword v30, v[16:17], off
	global_load_dword v31, v[18:19], off
	global_load_dword v32, v[20:21], off
	global_load_dword v35, v[22:23], off
	global_load_dword v36, v[24:25], off
	v_add_u32_e32 v10, s55, v81
	v_ashrrev_i32_e32 v11, 31, v10
	v_add_u32_e32 v12, s56, v81
	v_add_u32_e32 v14, s57, v81
	v_add_u32_e32 v16, s58, v81
	v_add_u32_e32 v18, s59, v81
	v_add_u32_e32 v20, s60, v81
	v_add_u32_e32 v22, s61, v81
	v_add_u32_e32 v24, s62, v81
	v_lshl_add_u64 v[10:11], v[10:11], 2, v[4:5]
	v_ashrrev_i32_e32 v13, 31, v12
	v_ashrrev_i32_e32 v15, 31, v14
	v_ashrrev_i32_e32 v17, 31, v16
	v_ashrrev_i32_e32 v19, 31, v18
	v_ashrrev_i32_e32 v21, 31, v20
	v_ashrrev_i32_e32 v23, 31, v22
	v_ashrrev_i32_e32 v25, 31, v24
	v_lshl_add_u64 v[12:13], v[12:13], 2, v[4:5]
	v_lshl_add_u64 v[14:15], v[14:15], 2, v[4:5]
	v_lshl_add_u64 v[16:17], v[16:17], 2, v[4:5]
	v_lshl_add_u64 v[18:19], v[18:19], 2, v[4:5]
	v_lshl_add_u64 v[20:21], v[20:21], 2, v[4:5]
	v_lshl_add_u64 v[22:23], v[22:23], 2, v[4:5]
	v_lshl_add_u64 v[24:25], v[24:25], 2, v[4:5]
	global_load_dword v37, v[10:11], off
	global_load_dword v38, v[12:13], off
	global_load_dword v39, v[14:15], off
	global_load_dword v40, v[16:17], off
	global_load_dword v41, v[18:19], off
	global_load_dword v42, v[20:21], off
	global_load_dword v44, v[22:23], off
	global_load_dword v45, v[24:25], off
	v_add_u32_e32 v10, s63, v81
	v_ashrrev_i32_e32 v11, 31, v10
	v_add_u32_e32 v12, s64, v81
	v_add_u32_e32 v14, s65, v81
	v_add_u32_e32 v16, s66, v81
	v_add_u32_e32 v18, s67, v81
	v_add_u32_e32 v20, s68, v81
	v_add_u32_e32 v22, s69, v81
	v_add_u32_e32 v24, s70, v81
	v_lshl_add_u64 v[10:11], v[10:11], 2, v[4:5]
	v_ashrrev_i32_e32 v13, 31, v12
	v_ashrrev_i32_e32 v15, 31, v14
	v_ashrrev_i32_e32 v17, 31, v16
	v_ashrrev_i32_e32 v19, 31, v18
	v_ashrrev_i32_e32 v21, 31, v20
	v_ashrrev_i32_e32 v23, 31, v22
	v_ashrrev_i32_e32 v25, 31, v24
	v_lshl_add_u64 v[12:13], v[12:13], 2, v[4:5]
	v_lshl_add_u64 v[14:15], v[14:15], 2, v[4:5]
	;; [unrolled: 32-line block ×4, first 2 shown]
	v_lshl_add_u64 v[16:17], v[16:17], 2, v[4:5]
	v_lshl_add_u64 v[18:19], v[18:19], 2, v[4:5]
	;; [unrolled: 1-line block ×5, first 2 shown]
	global_load_dword v62, v[10:11], off
	global_load_dword v63, v[12:13], off
	;; [unrolled: 1-line block ×8, first 2 shown]
	v_add_u32_e32 v10, s87, v81
	v_ashrrev_i32_e32 v11, 31, v10
	v_add_u32_e32 v12, s88, v81
	v_lshl_add_u64 v[10:11], v[10:11], 2, v[4:5]
	v_ashrrev_i32_e32 v13, 31, v12
	v_lshl_add_u64 v[12:13], v[12:13], 2, v[4:5]
	global_load_dword v70, v[10:11], off
	global_load_dword v71, v[12:13], off
	v_add_u32_e32 v10, s89, v81
	v_ashrrev_i32_e32 v11, 31, v10
	v_add_u32_e32 v12, s90, v81
	v_add_u32_e32 v14, s91, v81
	v_add_u32_e32 v16, s92, v81
	v_lshl_add_u64 v[10:11], v[10:11], 2, v[4:5]
	v_ashrrev_i32_e32 v13, 31, v12
	v_ashrrev_i32_e32 v15, 31, v14
	;; [unrolled: 1-line block ×3, first 2 shown]
	v_lshl_add_u64 v[12:13], v[12:13], 2, v[4:5]
	v_lshl_add_u64 v[14:15], v[14:15], 2, v[4:5]
	;; [unrolled: 1-line block ×3, first 2 shown]
	global_load_dword v72, v[10:11], off
	global_load_dword v73, v[12:13], off
	;; [unrolled: 1-line block ×4, first 2 shown]
	ds_read_b64 v[28:29], v84 offset:64
	ds_read_b64 v[22:23], v84 offset:96
	ds_read_b64 v[20:21], v84 offset:128
	ds_read_b64 v[18:19], v84 offset:160
	ds_read_b64 v[16:17], v84 offset:192
	ds_read_b64 v[14:15], v84 offset:224
	ds_read_b64 v[12:13], v84 offset:256
	ds_read_b64 v[10:11], v84 offset:288
	s_waitcnt vmcnt(47)
	ds_write_b32 v83, v33 offset:64
	s_waitcnt vmcnt(46)
	ds_write_b32 v83, v34 offset:328
	s_waitcnt vmcnt(45)
	ds_write_b32 v83, v0 offset:592
	s_waitcnt vmcnt(44)
	ds_write_b32 v83, v26 offset:856
	s_waitcnt vmcnt(43)
	ds_write_b32 v83, v27 offset:1120
	s_waitcnt vmcnt(42)
	ds_write_b32 v83, v30 offset:1384
	s_waitcnt vmcnt(41)
	ds_write_b32 v83, v31 offset:1648
	s_waitcnt vmcnt(40)
	ds_write_b32 v83, v32 offset:1912
	s_waitcnt vmcnt(39)
	ds_write_b32 v83, v35 offset:2176
	s_waitcnt vmcnt(38)
	ds_write_b32 v83, v36 offset:2440
	s_waitcnt vmcnt(37)
	ds_write_b32 v83, v37 offset:2704
	s_waitcnt vmcnt(36)
	ds_write_b32 v83, v38 offset:2968
	s_waitcnt vmcnt(35)
	ds_write_b32 v83, v39 offset:3232
	s_waitcnt vmcnt(34)
	ds_write_b32 v83, v40 offset:3496
	s_waitcnt vmcnt(33)
	ds_write_b32 v83, v41 offset:3760
	s_waitcnt vmcnt(32)
	ds_write_b32 v83, v42 offset:4024
	ds_read_b64 v[42:43], v84 offset:64
	ds_read_b64 v[40:41], v84 offset:96
	ds_read_b64 v[36:37], v84 offset:128
	ds_read_b64 v[34:35], v84 offset:160
	ds_read_b64 v[32:33], v84 offset:192
	ds_read_b64 v[30:31], v84 offset:224
	ds_read_b64 v[26:27], v84 offset:256
	ds_read_b64 v[24:25], v84 offset:288
	s_waitcnt vmcnt(31)
	ds_write_b32 v83, v44 offset:64
	s_waitcnt vmcnt(30)
	ds_write_b32 v83, v45 offset:328
	s_waitcnt vmcnt(29)
	ds_write_b32 v83, v46 offset:592
	s_waitcnt vmcnt(28)
	ds_write_b32 v83, v47 offset:856
	s_waitcnt vmcnt(27)
	ds_write_b32 v83, v48 offset:1120
	s_waitcnt vmcnt(26)
	ds_write_b32 v83, v49 offset:1384
	s_waitcnt vmcnt(25)
	ds_write_b32 v83, v50 offset:1648
	s_waitcnt vmcnt(24)
	ds_write_b32 v83, v51 offset:1912
	s_waitcnt vmcnt(23)
	ds_write_b32 v83, v52 offset:2176
	s_waitcnt vmcnt(22)
	ds_write_b32 v83, v53 offset:2440
	s_waitcnt vmcnt(21)
	ds_write_b32 v83, v54 offset:2704
	s_waitcnt vmcnt(20)
	ds_write_b32 v83, v55 offset:2968
	s_waitcnt vmcnt(19)
	ds_write_b32 v83, v56 offset:3232
	s_waitcnt vmcnt(18)
	ds_write_b32 v83, v57 offset:3496
	s_waitcnt vmcnt(17)
	ds_write_b32 v83, v58 offset:3760
	s_waitcnt vmcnt(16)
	ds_write_b32 v83, v59 offset:4024
	;; [unrolled: 40-line block ×3, first 2 shown]
	ds_read_b64 v[72:73], v84 offset:64
	ds_read_b64 v[70:71], v84 offset:96
	;; [unrolled: 1-line block ×8, first 2 shown]
	v_mov_b32_e32 v74, 0
	s_cbranch_vccnz .LBB127_38
; %bb.35:                               ;   in Loop: Header=BB127_34 Depth=1
	ds_read_b32 v0, v82
	s_waitcnt lgkmcnt(0)
	v_cmp_gt_i32_e32 vcc, 0, v0
	s_cbranch_vccnz .LBB127_37
; %bb.36:                               ;   in Loop: Header=BB127_34 Depth=1
	v_mul_lo_u32 v0, v0, s25
	v_add_u32_e32 v76, v85, v0
	v_ashrrev_i32_e32 v77, 31, v76
	v_lshl_add_u64 v[76:77], v[76:77], 2, v[6:7]
	global_load_dwordx2 v[76:77], v[76:77], off
	s_branch .LBB127_38
.LBB127_37:                             ;   in Loop: Header=BB127_34 Depth=1
	v_mov_b32_e32 v76, 0
	v_mov_b32_e32 v77, 0
.LBB127_38:                             ;   in Loop: Header=BB127_34 Depth=1
	s_waitcnt vmcnt(0)
	v_cvt_pk_bf16_f32 v0, v76, v77
	s_andn2_b64 vcc, exec, s[6:7]
	v_mov_b32_e32 v76, 0
	v_mov_b32_e32 v77, 0
	ds_write_b32 v83, v0 offset:64
	s_cbranch_vccnz .LBB127_42
; %bb.39:                               ;   in Loop: Header=BB127_34 Depth=1
	ds_read_b32 v0, v82 offset:4
	s_waitcnt lgkmcnt(0)
	v_cmp_gt_i32_e32 vcc, 0, v0
	s_cbranch_vccnz .LBB127_41
; %bb.40:                               ;   in Loop: Header=BB127_34 Depth=1
	v_mul_lo_u32 v0, v0, s25
	v_add_u32_e32 v0, s20, v0
	v_add_u32_e32 v76, v0, v85
	v_ashrrev_i32_e32 v77, 31, v76
	v_lshl_add_u64 v[76:77], v[76:77], 2, v[6:7]
	global_load_dwordx2 v[76:77], v[76:77], off
	s_branch .LBB127_42
.LBB127_41:                             ;   in Loop: Header=BB127_34 Depth=1
	v_mov_b32_e32 v76, 0
	v_mov_b32_e32 v77, 0
.LBB127_42:                             ;   in Loop: Header=BB127_34 Depth=1
	s_waitcnt vmcnt(0)
	v_cvt_pk_bf16_f32 v0, v76, v77
	s_andn2_b64 vcc, exec, s[8:9]
	v_mov_b32_e32 v75, 0
	ds_write_b32 v83, v0 offset:328
	s_cbranch_vccnz .LBB127_33
; %bb.43:                               ;   in Loop: Header=BB127_34 Depth=1
	ds_read_b32 v0, v82 offset:8
	s_waitcnt lgkmcnt(0)
	v_cmp_gt_i32_e32 vcc, 0, v0
	s_cbranch_vccz .LBB127_32
; %bb.44:                               ;   in Loop: Header=BB127_34 Depth=1
	v_mov_b32_e32 v74, 0
	v_mov_b32_e32 v75, 0
	s_branch .LBB127_33
.LBB127_45:
	s_or_b64 exec, exec, s[18:19]
.LBB127_46:
	s_or_b64 exec, exec, s[22:23]
	v_mov_b32_e32 v1, 0x100
	v_lshl_add_u32 v0, v79, 2, v1
	v_mul_u32_u24_e32 v4, 0x208, v80
	v_and_b32_e32 v5, 0x3f0, v2
	v_add3_u32 v4, v0, v4, v5
	v_accvgpr_read_b32 v5, a13
	v_accvgpr_read_b32 v6, a12
	s_waitcnt lgkmcnt(0)
	s_barrier
	ds_write2_b32 v4, v6, v5 offset0:16 offset1:17
	v_accvgpr_read_b32 v5, a15
	v_accvgpr_read_b32 v6, a14
	ds_write2_b32 v4, v6, v5 offset0:18 offset1:19
	v_accvgpr_read_b32 v5, a9
	v_accvgpr_read_b32 v6, a8
	ds_write2_b32 v4, v6, v5 offset0:32 offset1:33
	v_accvgpr_read_b32 v5, a11
	v_accvgpr_read_b32 v6, a10
	ds_write2_b32 v4, v6, v5 offset0:34 offset1:35
	v_accvgpr_read_b32 v5, a5
	v_accvgpr_read_b32 v6, a4
	ds_write2_b32 v4, v6, v5 offset0:48 offset1:49
	v_accvgpr_read_b32 v5, a7
	v_accvgpr_read_b32 v6, a6
	ds_write2_b32 v4, v6, v5 offset0:50 offset1:51
	v_accvgpr_read_b32 v5, a1
	v_accvgpr_read_b32 v6, a0
	ds_write2_b32 v4, v6, v5 offset0:64 offset1:65
	v_accvgpr_read_b32 v5, a3
	v_accvgpr_read_b32 v6, a2
	s_movk_i32 s0, 0x208
	ds_write2_b32 v4, v6, v5 offset0:66 offset1:67
	v_lshl_add_u32 v6, v2, 2, v1
	v_mad_u32_u24 v1, v3, s0, v6
	s_waitcnt lgkmcnt(0)
	s_barrier
	ds_read2_b32 v[4:5], v1 offset0:16 offset1:80
	v_cmp_gt_u32_e32 vcc, 3, v3
	v_mov_b32_e32 v7, -1
	s_and_saveexec_b64 s[0:1], vcc
; %bb.47:
	s_movk_i32 s2, 0xff04
	v_mad_i32_i24 v0, v3, s2, v0
	ds_read_b32 v7, v0
; %bb.48:
	s_or_b64 exec, exec, s[0:1]
	s_mul_hi_i32 s1, s30, s4
	s_mul_i32 s0, s30, s4
	s_lshl_b64 s[0:1], s[0:1], 2
	v_mul_hi_i32 v1, v78, s21
	v_mul_lo_u32 v0, v78, s21
	s_add_u32 s0, s14, s0
	s_addc_u32 s1, s15, s1
	v_lshlrev_b64 v[0:1], 2, v[0:1]
	s_waitcnt lgkmcnt(0)
	v_cmp_lt_i32_e32 vcc, -1, v7
	v_add_u32_e32 v2, s5, v2
	v_lshl_add_u64 v[0:1], s[0:1], 0, v[0:1]
	s_and_b64 s[2:3], vcc, s[10:11]
	s_and_saveexec_b64 s[0:1], s[2:3]
	s_cbranch_execz .LBB127_50
; %bb.49:
	v_add_f32_e32 v4, 0, v4
	v_add_f32_e32 v8, v4, v5
	v_mul_lo_u32 v4, v7, s26
	v_mul_lo_u32 v5, v3, s21
	v_add3_u32 v4, v2, v5, v4
	v_mov_b32_e32 v5, 0
	v_lshl_add_u64 v[4:5], v[4:5], 2, v[0:1]
	global_store_dword v[4:5], v8, off
.LBB127_50:
	s_or_b64 exec, exec, s[0:1]
	v_cmp_eq_u32_e32 vcc, 0, v3
	s_and_saveexec_b64 s[0:1], vcc
	s_cbranch_execz .LBB127_53
; %bb.51:
	v_mov_b32_e32 v3, 0x100
	ds_read_b32 v3, v3 offset:8
	s_waitcnt lgkmcnt(0)
	v_readfirstlane_b32 s0, v3
	s_cmp_gt_i32 s0, -1
	s_cselect_b64 s[0:1], -1, 0
	s_and_b64 s[0:1], s[0:1], s[12:13]
	s_and_b64 exec, exec, s[0:1]
	s_cbranch_execz .LBB127_53
; %bb.52:
	v_add_u32_e32 v4, 0x50, v6
	ds_read2st64_b32 v[4:5], v4 offset0:4 offset1:5
	v_mul_lo_u32 v3, v3, s26
	s_lshl_b32 s0, s21, 1
	v_add_u32_e32 v3, s0, v3
	v_add_u32_e32 v2, v3, v2
	s_waitcnt lgkmcnt(0)
	v_add_f32_e32 v3, 0, v4
	v_add_f32_e32 v4, v3, v5
	v_mov_b32_e32 v3, 0
	v_lshl_add_u64 v[0:1], v[2:3], 2, v[0:1]
	global_store_dword v[0:1], v4, off
.LBB127_53:
	s_endpgm
	.section	.rodata,"a",@progbits
	.p2align	6, 0x0
	.amdhsa_kernel _ZL9mul_mat_fI15__hip_bfloat162Li64ELi3ELi2ELb1EEvPKT_PKfPKiPfiiiiiiiiiiiiiiii
		.amdhsa_group_segment_fixed_size 256
		.amdhsa_private_segment_fixed_size 0
		.amdhsa_kernarg_size 352
		.amdhsa_user_sgpr_count 2
		.amdhsa_user_sgpr_dispatch_ptr 0
		.amdhsa_user_sgpr_queue_ptr 0
		.amdhsa_user_sgpr_kernarg_segment_ptr 1
		.amdhsa_user_sgpr_dispatch_id 0
		.amdhsa_user_sgpr_kernarg_preload_length 0
		.amdhsa_user_sgpr_kernarg_preload_offset 0
		.amdhsa_user_sgpr_private_segment_size 0
		.amdhsa_uses_dynamic_stack 0
		.amdhsa_enable_private_segment 0
		.amdhsa_system_sgpr_workgroup_id_x 1
		.amdhsa_system_sgpr_workgroup_id_y 1
		.amdhsa_system_sgpr_workgroup_id_z 1
		.amdhsa_system_sgpr_workgroup_info 0
		.amdhsa_system_vgpr_workitem_id 2
		.amdhsa_next_free_vgpr 104
		.amdhsa_next_free_sgpr 93
		.amdhsa_accum_offset 88
		.amdhsa_reserve_vcc 1
		.amdhsa_float_round_mode_32 0
		.amdhsa_float_round_mode_16_64 0
		.amdhsa_float_denorm_mode_32 3
		.amdhsa_float_denorm_mode_16_64 3
		.amdhsa_dx10_clamp 1
		.amdhsa_ieee_mode 1
		.amdhsa_fp16_overflow 0
		.amdhsa_tg_split 0
		.amdhsa_exception_fp_ieee_invalid_op 0
		.amdhsa_exception_fp_denorm_src 0
		.amdhsa_exception_fp_ieee_div_zero 0
		.amdhsa_exception_fp_ieee_overflow 0
		.amdhsa_exception_fp_ieee_underflow 0
		.amdhsa_exception_fp_ieee_inexact 0
		.amdhsa_exception_int_div_zero 0
	.end_amdhsa_kernel
	.section	.text._ZL9mul_mat_fI15__hip_bfloat162Li64ELi3ELi2ELb1EEvPKT_PKfPKiPfiiiiiiiiiiiiiiii,"axG",@progbits,_ZL9mul_mat_fI15__hip_bfloat162Li64ELi3ELi2ELb1EEvPKT_PKfPKiPfiiiiiiiiiiiiiiii,comdat
.Lfunc_end127:
	.size	_ZL9mul_mat_fI15__hip_bfloat162Li64ELi3ELi2ELb1EEvPKT_PKfPKiPfiiiiiiiiiiiiiiii, .Lfunc_end127-_ZL9mul_mat_fI15__hip_bfloat162Li64ELi3ELi2ELb1EEvPKT_PKfPKiPfiiiiiiiiiiiiiiii
                                        ; -- End function
	.set _ZL9mul_mat_fI15__hip_bfloat162Li64ELi3ELi2ELb1EEvPKT_PKfPKiPfiiiiiiiiiiiiiiii.num_vgpr, 86
	.set _ZL9mul_mat_fI15__hip_bfloat162Li64ELi3ELi2ELb1EEvPKT_PKfPKiPfiiiiiiiiiiiiiiii.num_agpr, 16
	.set _ZL9mul_mat_fI15__hip_bfloat162Li64ELi3ELi2ELb1EEvPKT_PKfPKiPfiiiiiiiiiiiiiiii.numbered_sgpr, 93
	.set _ZL9mul_mat_fI15__hip_bfloat162Li64ELi3ELi2ELb1EEvPKT_PKfPKiPfiiiiiiiiiiiiiiii.num_named_barrier, 0
	.set _ZL9mul_mat_fI15__hip_bfloat162Li64ELi3ELi2ELb1EEvPKT_PKfPKiPfiiiiiiiiiiiiiiii.private_seg_size, 0
	.set _ZL9mul_mat_fI15__hip_bfloat162Li64ELi3ELi2ELb1EEvPKT_PKfPKiPfiiiiiiiiiiiiiiii.uses_vcc, 1
	.set _ZL9mul_mat_fI15__hip_bfloat162Li64ELi3ELi2ELb1EEvPKT_PKfPKiPfiiiiiiiiiiiiiiii.uses_flat_scratch, 0
	.set _ZL9mul_mat_fI15__hip_bfloat162Li64ELi3ELi2ELb1EEvPKT_PKfPKiPfiiiiiiiiiiiiiiii.has_dyn_sized_stack, 0
	.set _ZL9mul_mat_fI15__hip_bfloat162Li64ELi3ELi2ELb1EEvPKT_PKfPKiPfiiiiiiiiiiiiiiii.has_recursion, 0
	.set _ZL9mul_mat_fI15__hip_bfloat162Li64ELi3ELi2ELb1EEvPKT_PKfPKiPfiiiiiiiiiiiiiiii.has_indirect_call, 0
	.section	.AMDGPU.csdata,"",@progbits
; Kernel info:
; codeLenInByte = 6104
; TotalNumSgprs: 99
; NumVgprs: 86
; NumAgprs: 16
; TotalNumVgprs: 104
; ScratchSize: 0
; MemoryBound: 0
; FloatMode: 240
; IeeeMode: 1
; LDSByteSize: 256 bytes/workgroup (compile time only)
; SGPRBlocks: 12
; VGPRBlocks: 12
; NumSGPRsForWavesPerEU: 99
; NumVGPRsForWavesPerEU: 104
; AccumOffset: 88
; Occupancy: 4
; WaveLimiterHint : 0
; COMPUTE_PGM_RSRC2:SCRATCH_EN: 0
; COMPUTE_PGM_RSRC2:USER_SGPR: 2
; COMPUTE_PGM_RSRC2:TRAP_HANDLER: 0
; COMPUTE_PGM_RSRC2:TGID_X_EN: 1
; COMPUTE_PGM_RSRC2:TGID_Y_EN: 1
; COMPUTE_PGM_RSRC2:TGID_Z_EN: 1
; COMPUTE_PGM_RSRC2:TIDIG_COMP_CNT: 2
; COMPUTE_PGM_RSRC3_GFX90A:ACCUM_OFFSET: 21
; COMPUTE_PGM_RSRC3_GFX90A:TG_SPLIT: 0
	.section	.text._ZL9mul_mat_fI15__hip_bfloat162Li64ELi3ELi2ELb0EEvPKT_PKfPKiPfiiiiiiiiiiiiiiii,"axG",@progbits,_ZL9mul_mat_fI15__hip_bfloat162Li64ELi3ELi2ELb0EEvPKT_PKfPKiPfiiiiiiiiiiiiiiii,comdat
	.globl	_ZL9mul_mat_fI15__hip_bfloat162Li64ELi3ELi2ELb0EEvPKT_PKfPKiPfiiiiiiiiiiiiiiii ; -- Begin function _ZL9mul_mat_fI15__hip_bfloat162Li64ELi3ELi2ELb0EEvPKT_PKfPKiPfiiiiiiiiiiiiiiii
	.p2align	8
	.type	_ZL9mul_mat_fI15__hip_bfloat162Li64ELi3ELi2ELb0EEvPKT_PKfPKiPfiiiiiiiiiiiiiiii,@function
_ZL9mul_mat_fI15__hip_bfloat162Li64ELi3ELi2ELb0EEvPKT_PKfPKiPfiiiiiiiiiiiiiiii: ; @_ZL9mul_mat_fI15__hip_bfloat162Li64ELi3ELi2ELb0EEvPKT_PKfPKiPfiiiiiiiiiiiiiiii
; %bb.0:
	s_load_dword s5, s[0:1], 0x20
	s_load_dwordx4 s[16:19], s[0:1], 0x2c
	v_bfe_u32 v82, v0, 10, 10
	v_lshlrev_b32_e32 v84, 6, v82
	v_and_b32_e32 v83, 0x3ff, v0
	v_add_u32_e32 v86, v84, v83
	s_waitcnt lgkmcnt(0)
	s_ashr_i32 s19, s4, 31
	v_cmp_le_i32_e32 vcc, s5, v86
	v_and_b32_e32 v85, 15, v83
	s_and_saveexec_b64 s[6:7], vcc
	s_xor_b64 s[6:7], exec, s[6:7]
; %bb.1:
	v_and_b32_e32 v85, 15, v83
                                        ; implicit-def: $vgpr86
; %bb.2:
	s_or_saveexec_b64 s[24:25], s[6:7]
	s_load_dwordx8 s[8:15], s[0:1], 0x40
	s_load_dwordx2 s[6:7], s[0:1], 0x18
	s_lshl_b32 s2, s2, 6
	v_mov_b32_e32 v1, 0
	v_accvgpr_write_b32 a0, 0
	v_accvgpr_write_b32 a1, 0
	;; [unrolled: 1-line block ×16, first 2 shown]
	s_xor_b64 exec, exec, s[24:25]
	s_cbranch_execz .LBB128_6
; %bb.3:
	s_waitcnt lgkmcnt(0)
	s_abs_i32 s26, s8
	v_cvt_f32_u32_e32 v0, s26
	s_abs_i32 s27, s12
	v_cvt_f32_u32_e32 v2, s27
	s_sub_i32 s20, 0, s26
	v_rcp_iflag_f32_e32 v0, v0
	s_abs_i32 s28, s3
	v_rcp_iflag_f32_e32 v2, v2
	s_sub_i32 s21, 0, s27
	v_mul_f32_e32 v0, 0x4f7ffffe, v0
	v_cvt_u32_f32_e32 v0, v0
	v_mul_f32_e32 v2, 0x4f7ffffe, v2
	v_cvt_u32_f32_e32 v2, v2
	s_abs_i32 s29, s4
	v_mul_lo_u32 v3, s20, v0
	v_mul_hi_u32 v3, v0, v3
	v_add_u32_e32 v0, v0, v3
	v_mul_hi_u32 v0, s28, v0
	v_mul_lo_u32 v4, s21, v2
	v_mul_lo_u32 v3, v0, s26
	v_mul_hi_u32 v4, v2, v4
	v_sub_u32_e32 v3, s28, v3
	v_add_u32_e32 v2, v2, v4
	v_subrev_u32_e32 v5, s26, v3
	v_cmp_le_u32_e32 vcc, s26, v3
	v_mul_hi_u32 v2, s29, v2
	v_add_u32_e32 v4, 1, v0
	v_cndmask_b32_e32 v3, v3, v5, vcc
	v_cndmask_b32_e32 v0, v0, v4, vcc
	v_cmp_le_u32_e32 vcc, s26, v3
	v_mul_lo_u32 v3, v2, s27
	s_load_dwordx4 s[20:23], s[0:1], 0x0
	s_ashr_i32 s0, s3, 31
	s_ashr_i32 s1, s8, 31
	v_add_u32_e32 v4, 1, v0
	v_sub_u32_e32 v3, s29, v3
	s_xor_b32 s0, s0, s1
	v_cndmask_b32_e32 v0, v0, v4, vcc
	v_add_u32_e32 v4, 1, v2
	v_subrev_u32_e32 v5, s27, v3
	v_cmp_le_u32_e32 vcc, s27, v3
	v_xor_b32_e32 v0, s0, v0
	s_ashr_i32 s8, s12, 31
	v_cndmask_b32_e32 v2, v2, v4, vcc
	v_cndmask_b32_e32 v3, v3, v5, vcc
	v_subrev_u32_e32 v0, s0, v0
	v_add_u32_e32 v4, 1, v2
	v_cmp_le_u32_e32 vcc, s27, v3
	s_xor_b32 s0, s19, s8
	s_mul_i32 s8, s14, s4
	v_cndmask_b32_e32 v2, v2, v4, vcc
	v_mul_lo_u32 v4, v0, s9
	s_mul_hi_i32 s9, s14, s4
	v_xor_b32_e32 v2, s0, v2
	s_lshl_b64 s[26:27], s[8:9], 2
	v_subrev_u32_e32 v2, s0, v2
	s_mul_i32 s0, s16, s2
	s_mul_i32 s28, s10, s3
	s_waitcnt lgkmcnt(0)
	s_add_u32 s8, s22, s26
	v_mul_hi_i32 v3, v2, s13
	v_mul_lo_u32 v2, v2, s13
	s_addc_u32 s9, s23, s27
	s_ashr_i32 s1, s0, 31
	s_ashr_i32 s29, s28, 31
	v_ashrrev_i32_e32 v5, 31, v4
	v_lshlrev_b64 v[6:7], 2, v[2:3]
	s_lshl_b64 s[12:13], s[0:1], 2
	s_lshl_b64 s[28:29], s[28:29], 2
	v_lshl_add_u64 v[2:3], s[20:21], 0, v[6:7]
	v_lshlrev_b64 v[4:5], 2, v[4:5]
	s_add_u32 s0, s8, s28
	s_movk_i32 s8, 0x1080
	v_lshrrev_b32_e32 v10, 1, v83
	v_lshl_add_u64 v[2:3], v[2:3], 0, v[4:5]
	v_mad_u32_u24 v0, v82, s8, 0
	v_lshlrev_b32_e32 v8, 2, v83
	v_mul_u32_u24_e32 v9, 0x108, v85
	v_and_b32_e32 v10, 0x1f8, v10
	v_lshl_add_u64 v[4:5], v[4:5], 0, s[12:13]
	s_addc_u32 s1, s9, s29
	v_add_u32_e32 v87, v0, v8
	v_add3_u32 v88, v0, v9, v10
	s_ashr_i32 s9, s16, 31
	s_mov_b32 s8, s16
	s_ashr_i32 s75, s17, 31
	s_mov_b32 s74, s17
	v_lshlrev_b32_e32 v0, 8, v82
	v_lshl_add_u64 v[4:5], v[4:5], 0, v[6:7]
	v_lshl_add_u64 v[2:3], v[2:3], 0, s[12:13]
	s_add_i32 s10, s16, s16
	s_add_i32 s14, s17, s17
	s_lshl_b32 s30, s16, 2
	s_lshl_b32 s35, s16, 3
	;; [unrolled: 1-line block ×4, first 2 shown]
	s_lshl_b64 s[8:9], s[8:9], 2
	s_lshl_b64 s[12:13], s[74:75], 3
	v_lshl_add_u64 v[4:5], v[4:5], 0, v[0:1]
	v_lshlrev_b32_e32 v0, 9, v82
	s_add_u32 s22, s22, s28
	v_mov_b32_e32 v9, v1
	v_lshl_add_u64 v[6:7], s[26:27], 0, v[0:1]
	v_lshlrev_b32_e32 v0, 3, v83
	s_addc_u32 s23, s23, s29
	v_lshl_add_u64 v[4:5], v[4:5], 0, v[8:9]
	v_lshl_add_u64 v[6:7], v[6:7], 0, v[0:1]
	s_mul_i32 s19, s16, 3
	s_mul_i32 s31, s16, 5
	;; [unrolled: 1-line block ×41, first 2 shown]
	v_lshl_add_u64 v[4:5], s[20:21], 0, v[4:5]
	s_mul_i32 s73, s16, 48
	s_mul_i32 s74, s16, 49
	;; [unrolled: 1-line block ×6, first 2 shown]
	v_lshl_add_u64 v[6:7], s[22:23], 0, v[6:7]
	s_mul_i32 s77, s16, 54
	s_mul_i32 s78, s16, 55
	v_accvgpr_write_b32 a15, 0
	v_accvgpr_write_b32 a14, 0
	;; [unrolled: 1-line block ×16, first 2 shown]
	s_mul_i32 s79, s16, 56
	s_mul_i32 s80, s16, 57
	;; [unrolled: 1-line block ×8, first 2 shown]
	s_mov_b64 s[16:17], 0
	s_mov_b64 s[20:21], 0x200
	;; [unrolled: 1-line block ×3, first 2 shown]
.LBB128_4:                              ; =>This Inner Loop Header: Depth=1
	v_add_u32_e32 v80, s10, v86
	v_add_u32_e32 v64, s19, v86
	;; [unrolled: 1-line block ×3, first 2 shown]
	v_lshl_add_u64 v[60:61], v[4:5], 0, s[8:9]
	v_add_u32_e32 v74, s31, v86
	v_add_u32_e32 v76, s33, v86
	v_ashrrev_i32_e32 v81, 31, v80
	v_ashrrev_i32_e32 v65, 31, v64
	;; [unrolled: 1-line block ×3, first 2 shown]
	v_add_u32_e32 v70, s34, v86
	v_add_u32_e32 v72, s35, v86
	global_load_dword v0, v[60:61], off
	v_lshl_add_u64 v[60:61], v[80:81], 2, v[2:3]
	v_lshl_add_u64 v[64:65], v[64:65], 2, v[2:3]
	;; [unrolled: 1-line block ×3, first 2 shown]
	v_ashrrev_i32_e32 v75, 31, v74
	v_ashrrev_i32_e32 v77, 31, v76
	v_add_u32_e32 v66, s36, v86
	v_add_u32_e32 v68, s37, v86
	global_load_dword v80, v[60:61], off
	global_load_dword v78, v[64:65], off
	global_load_dword v79, v[90:91], off
	v_lshl_add_u64 v[74:75], v[74:75], 2, v[2:3]
	v_lshl_add_u64 v[90:91], v[76:77], 2, v[2:3]
	v_ashrrev_i32_e32 v71, 31, v70
	v_ashrrev_i32_e32 v73, 31, v72
	v_add_u32_e32 v58, s38, v86
	v_add_u32_e32 v62, s39, v86
	global_load_dword v76, v[74:75], off
	global_load_dword v77, v[90:91], off
	v_lshl_add_u64 v[70:71], v[70:71], 2, v[2:3]
	v_lshl_add_u64 v[90:91], v[72:73], 2, v[2:3]
	v_ashrrev_i32_e32 v67, 31, v66
	v_ashrrev_i32_e32 v69, 31, v68
	v_add_u32_e32 v52, s40, v86
	v_add_u32_e32 v56, s41, v86
	global_load_dword v72, v[70:71], off
	global_load_dword v73, v[90:91], off
	;; [unrolled: 8-line block ×3, first 2 shown]
	v_lshl_add_u64 v[58:59], v[58:59], 2, v[2:3]
	v_lshl_add_u64 v[90:91], v[62:63], 2, v[2:3]
	v_ashrrev_i32_e32 v53, 31, v52
	v_ashrrev_i32_e32 v57, 31, v56
	v_add_u32_e32 v38, s44, v86
	v_add_u32_e32 v44, s45, v86
	v_add_u32_e32 v30, s46, v86
	v_add_u32_e32 v22, s48, v86
	v_add_u32_e32 v26, s49, v86
	v_add_u32_e32 v10, s50, v86
	global_load_dword v62, v[58:59], off
	global_load_dword v63, v[90:91], off
	v_lshl_add_u64 v[52:53], v[52:53], 2, v[2:3]
	v_lshl_add_u64 v[90:91], v[56:57], 2, v[2:3]
	v_ashrrev_i32_e32 v43, 31, v42
	v_ashrrev_i32_e32 v55, 31, v54
	v_add_u32_e32 v34, s47, v86
	v_add_u32_e32 v14, s51, v86
	v_add_u32_e32 v8, s52, v86
	v_add_u32_e32 v16, s53, v86
	global_load_dword v56, v[52:53], off
	global_load_dword v57, v[90:91], off
	v_lshl_add_u64 v[42:43], v[42:43], 2, v[2:3]
	v_lshl_add_u64 v[90:91], v[54:55], 2, v[2:3]
	v_ashrrev_i32_e32 v39, 31, v38
	v_ashrrev_i32_e32 v45, 31, v44
	;; [unrolled: 1-line block ×6, first 2 shown]
	v_add_u32_e32 v12, s54, v86
	v_add_u32_e32 v20, s55, v86
	global_load_dword v55, v[42:43], off
	global_load_dword v54, v[90:91], off
	v_lshl_add_u64 v[38:39], v[38:39], 2, v[2:3]
	v_lshl_add_u64 v[90:91], v[44:45], 2, v[2:3]
	v_ashrrev_i32_e32 v35, 31, v34
	v_lshl_add_u64 v[30:31], v[30:31], 2, v[2:3]
	v_lshl_add_u64 v[22:23], v[22:23], 2, v[2:3]
	;; [unrolled: 1-line block ×3, first 2 shown]
	v_ashrrev_i32_e32 v15, 31, v14
	v_lshl_add_u64 v[10:11], v[10:11], 2, v[2:3]
	v_ashrrev_i32_e32 v9, 31, v8
	v_ashrrev_i32_e32 v17, 31, v16
	v_add_u32_e32 v18, s56, v86
	v_add_u32_e32 v28, s57, v86
	global_load_dword v44, v[38:39], off
	global_load_dword v45, v[90:91], off
	v_lshl_add_u64 v[90:91], v[34:35], 2, v[2:3]
	global_load_dword v34, v[30:31], off
	global_load_dword v35, v[90:91], off
	s_nop 0
	global_load_dword v22, v[22:23], off
	s_nop 0
	global_load_dword v23, v[26:27], off
	v_lshl_add_u64 v[14:15], v[14:15], 2, v[2:3]
	global_load_dword v26, v[10:11], off
	global_load_dword v27, v[14:15], off
	v_lshl_add_u64 v[8:9], v[8:9], 2, v[2:3]
	v_lshl_add_u64 v[10:11], v[16:17], 2, v[2:3]
	v_ashrrev_i32_e32 v13, 31, v12
	v_ashrrev_i32_e32 v21, 31, v20
	v_add_u32_e32 v24, s58, v86
	v_add_u32_e32 v36, s59, v86
	global_load_dword v81, v[8:9], off
	global_load_dword v89, v[10:11], off
	v_lshl_add_u64 v[8:9], v[12:13], 2, v[2:3]
	v_lshl_add_u64 v[10:11], v[20:21], 2, v[2:3]
	v_ashrrev_i32_e32 v19, 31, v18
	v_ashrrev_i32_e32 v29, 31, v28
	v_add_u32_e32 v32, s60, v86
	v_add_u32_e32 v46, s61, v86
	;; [unrolled: 8-line block ×10, first 2 shown]
	global_load_dword v48, v[8:9], off
	global_load_dword v49, v[10:11], off
	v_lshl_add_u64 v[8:9], v[42:43], 2, v[2:3]
	v_lshl_add_u64 v[10:11], v[38:39], 2, v[2:3]
	v_ashrrev_i32_e32 v31, 31, v30
	v_ashrrev_i32_e32 v91, 31, v90
	v_add_u32_e32 v92, s76, v86
	global_load_dword v38, v[8:9], off
	global_load_dword v39, v[10:11], off
	v_lshl_add_u64 v[10:11], v[30:31], 2, v[2:3]
	v_lshl_add_u64 v[12:13], v[90:91], 2, v[2:3]
	v_ashrrev_i32_e32 v15, 31, v14
	v_ashrrev_i32_e32 v17, 31, v16
	v_add_u32_e32 v94, s26, v86
	v_add_u32_e32 v96, s27, v86
	global_load_dword v31, v[10:11], off
	global_load_dword v30, v[12:13], off
	v_lshl_add_u64 v[12:13], v[14:15], 2, v[2:3]
	v_lshl_add_u64 v[14:15], v[16:17], 2, v[2:3]
	v_ashrrev_i32_e32 v93, 31, v92
	v_add_u32_e32 v98, s77, v86
	v_add_u32_e32 v50, s78, v86
	global_load_dword v58, v[12:13], off
	global_load_dword v59, v[14:15], off
	v_ashrrev_i32_e32 v95, 31, v94
	v_lshl_add_u64 v[14:15], v[92:93], 2, v[2:3]
	v_ashrrev_i32_e32 v97, 31, v96
	v_add_u32_e32 v60, s79, v86
	v_add_u32_e32 v64, s80, v86
	v_lshl_add_u64 v[16:17], v[94:95], 2, v[2:3]
	global_load_dword v70, v[14:15], off
	global_load_dword v71, v[16:17], off
	v_lshl_add_u64 v[14:15], v[96:97], 2, v[2:3]
	v_ashrrev_i32_e32 v99, 31, v98
	v_ashrrev_i32_e32 v51, 31, v50
	v_add_u32_e32 v66, s81, v86
	global_load_dword v74, v[14:15], off
	global_load_dword v75, v[4:5], off
	v_lshl_add_u64 v[14:15], v[98:99], 2, v[2:3]
	v_lshl_add_u64 v[42:43], v[50:51], 2, v[2:3]
	v_ashrrev_i32_e32 v61, 31, v60
	v_ashrrev_i32_e32 v65, 31, v64
	v_add_u32_e32 v52, s82, v86
	global_load_dword v90, v[14:15], off
	global_load_dword v91, v[42:43], off
	s_nop 0
	global_load_dwordx2 v[14:15], v[6:7], off
	v_lshl_add_u64 v[42:43], v[60:61], 2, v[2:3]
	v_lshl_add_u64 v[50:51], v[64:65], 2, v[2:3]
	v_ashrrev_i32_e32 v67, 31, v66
	global_load_dword v60, v[42:43], off
	global_load_dword v61, v[50:51], off
	v_ashrrev_i32_e32 v53, 31, v52
	v_lshl_add_u64 v[50:51], v[66:67], 2, v[2:3]
	v_lshl_add_u64 v[42:43], v[6:7], 0, s[12:13]
	;; [unrolled: 1-line block ×3, first 2 shown]
	global_load_dword v64, v[50:51], off
	global_load_dword v65, v[52:53], off
	v_add_u32_e32 v50, s14, v86
	v_add_u32_e32 v8, s83, v86
	;; [unrolled: 1-line block ×5, first 2 shown]
	global_load_dwordx2 v[42:43], v[42:43], off
	v_ashrrev_i32_e32 v51, 31, v50
	v_ashrrev_i32_e32 v9, 31, v8
	;; [unrolled: 1-line block ×5, first 2 shown]
	v_lshl_add_u64 v[50:51], v[50:51], 3, s[0:1]
	v_lshl_add_u64 v[8:9], v[8:9], 2, v[2:3]
	;; [unrolled: 1-line block ×5, first 2 shown]
	global_load_dwordx2 v[50:51], v[50:51], off
	s_nop 0
	global_load_dword v66, v[8:9], off
	global_load_dword v67, v[10:11], off
	global_load_dword v92, v[12:13], off
	global_load_dword v93, v[16:17], off
	s_waitcnt vmcnt(62)
	ds_write_b32 v87, v0 offset:264
	v_accvgpr_read_b32 v95, a9
	v_accvgpr_read_b32 v94, a8
	v_accvgpr_read_b32 v101, a7
	v_accvgpr_read_b32 v100, a6
	v_accvgpr_mov_b32 a6, a12
	v_accvgpr_read_b32 v98, a4
	v_accvgpr_read_b32 v97, a11
	;; [unrolled: 1-line block ×3, first 2 shown]
	v_accvgpr_mov_b32 a7, a13
	v_accvgpr_mov_b32 a8, a14
	;; [unrolled: 1-line block ×3, first 2 shown]
	v_accvgpr_read_b32 v99, a5
	v_accvgpr_write_b32 a10, v94
	v_accvgpr_mov_b32 a17, a3
	v_accvgpr_mov_b32 a16, a2
	v_accvgpr_write_b32 a2, v98
	v_accvgpr_write_b32 a11, v95
	;; [unrolled: 1-line block ×7, first 2 shown]
	v_accvgpr_mov_b32 a15, a1
	v_accvgpr_mov_b32 a14, a0
	v_add_u32_e32 v86, 0x80, v86
	v_cmp_le_i32_e32 vcc, s5, v86
	v_lshl_add_u64 v[4:5], v[4:5], 0, s[20:21]
	s_or_b64 s[16:17], vcc, s[16:17]
	v_lshl_add_u64 v[6:7], v[6:7], 0, s[22:23]
	s_waitcnt vmcnt(13)
	ds_write_b32 v87, v75
	ds_write_b32 v87, v80 offset:528
	ds_write_b32 v87, v78 offset:792
	;; [unrolled: 1-line block ×14, first 2 shown]
	s_waitcnt vmcnt(10)
	v_cvt_pk_bf16_f32 v75, v14, v15
	s_waitcnt vmcnt(5)
	v_cvt_pk_bf16_f32 v0, v42, v43
	;; [unrolled: 2-line block ×3, first 2 shown]
	ds_read_b64 v[8:9], v88
	ds_read_b64 v[10:11], v88 offset:32
	ds_read_b64 v[12:13], v88 offset:64
	;; [unrolled: 1-line block ×7, first 2 shown]
	ds_write_b32 v87, v54
	ds_write_b32 v87, v44 offset:264
	ds_write_b32 v87, v45 offset:528
	;; [unrolled: 1-line block ×15, first 2 shown]
	ds_read_b64 v[18:19], v88
	ds_read_b64 v[20:21], v88 offset:32
	ds_read_b64 v[22:23], v88 offset:64
	;; [unrolled: 1-line block ×7, first 2 shown]
	ds_write_b32 v87, v24
	ds_write_b32 v87, v28 offset:264
	ds_write_b32 v87, v29 offset:528
	;; [unrolled: 1-line block ×15, first 2 shown]
	ds_read_b64 v[24:25], v88
	ds_read_b64 v[28:29], v88 offset:32
	ds_read_b64 v[32:33], v88 offset:64
	ds_read_b64 v[36:37], v88 offset:96
	ds_read_b64 v[38:39], v88 offset:128
	ds_read_b64 v[40:41], v88 offset:160
	ds_read_b64 v[46:47], v88 offset:192
	ds_read_b64 v[48:49], v88 offset:224
	ds_write_b32 v87, v30
	ds_write_b32 v87, v58 offset:264
	ds_write_b32 v87, v59 offset:528
	;; [unrolled: 1-line block ×11, first 2 shown]
	s_waitcnt vmcnt(3)
	ds_write_b32 v87, v66 offset:3168
	s_waitcnt vmcnt(2)
	ds_write_b32 v87, v67 offset:3432
	;; [unrolled: 2-line block ×4, first 2 shown]
	ds_read_b64 v[30:31], v88
	ds_read_b64 v[58:59], v88 offset:32
	ds_read_b64 v[60:61], v88 offset:64
	;; [unrolled: 1-line block ×7, first 2 shown]
	ds_write_b32 v87, v75
	ds_write_b32 v87, v0 offset:264
	ds_write_b32 v87, v72 offset:528
	;; [unrolled: 1-line block ×15, first 2 shown]
	ds_read_b64 v[72:73], v88
	s_waitcnt lgkmcnt(0)
	v_mfma_f32_16x16x16_bf16 a[6:9], v[8:9], v[72:73], a[6:9]
	ds_read_b64 v[8:9], v88 offset:32
	v_mfma_f32_16x16x16_bf16 a[10:13], v[18:19], v[72:73], a[10:13]
	v_mfma_f32_16x16x16_bf16 a[2:5], v[24:25], v[72:73], a[2:5]
	;; [unrolled: 1-line block ×3, first 2 shown]
	s_waitcnt lgkmcnt(0)
	v_mfma_f32_16x16x16_bf16 a[6:9], v[10:11], v[8:9], a[6:9]
	v_mfma_f32_16x16x16_bf16 a[10:13], v[20:21], v[8:9], a[10:13]
	v_mfma_f32_16x16x16_bf16 a[0:3], v[28:29], v[8:9], a[2:5]
	v_mfma_f32_16x16x16_bf16 a[14:17], v[58:59], v[8:9], a[14:17]
	ds_read_b64 v[8:9], v88 offset:64
	s_waitcnt lgkmcnt(0)
	v_mfma_f32_16x16x16_bf16 a[4:7], v[12:13], v[8:9], a[6:9]
	v_mfma_f32_16x16x16_bf16 a[8:11], v[22:23], v[8:9], a[10:13]
	v_mfma_f32_16x16x16_bf16 a[0:3], v[32:33], v[8:9], a[0:3]
	v_mfma_f32_16x16x16_bf16 a[12:15], v[60:61], v[8:9], a[14:17]
	ds_read_b64 v[8:9], v88 offset:96
	;; [unrolled: 6-line block ×6, first 2 shown]
	s_waitcnt lgkmcnt(0)
	v_mfma_f32_16x16x16_bf16 a[12:15], v[52:53], v[8:9], a[4:7]
	v_mfma_f32_16x16x16_bf16 a[8:11], v[56:57], v[8:9], a[8:11]
	;; [unrolled: 1-line block ×4, first 2 shown]
	s_andn2_b64 exec, exec, s[16:17]
	s_cbranch_execnz .LBB128_4
; %bb.5:
	s_or_b64 exec, exec, s[16:17]
.LBB128_6:
	s_or_b64 exec, exec, s[24:25]
	v_lshl_add_u32 v0, v84, 2, 0
	v_mul_u32_u24_e32 v1, 0x208, v85
	v_and_b32_e32 v2, 0x3f0, v83
	v_add3_u32 v0, v0, v1, v2
	v_accvgpr_read_b32 v1, a13
	v_accvgpr_read_b32 v2, a12
	s_waitcnt lgkmcnt(0)
	s_barrier
	ds_write2_b32 v0, v2, v1 offset1:1
	v_accvgpr_read_b32 v1, a15
	v_accvgpr_read_b32 v2, a14
	ds_write2_b32 v0, v2, v1 offset0:2 offset1:3
	v_accvgpr_read_b32 v1, a9
	v_accvgpr_read_b32 v2, a8
	ds_write2_b32 v0, v2, v1 offset0:16 offset1:17
	;; [unrolled: 3-line block ×3, first 2 shown]
	v_accvgpr_read_b32 v1, a5
	v_accvgpr_read_b32 v2, a4
	s_mul_hi_i32 s1, s15, s4
	s_mul_i32 s0, s15, s4
	ds_write2_b32 v0, v2, v1 offset0:32 offset1:33
	v_accvgpr_read_b32 v1, a7
	v_accvgpr_read_b32 v2, a6
	s_lshl_b64 s[0:1], s[0:1], 2
	ds_write2_b32 v0, v2, v1 offset0:34 offset1:35
	v_accvgpr_read_b32 v1, a1
	v_accvgpr_read_b32 v2, a0
	s_mul_i32 s4, s11, s3
	s_add_u32 s3, s6, s0
	s_movk_i32 s0, 0x208
	ds_write2_b32 v0, v2, v1 offset0:48 offset1:49
	v_accvgpr_read_b32 v1, a3
	v_accvgpr_read_b32 v2, a2
	v_lshl_add_u32 v3, v83, 2, 0
	ds_write2_b32 v0, v2, v1 offset0:50 offset1:51
	v_mad_u32_u24 v0, v82, s0, v3
	s_waitcnt lgkmcnt(0)
	s_barrier
	ds_read2st64_b32 v[0:1], v0 offset1:1
	s_addc_u32 s6, s7, s1
	s_ashr_i32 s5, s4, 31
	s_lshl_b64 s[0:1], s[4:5], 2
	v_add_u32_e32 v2, s2, v83
	s_waitcnt lgkmcnt(0)
	v_add_f32_e32 v0, 0, v0
	s_add_u32 s0, s3, s0
	v_add_f32_e32 v6, v0, v1
	v_mad_u64_u32 v[0:1], s[2:3], v82, s18, v[2:3]
	s_addc_u32 s1, s6, s1
	v_mov_b32_e32 v1, 0
	v_lshl_add_u64 v[4:5], v[0:1], 2, s[0:1]
	v_cmp_eq_u32_e32 vcc, 0, v82
	global_store_dword v[4:5], v6, off
	s_and_saveexec_b64 s[2:3], vcc
	s_cbranch_execz .LBB128_8
; %bb.7:
	v_add_u32_e32 v0, 16, v3
	ds_read2st64_b32 v[4:5], v0 offset0:4 offset1:5
	v_lshl_add_u32 v0, s18, 1, v2
	v_lshl_add_u64 v[0:1], v[0:1], 2, s[0:1]
	s_waitcnt lgkmcnt(0)
	v_add_f32_e32 v2, 0, v4
	v_add_f32_e32 v2, v2, v5
	global_store_dword v[0:1], v2, off
.LBB128_8:
	s_endpgm
	.section	.rodata,"a",@progbits
	.p2align	6, 0x0
	.amdhsa_kernel _ZL9mul_mat_fI15__hip_bfloat162Li64ELi3ELi2ELb0EEvPKT_PKfPKiPfiiiiiiiiiiiiiiii
		.amdhsa_group_segment_fixed_size 0
		.amdhsa_private_segment_fixed_size 0
		.amdhsa_kernarg_size 96
		.amdhsa_user_sgpr_count 2
		.amdhsa_user_sgpr_dispatch_ptr 0
		.amdhsa_user_sgpr_queue_ptr 0
		.amdhsa_user_sgpr_kernarg_segment_ptr 1
		.amdhsa_user_sgpr_dispatch_id 0
		.amdhsa_user_sgpr_kernarg_preload_length 0
		.amdhsa_user_sgpr_kernarg_preload_offset 0
		.amdhsa_user_sgpr_private_segment_size 0
		.amdhsa_uses_dynamic_stack 0
		.amdhsa_enable_private_segment 0
		.amdhsa_system_sgpr_workgroup_id_x 1
		.amdhsa_system_sgpr_workgroup_id_y 1
		.amdhsa_system_sgpr_workgroup_id_z 1
		.amdhsa_system_sgpr_workgroup_info 0
		.amdhsa_system_vgpr_workitem_id 1
		.amdhsa_next_free_vgpr 124
		.amdhsa_next_free_sgpr 87
		.amdhsa_accum_offset 104
		.amdhsa_reserve_vcc 1
		.amdhsa_float_round_mode_32 0
		.amdhsa_float_round_mode_16_64 0
		.amdhsa_float_denorm_mode_32 3
		.amdhsa_float_denorm_mode_16_64 3
		.amdhsa_dx10_clamp 1
		.amdhsa_ieee_mode 1
		.amdhsa_fp16_overflow 0
		.amdhsa_tg_split 0
		.amdhsa_exception_fp_ieee_invalid_op 0
		.amdhsa_exception_fp_denorm_src 0
		.amdhsa_exception_fp_ieee_div_zero 0
		.amdhsa_exception_fp_ieee_overflow 0
		.amdhsa_exception_fp_ieee_underflow 0
		.amdhsa_exception_fp_ieee_inexact 0
		.amdhsa_exception_int_div_zero 0
	.end_amdhsa_kernel
	.section	.text._ZL9mul_mat_fI15__hip_bfloat162Li64ELi3ELi2ELb0EEvPKT_PKfPKiPfiiiiiiiiiiiiiiii,"axG",@progbits,_ZL9mul_mat_fI15__hip_bfloat162Li64ELi3ELi2ELb0EEvPKT_PKfPKiPfiiiiiiiiiiiiiiii,comdat
.Lfunc_end128:
	.size	_ZL9mul_mat_fI15__hip_bfloat162Li64ELi3ELi2ELb0EEvPKT_PKfPKiPfiiiiiiiiiiiiiiii, .Lfunc_end128-_ZL9mul_mat_fI15__hip_bfloat162Li64ELi3ELi2ELb0EEvPKT_PKfPKiPfiiiiiiiiiiiiiiii
                                        ; -- End function
	.set _ZL9mul_mat_fI15__hip_bfloat162Li64ELi3ELi2ELb0EEvPKT_PKfPKiPfiiiiiiiiiiiiiiii.num_vgpr, 102
	.set _ZL9mul_mat_fI15__hip_bfloat162Li64ELi3ELi2ELb0EEvPKT_PKfPKiPfiiiiiiiiiiiiiiii.num_agpr, 20
	.set _ZL9mul_mat_fI15__hip_bfloat162Li64ELi3ELi2ELb0EEvPKT_PKfPKiPfiiiiiiiiiiiiiiii.numbered_sgpr, 87
	.set _ZL9mul_mat_fI15__hip_bfloat162Li64ELi3ELi2ELb0EEvPKT_PKfPKiPfiiiiiiiiiiiiiiii.num_named_barrier, 0
	.set _ZL9mul_mat_fI15__hip_bfloat162Li64ELi3ELi2ELb0EEvPKT_PKfPKiPfiiiiiiiiiiiiiiii.private_seg_size, 0
	.set _ZL9mul_mat_fI15__hip_bfloat162Li64ELi3ELi2ELb0EEvPKT_PKfPKiPfiiiiiiiiiiiiiiii.uses_vcc, 1
	.set _ZL9mul_mat_fI15__hip_bfloat162Li64ELi3ELi2ELb0EEvPKT_PKfPKiPfiiiiiiiiiiiiiiii.uses_flat_scratch, 0
	.set _ZL9mul_mat_fI15__hip_bfloat162Li64ELi3ELi2ELb0EEvPKT_PKfPKiPfiiiiiiiiiiiiiiii.has_dyn_sized_stack, 0
	.set _ZL9mul_mat_fI15__hip_bfloat162Li64ELi3ELi2ELb0EEvPKT_PKfPKiPfiiiiiiiiiiiiiiii.has_recursion, 0
	.set _ZL9mul_mat_fI15__hip_bfloat162Li64ELi3ELi2ELb0EEvPKT_PKfPKiPfiiiiiiiiiiiiiiii.has_indirect_call, 0
	.section	.AMDGPU.csdata,"",@progbits
; Kernel info:
; codeLenInByte = 4680
; TotalNumSgprs: 93
; NumVgprs: 102
; NumAgprs: 20
; TotalNumVgprs: 124
; ScratchSize: 0
; MemoryBound: 0
; FloatMode: 240
; IeeeMode: 1
; LDSByteSize: 0 bytes/workgroup (compile time only)
; SGPRBlocks: 11
; VGPRBlocks: 15
; NumSGPRsForWavesPerEU: 93
; NumVGPRsForWavesPerEU: 124
; AccumOffset: 104
; Occupancy: 4
; WaveLimiterHint : 0
; COMPUTE_PGM_RSRC2:SCRATCH_EN: 0
; COMPUTE_PGM_RSRC2:USER_SGPR: 2
; COMPUTE_PGM_RSRC2:TRAP_HANDLER: 0
; COMPUTE_PGM_RSRC2:TGID_X_EN: 1
; COMPUTE_PGM_RSRC2:TGID_Y_EN: 1
; COMPUTE_PGM_RSRC2:TGID_Z_EN: 1
; COMPUTE_PGM_RSRC2:TIDIG_COMP_CNT: 1
; COMPUTE_PGM_RSRC3_GFX90A:ACCUM_OFFSET: 25
; COMPUTE_PGM_RSRC3_GFX90A:TG_SPLIT: 0
	.section	.text._ZL13mul_mat_f_idsI15__hip_bfloat162Li64ELi3ELi3EEvPKT_PKfPKiS7_S7_Pfiiiiiiiiiiiiii15HIP_vector_typeIjLj3EESA_,"axG",@progbits,_ZL13mul_mat_f_idsI15__hip_bfloat162Li64ELi3ELi3EEvPKT_PKfPKiS7_S7_Pfiiiiiiiiiiiiii15HIP_vector_typeIjLj3EESA_,comdat
	.globl	_ZL13mul_mat_f_idsI15__hip_bfloat162Li64ELi3ELi3EEvPKT_PKfPKiS7_S7_Pfiiiiiiiiiiiiii15HIP_vector_typeIjLj3EESA_ ; -- Begin function _ZL13mul_mat_f_idsI15__hip_bfloat162Li64ELi3ELi3EEvPKT_PKfPKiS7_S7_Pfiiiiiiiiiiiiii15HIP_vector_typeIjLj3EESA_
	.p2align	8
	.type	_ZL13mul_mat_f_idsI15__hip_bfloat162Li64ELi3ELi3EEvPKT_PKfPKiS7_S7_Pfiiiiiiiiiiiiii15HIP_vector_typeIjLj3EESA_,@function
_ZL13mul_mat_f_idsI15__hip_bfloat162Li64ELi3ELi3EEvPKT_PKfPKiS7_S7_Pfiiiiiiiiiiiiii15HIP_vector_typeIjLj3EESA_: ; @_ZL13mul_mat_f_idsI15__hip_bfloat162Li64ELi3ELi3EEvPKT_PKfPKiS7_S7_Pfiiiiiiiiiiiiii15HIP_vector_typeIjLj3EESA_
; %bb.0:
	s_load_dwordx2 s[6:7], s[0:1], 0x20
	s_mov_b32 s34, s3
	s_ashr_i32 s35, s3, 31
	s_lshl_b64 s[8:9], s[34:35], 2
	s_waitcnt lgkmcnt(0)
	s_add_u32 s6, s6, s8
	s_addc_u32 s7, s7, s9
	s_load_dwordx2 s[24:25], s[6:7], 0x0
	s_waitcnt lgkmcnt(0)
	s_sub_i32 s33, s25, s24
	s_add_i32 s3, s33, 2
	s_mul_hi_i32 s3, s3, 0x55555556
	s_lshr_b32 s5, s3, 31
	s_add_i32 s3, s3, s5
	s_cmp_ge_i32 s4, s3
	s_cbranch_scc1 .LBB129_19
; %bb.1:
	v_bfe_u32 v69, v0, 10, 10
	v_lshlrev_b32_e32 v70, 6, v69
	v_and_b32_e32 v68, 0x3ff, v0
	s_load_dwordx4 s[12:15], s[0:1], 0x30
	s_load_dwordx2 s[20:21], s[0:1], 0x40
	s_load_dwordx4 s[8:11], s[0:1], 0x4c
	s_load_dwordx4 s[16:19], s[0:1], 0x68
	s_load_dwordx2 s[26:27], s[0:1], 0x78
	v_add_u32_e32 v72, v70, v68
	s_ashr_i32 s25, s24, 31
	s_waitcnt lgkmcnt(0)
	v_cmp_le_i32_e32 vcc, s12, v72
	v_and_b32_e32 v71, 15, v68
	s_and_saveexec_b64 s[6:7], vcc
	s_xor_b64 s[6:7], exec, s[6:7]
; %bb.2:
	v_and_b32_e32 v71, 15, v68
                                        ; implicit-def: $vgpr72
; %bb.3:
	s_or_saveexec_b64 s[30:31], s[6:7]
	s_load_dwordx2 s[28:29], s[0:1], 0x18
	s_load_dwordx2 s[6:7], s[0:1], 0x28
                                        ; implicit-def: $vgpr82 : SGPR spill to VGPR lane
	s_lshl_b32 s11, s2, 6
	s_mul_i32 s2, s4, 3
	v_mov_b32_e32 v1, 0
	v_accvgpr_write_b32 a4, 0
	s_waitcnt lgkmcnt(0)
	v_writelane_b32 v82, s6, 0
	v_accvgpr_write_b32 a5, 0
	v_accvgpr_write_b32 a6, 0
	;; [unrolled: 1-line block ×15, first 2 shown]
	v_writelane_b32 v82, s7, 1
	s_xor_b64 exec, exec, s[30:31]
	s_cbranch_execz .LBB129_16
; %bb.4:
	s_load_dwordx4 s[4:7], s[0:1], 0x0
	s_load_dwordx2 s[22:23], s[0:1], 0x10
	s_mul_i32 s0, s8, s34
	s_ashr_i32 s1, s0, 31
	v_writelane_b32 v82, s26, 2
	s_lshl_b64 s[44:45], s[0:1], 2
	s_waitcnt lgkmcnt(0)
	s_add_u32 s0, s4, s44
	v_writelane_b32 v82, s27, 3
	s_mul_i32 s26, s15, s11
	s_addc_u32 s1, s5, s45
	s_ashr_i32 s27, s26, 31
	s_lshl_b64 s[46:47], s[26:27], 2
	s_add_u32 s0, s0, s46
	s_addc_u32 s1, s1, s47
	s_lshl_b64 s[26:27], s[24:25], 2
	s_add_u32 s8, s22, s26
	s_addc_u32 s26, s23, s27
	s_movk_i32 s3, 0x1080
	s_cmp_lt_i32 s2, s33
	v_mad_u32_u24 v0, v69, s3, 0
	s_cselect_b64 s[34:35], -1, 0
	s_ashr_i32 s3, s2, 31
	s_lshl_b64 s[22:23], s[2:3], 2
	s_add_u32 s36, s8, s22
	s_addc_u32 s37, s26, s23
	s_add_i32 s3, s2, 1
	s_cmp_lt_i32 s3, s33
	s_cselect_b64 s[38:39], -1, 0
	s_add_i32 s3, s2, 2
	s_cmp_lt_i32 s3, s33
	s_cselect_b64 s[40:41], -1, 0
	s_ashr_i32 s23, s15, 31
	s_mov_b32 s22, s15
	v_lshrrev_b32_e32 v4, 1, v68
	s_add_i32 s3, s15, s15
	s_lshl_b32 s48, s15, 2
	s_lshl_b32 s52, s15, 3
	s_lshl_b32 s60, s15, 4
	s_lshl_b32 s76, s15, 5
	s_lshl_b64 s[42:43], s[22:23], 2
	v_lshlrev_b32_e32 v2, 2, v68
	v_mul_u32_u24_e32 v3, 0x108, v71
	v_and_b32_e32 v4, 0x1f8, v4
	s_add_u32 s22, s44, s46
	v_add_u32_e32 v73, v0, v2
	v_add3_u32 v74, v0, v3, v4
	s_addc_u32 s23, s45, s47
	v_lshlrev_b32_e32 v0, 8, v69
	v_lshl_add_u64 v[4:5], s[22:23], 0, v[0:1]
	v_mov_b32_e32 v3, v1
	v_lshl_add_u64 v[2:3], v[4:5], 0, v[2:3]
	s_mul_i32 s8, s15, 3
	s_mul_i32 s49, s15, 5
	;; [unrolled: 1-line block ×43, first 2 shown]
	v_accvgpr_write_b32 a15, 0
	v_accvgpr_write_b32 a14, 0
	;; [unrolled: 1-line block ×16, first 2 shown]
	v_lshl_add_u64 v[2:3], s[4:5], 0, v[2:3]
	s_mul_i32 s90, s15, 50
	s_mul_i32 s91, s15, 51
	;; [unrolled: 1-line block ×14, first 2 shown]
	s_mov_b32 s23, 0x5040100
	s_mov_b64 s[4:5], 0
	v_writelane_b32 v82, s11, 4
	s_branch .LBB129_6
.LBB129_5:                              ;   in Loop: Header=BB129_6 Depth=1
	v_perm_b32 v0, v0, v75, s23
	v_perm_b32 v75, v77, v78, s23
	ds_write2_b32 v73, v0, v75 offset1:66
	v_perm_b32 v0, v79, v76, s23
	ds_write2_b32 v73, v0, v1 offset0:132 offset1:198
	v_add_u32_e32 v0, 0x400, v73
	ds_write2_b32 v0, v1, v1 offset0:8 offset1:74
	ds_write2_b32 v0, v1, v1 offset0:140 offset1:206
	v_add_u32_e32 v0, 0x800, v73
	ds_write2_b32 v0, v1, v1 offset0:16 offset1:82
	;; [unrolled: 3-line block ×3, first 2 shown]
	ds_write2_b32 v0, v1, v1 offset0:156 offset1:222
	ds_read2_b64 v[76:79], v74 offset1:4
	s_waitcnt lgkmcnt(0)
	v_mfma_f32_16x16x16_bf16 a[4:7], v[10:11], v[76:77], a[4:7]
	v_add_u32_e32 v72, 0xc0, v72
	s_mov_b64 vcc, 0x300
	v_lshl_add_u64 v[2:3], v[2:3], 0, vcc
	v_mfma_f32_16x16x16_bf16 a[0:3], v[36:37], v[76:77], a[0:3]
	v_cmp_le_i32_e32 vcc, s12, v72
	s_or_b64 s[4:5], vcc, s[4:5]
	v_mfma_f32_16x16x16_bf16 a[8:11], v[50:51], v[76:77], a[8:11]
	v_mfma_f32_16x16x16_bf16 a[12:15], v[66:67], v[76:77], a[12:15]
	;; [unrolled: 1-line block ×3, first 2 shown]
	ds_read2_b64 v[8:11], v74 offset0:8 offset1:12
	v_mfma_f32_16x16x16_bf16 a[0:3], v[34:35], v[78:79], a[0:3]
	v_mfma_f32_16x16x16_bf16 a[8:11], v[48:49], v[78:79], a[8:11]
	;; [unrolled: 1-line block ×3, first 2 shown]
	s_waitcnt lgkmcnt(0)
	v_mfma_f32_16x16x16_bf16 a[4:7], v[6:7], v[8:9], a[4:7]
	v_mfma_f32_16x16x16_bf16 a[0:3], v[30:31], v[8:9], a[0:3]
	;; [unrolled: 1-line block ×5, first 2 shown]
	ds_read2_b64 v[4:7], v74 offset0:16 offset1:20
	v_mfma_f32_16x16x16_bf16 a[0:3], v[28:29], v[10:11], a[0:3]
	v_mfma_f32_16x16x16_bf16 a[8:11], v[44:45], v[10:11], a[8:11]
	;; [unrolled: 1-line block ×3, first 2 shown]
	s_waitcnt lgkmcnt(0)
	v_mfma_f32_16x16x16_bf16 a[4:7], v[18:19], v[4:5], a[4:7]
	v_mfma_f32_16x16x16_bf16 a[0:3], v[26:27], v[4:5], a[0:3]
	;; [unrolled: 1-line block ×8, first 2 shown]
	ds_read2_b64 v[4:7], v74 offset0:24 offset1:28
	s_waitcnt lgkmcnt(0)
	v_mfma_f32_16x16x16_bf16 a[4:7], v[14:15], v[4:5], a[4:7]
	v_mfma_f32_16x16x16_bf16 a[0:3], v[22:23], v[4:5], a[0:3]
	;; [unrolled: 1-line block ×8, first 2 shown]
	s_andn2_b64 exec, exec, s[4:5]
	s_cbranch_execz .LBB129_15
.LBB129_6:                              ; =>This Inner Loop Header: Depth=1
	v_lshl_add_u64 v[4:5], v[2:3], 0, s[42:43]
	global_load_dword v0, v[2:3], off
	global_load_dword v20, v[4:5], off
	v_add_u32_e32 v4, s3, v72
	v_add_u32_e32 v8, s48, v72
	v_add_u32_e32 v10, s49, v72
	v_add_u32_e32 v16, s52, v72
	v_ashrrev_i32_e32 v5, 31, v4
	v_add_u32_e32 v6, s8, v72
	v_ashrrev_i32_e32 v9, 31, v8
	v_ashrrev_i32_e32 v11, 31, v10
	v_add_u32_e32 v12, s50, v72
	v_add_u32_e32 v14, s51, v72
	v_ashrrev_i32_e32 v17, 31, v16
	v_add_u32_e32 v18, s53, v72
	v_lshl_add_u64 v[4:5], v[4:5], 2, s[0:1]
	v_ashrrev_i32_e32 v7, 31, v6
	v_lshl_add_u64 v[8:9], v[8:9], 2, s[0:1]
	v_lshl_add_u64 v[10:11], v[10:11], 2, s[0:1]
	v_ashrrev_i32_e32 v13, 31, v12
	v_ashrrev_i32_e32 v15, 31, v14
	v_lshl_add_u64 v[16:17], v[16:17], 2, s[0:1]
	v_ashrrev_i32_e32 v19, 31, v18
	v_lshl_add_u64 v[6:7], v[6:7], 2, s[0:1]
	v_lshl_add_u64 v[12:13], v[12:13], 2, s[0:1]
	;; [unrolled: 1-line block ×4, first 2 shown]
	global_load_dword v21, v[4:5], off
	global_load_dword v22, v[6:7], off
	;; [unrolled: 1-line block ×6, first 2 shown]
	s_nop 0
	global_load_dword v16, v[16:17], off
	s_nop 0
	global_load_dword v17, v[18:19], off
	v_add_u32_e32 v4, s54, v72
	v_add_u32_e32 v8, s56, v72
	;; [unrolled: 1-line block ×3, first 2 shown]
	v_ashrrev_i32_e32 v5, 31, v4
	v_add_u32_e32 v6, s55, v72
	v_ashrrev_i32_e32 v9, 31, v8
	v_ashrrev_i32_e32 v11, 31, v10
	v_add_u32_e32 v12, s58, v72
	v_add_u32_e32 v14, s59, v72
	v_lshl_add_u64 v[4:5], v[4:5], 2, s[0:1]
	v_ashrrev_i32_e32 v7, 31, v6
	v_lshl_add_u64 v[8:9], v[8:9], 2, s[0:1]
	v_lshl_add_u64 v[10:11], v[10:11], 2, s[0:1]
	v_ashrrev_i32_e32 v13, 31, v12
	v_ashrrev_i32_e32 v15, 31, v14
	v_lshl_add_u64 v[6:7], v[6:7], 2, s[0:1]
	v_lshl_add_u64 v[12:13], v[12:13], 2, s[0:1]
	;; [unrolled: 1-line block ×3, first 2 shown]
	global_load_dword v18, v[4:5], off
	global_load_dword v19, v[6:7], off
	s_nop 0
	global_load_dword v8, v[8:9], off
	s_nop 0
	;; [unrolled: 2-line block ×3, first 2 shown]
	global_load_dword v10, v[12:13], off
	global_load_dword v11, v[14:15], off
	v_add_u32_e32 v4, s60, v72
	v_add_u32_e32 v6, s61, v72
	v_ashrrev_i32_e32 v5, 31, v4
	v_ashrrev_i32_e32 v7, 31, v6
	v_lshl_add_u64 v[4:5], v[4:5], 2, s[0:1]
	v_add_u32_e32 v12, s62, v72
	v_lshl_add_u64 v[6:7], v[6:7], 2, s[0:1]
	global_load_dword v28, v[4:5], off
	global_load_dword v29, v[6:7], off
	v_ashrrev_i32_e32 v13, 31, v12
	v_add_u32_e32 v14, s63, v72
	v_lshl_add_u64 v[12:13], v[12:13], 2, s[0:1]
	v_ashrrev_i32_e32 v15, 31, v14
	v_lshl_add_u64 v[14:15], v[14:15], 2, s[0:1]
	s_andn2_b64 vcc, exec, s[34:35]
	s_waitcnt vmcnt(17)
	ds_write_b32 v73, v0
	s_waitcnt vmcnt(16)
	ds_write_b32 v73, v20 offset:264
	s_waitcnt vmcnt(15)
	ds_write_b32 v73, v21 offset:528
	;; [unrolled: 2-line block ×15, first 2 shown]
	v_add_u32_e32 v16, s64, v72
	v_add_u32_e32 v18, s65, v72
	;; [unrolled: 1-line block ×6, first 2 shown]
	v_ashrrev_i32_e32 v17, 31, v16
	v_ashrrev_i32_e32 v19, 31, v18
	;; [unrolled: 1-line block ×6, first 2 shown]
	ds_read_b64 v[10:11], v74
	ds_read_b64 v[8:9], v74 offset:32
	ds_read_b64 v[6:7], v74 offset:64
	;; [unrolled: 1-line block ×3, first 2 shown]
	v_lshl_add_u64 v[16:17], v[16:17], 2, s[0:1]
	v_lshl_add_u64 v[18:19], v[18:19], 2, s[0:1]
	v_lshl_add_u64 v[20:21], v[20:21], 2, s[0:1]
	v_lshl_add_u64 v[22:23], v[22:23], 2, s[0:1]
	v_lshl_add_u64 v[24:25], v[24:25], 2, s[0:1]
	v_lshl_add_u64 v[26:27], v[26:27], 2, s[0:1]
	global_load_dword v0, v[12:13], off
	global_load_dword v30, v[14:15], off
	global_load_dword v31, v[16:17], off
	global_load_dword v32, v[18:19], off
	global_load_dword v33, v[20:21], off
	global_load_dword v34, v[22:23], off
	global_load_dword v35, v[24:25], off
	global_load_dword v36, v[26:27], off
	v_add_u32_e32 v12, s70, v72
	v_ashrrev_i32_e32 v13, 31, v12
	v_add_u32_e32 v14, s71, v72
	v_add_u32_e32 v16, s72, v72
	v_add_u32_e32 v18, s73, v72
	v_add_u32_e32 v20, s74, v72
	v_add_u32_e32 v22, s75, v72
	v_add_u32_e32 v24, s76, v72
	v_add_u32_e32 v26, s77, v72
	v_lshl_add_u64 v[12:13], v[12:13], 2, s[0:1]
	v_ashrrev_i32_e32 v15, 31, v14
	v_ashrrev_i32_e32 v17, 31, v16
	v_ashrrev_i32_e32 v19, 31, v18
	v_ashrrev_i32_e32 v21, 31, v20
	v_ashrrev_i32_e32 v23, 31, v22
	v_ashrrev_i32_e32 v25, 31, v24
	v_ashrrev_i32_e32 v27, 31, v26
	v_lshl_add_u64 v[14:15], v[14:15], 2, s[0:1]
	v_lshl_add_u64 v[16:17], v[16:17], 2, s[0:1]
	v_lshl_add_u64 v[18:19], v[18:19], 2, s[0:1]
	v_lshl_add_u64 v[20:21], v[20:21], 2, s[0:1]
	v_lshl_add_u64 v[22:23], v[22:23], 2, s[0:1]
	v_lshl_add_u64 v[24:25], v[24:25], 2, s[0:1]
	v_lshl_add_u64 v[26:27], v[26:27], 2, s[0:1]
	global_load_dword v37, v[12:13], off
	global_load_dword v38, v[14:15], off
	global_load_dword v39, v[16:17], off
	global_load_dword v40, v[18:19], off
	global_load_dword v41, v[20:21], off
	global_load_dword v42, v[22:23], off
	global_load_dword v43, v[24:25], off
	global_load_dword v44, v[26:27], off
	v_add_u32_e32 v12, s78, v72
	v_ashrrev_i32_e32 v13, 31, v12
	v_add_u32_e32 v14, s79, v72
	v_add_u32_e32 v16, s80, v72
	v_add_u32_e32 v18, s81, v72
	v_add_u32_e32 v20, s82, v72
	v_add_u32_e32 v22, s83, v72
	v_add_u32_e32 v24, s84, v72
	v_add_u32_e32 v26, s85, v72
	v_lshl_add_u64 v[12:13], v[12:13], 2, s[0:1]
	v_ashrrev_i32_e32 v15, 31, v14
	v_ashrrev_i32_e32 v17, 31, v16
	v_ashrrev_i32_e32 v19, 31, v18
	v_ashrrev_i32_e32 v21, 31, v20
	v_ashrrev_i32_e32 v23, 31, v22
	v_ashrrev_i32_e32 v25, 31, v24
	v_ashrrev_i32_e32 v27, 31, v26
	v_lshl_add_u64 v[14:15], v[14:15], 2, s[0:1]
	;; [unrolled: 32-line block ×4, first 2 shown]
	v_lshl_add_u64 v[16:17], v[16:17], 2, s[0:1]
	v_lshl_add_u64 v[18:19], v[18:19], 2, s[0:1]
	;; [unrolled: 1-line block ×6, first 2 shown]
	global_load_dword v61, v[12:13], off
	global_load_dword v62, v[14:15], off
	;; [unrolled: 1-line block ×8, first 2 shown]
	v_add_u32_e32 v12, s98, v72
	v_ashrrev_i32_e32 v13, 31, v12
	v_add_u32_e32 v14, s99, v72
	v_add_u32_e32 v16, s26, v72
	;; [unrolled: 1-line block ×5, first 2 shown]
	v_lshl_add_u64 v[12:13], v[12:13], 2, s[0:1]
	v_ashrrev_i32_e32 v15, 31, v14
	v_ashrrev_i32_e32 v17, 31, v16
	;; [unrolled: 1-line block ×5, first 2 shown]
	v_lshl_add_u64 v[14:15], v[14:15], 2, s[0:1]
	v_lshl_add_u64 v[16:17], v[16:17], 2, s[0:1]
	;; [unrolled: 1-line block ×5, first 2 shown]
	global_load_dword v76, v[12:13], off
	global_load_dword v77, v[14:15], off
	;; [unrolled: 1-line block ×6, first 2 shown]
	ds_read_b64 v[18:19], v74 offset:128
	ds_read_b64 v[16:17], v74 offset:160
	ds_read_b64 v[14:15], v74 offset:192
	ds_read_b64 v[12:13], v74 offset:224
	s_waitcnt vmcnt(47)
	ds_write_b32 v73, v28
	s_waitcnt vmcnt(46)
	ds_write_b32 v73, v29 offset:264
	s_waitcnt vmcnt(45)
	ds_write_b32 v73, v0 offset:528
	s_waitcnt vmcnt(44)
	ds_write_b32 v73, v30 offset:792
	s_waitcnt vmcnt(43)
	ds_write_b32 v73, v31 offset:1056
	s_waitcnt vmcnt(42)
	ds_write_b32 v73, v32 offset:1320
	s_waitcnt vmcnt(41)
	ds_write_b32 v73, v33 offset:1584
	s_waitcnt vmcnt(40)
	ds_write_b32 v73, v34 offset:1848
	s_waitcnt vmcnt(39)
	ds_write_b32 v73, v35 offset:2112
	s_waitcnt vmcnt(38)
	ds_write_b32 v73, v36 offset:2376
	s_waitcnt vmcnt(37)
	ds_write_b32 v73, v37 offset:2640
	s_waitcnt vmcnt(36)
	ds_write_b32 v73, v38 offset:2904
	s_waitcnt vmcnt(35)
	ds_write_b32 v73, v39 offset:3168
	s_waitcnt vmcnt(34)
	ds_write_b32 v73, v40 offset:3432
	s_waitcnt vmcnt(33)
	ds_write_b32 v73, v41 offset:3696
	s_waitcnt vmcnt(32)
	ds_write_b32 v73, v42 offset:3960
	ds_read_b64 v[36:37], v74
	ds_read_b64 v[34:35], v74 offset:32
	ds_read_b64 v[30:31], v74 offset:64
	ds_read_b64 v[28:29], v74 offset:96
	ds_read_b64 v[26:27], v74 offset:128
	ds_read_b64 v[24:25], v74 offset:160
	ds_read_b64 v[22:23], v74 offset:192
	ds_read_b64 v[20:21], v74 offset:224
	s_waitcnt vmcnt(31)
	ds_write_b32 v73, v43
	s_waitcnt vmcnt(30)
	ds_write_b32 v73, v44 offset:264
	s_waitcnt vmcnt(29)
	ds_write_b32 v73, v45 offset:528
	s_waitcnt vmcnt(28)
	ds_write_b32 v73, v46 offset:792
	s_waitcnt vmcnt(27)
	ds_write_b32 v73, v47 offset:1056
	s_waitcnt vmcnt(26)
	ds_write_b32 v73, v48 offset:1320
	s_waitcnt vmcnt(25)
	ds_write_b32 v73, v49 offset:1584
	s_waitcnt vmcnt(24)
	ds_write_b32 v73, v50 offset:1848
	s_waitcnt vmcnt(23)
	ds_write_b32 v73, v51 offset:2112
	s_waitcnt vmcnt(22)
	ds_write_b32 v73, v52 offset:2376
	s_waitcnt vmcnt(21)
	ds_write_b32 v73, v53 offset:2640
	s_waitcnt vmcnt(20)
	ds_write_b32 v73, v54 offset:2904
	s_waitcnt vmcnt(19)
	ds_write_b32 v73, v55 offset:3168
	s_waitcnt vmcnt(18)
	ds_write_b32 v73, v56 offset:3432
	s_waitcnt vmcnt(17)
	ds_write_b32 v73, v57 offset:3696
	s_waitcnt vmcnt(16)
	ds_write_b32 v73, v58 offset:3960
	ds_read_b64 v[50:51], v74
	ds_read_b64 v[48:49], v74 offset:32
	ds_read_b64 v[46:47], v74 offset:64
	ds_read_b64 v[44:45], v74 offset:96
	;; [unrolled: 40-line block ×3, first 2 shown]
	ds_read_b64 v[62:63], v74 offset:128
	ds_read_b64 v[58:59], v74 offset:160
	ds_read_b64 v[54:55], v74 offset:192
	ds_read_b64 v[52:53], v74 offset:224
	v_mov_b32_e32 v75, 0
	v_mov_b32_e32 v0, 0
	s_cbranch_vccnz .LBB129_9
; %bb.7:                                ;   in Loop: Header=BB129_6 Depth=1
	s_load_dword vcc_lo, s[36:37], 0x0
	v_mov_b32_e32 v0, 0
	v_mov_b32_e32 v75, 0
	s_waitcnt lgkmcnt(0)
	s_mul_hi_u32 vcc_hi, vcc_lo, s16
	s_add_i32 vcc_hi, vcc_lo, vcc_hi
	s_lshr_b32 s11, vcc_hi, s17
	s_cmp_ge_i32 s11, s13
	s_cbranch_scc1 .LBB129_9
; %bb.8:                                ;   in Loop: Header=BB129_6 Depth=1
	s_mul_i32 vcc_hi, s11, s18
	s_sub_i32 vcc_lo, vcc_lo, vcc_hi
	s_mul_i32 s11, s11, s20
	s_mul_i32 vcc_lo, vcc_lo, s9
	v_add_u32_e32 v0, s11, v72
	v_lshl_add_u32 v76, v0, 1, vcc_lo
	v_ashrrev_i32_e32 v77, 31, v76
	v_lshl_add_u64 v[76:77], v[76:77], 2, s[6:7]
	global_load_dwordx2 v[76:77], v[76:77], off
	s_waitcnt vmcnt(0)
	v_cvt_pk_bf16_f32 v75, v76, s0
	v_cvt_pk_bf16_f32 v0, v77, s0
.LBB129_9:                              ;   in Loop: Header=BB129_6 Depth=1
	v_mov_b32_e32 v76, 0
	s_andn2_b64 vcc, exec, s[38:39]
	v_mov_b32_e32 v78, 0
	v_mov_b32_e32 v77, 0
	s_cbranch_vccnz .LBB129_12
; %bb.10:                               ;   in Loop: Header=BB129_6 Depth=1
	s_load_dword vcc_lo, s[36:37], 0x4
	v_mov_b32_e32 v77, 0
	v_mov_b32_e32 v78, 0
	s_waitcnt lgkmcnt(0)
	s_mul_hi_u32 s11, vcc_lo, s16
	s_add_i32 s11, vcc_lo, s11
	s_lshr_b32 vcc_hi, s11, s17
	s_cmp_ge_i32 vcc_hi, s13
	s_cbranch_scc1 .LBB129_12
; %bb.11:                               ;   in Loop: Header=BB129_6 Depth=1
	s_mul_i32 s11, vcc_hi, s18
	s_sub_i32 s11, vcc_lo, s11
	s_mul_i32 vcc_hi, vcc_hi, s20
	s_mul_i32 s11, s11, s9
	v_add_u32_e32 v77, vcc_hi, v72
	v_lshl_add_u32 v78, v77, 1, s11
	v_ashrrev_i32_e32 v79, 31, v78
	v_lshl_add_u64 v[78:79], v[78:79], 2, s[6:7]
	global_load_dwordx2 v[78:79], v[78:79], off
	s_waitcnt vmcnt(0)
	v_cvt_pk_bf16_f32 v78, v78, s0
	v_cvt_pk_bf16_f32 v77, v79, s0
.LBB129_12:                             ;   in Loop: Header=BB129_6 Depth=1
	s_andn2_b64 vcc, exec, s[40:41]
	v_mov_b32_e32 v79, 0
	s_cbranch_vccnz .LBB129_5
; %bb.13:                               ;   in Loop: Header=BB129_6 Depth=1
	s_load_dword vcc_lo, s[36:37], 0x8
	v_mov_b32_e32 v79, 0
	v_mov_b32_e32 v76, 0
	s_waitcnt lgkmcnt(0)
	s_mul_hi_u32 s11, vcc_lo, s16
	s_add_i32 s11, vcc_lo, s11
	s_lshr_b32 vcc_hi, s11, s17
	s_cmp_ge_i32 vcc_hi, s13
	s_cbranch_scc1 .LBB129_5
; %bb.14:                               ;   in Loop: Header=BB129_6 Depth=1
	s_mul_i32 s11, vcc_hi, s18
	s_sub_i32 s11, vcc_lo, s11
	s_mul_i32 vcc_hi, vcc_hi, s20
	s_mul_i32 s11, s11, s9
	v_add_u32_e32 v76, vcc_hi, v72
	v_lshl_add_u32 v80, v76, 1, s11
	v_ashrrev_i32_e32 v81, 31, v80
	v_lshl_add_u64 v[80:81], v[80:81], 2, s[6:7]
	global_load_dwordx2 v[80:81], v[80:81], off
	s_waitcnt vmcnt(0)
	v_cvt_pk_bf16_f32 v76, v80, s0
	v_cvt_pk_bf16_f32 v79, v81, s0
	s_branch .LBB129_5
.LBB129_15:
	s_or_b64 exec, exec, s[4:5]
	v_readlane_b32 s26, v82, 2
	v_readlane_b32 s27, v82, 3
	;; [unrolled: 1-line block ×3, first 2 shown]
.LBB129_16:
	s_or_b64 exec, exec, s[30:31]
	v_lshl_add_u32 v0, v70, 2, 0
	v_mul_u32_u24_e32 v1, 0x308, v71
	v_and_b32_e32 v2, 0x3f0, v68
	v_add3_u32 v0, v0, v1, v2
	v_accvgpr_read_b32 v1, a5
	v_accvgpr_read_b32 v2, a4
	s_barrier
	ds_write2_b32 v0, v2, v1 offset1:1
	v_accvgpr_read_b32 v1, a7
	v_accvgpr_read_b32 v2, a6
	ds_write2_b32 v0, v2, v1 offset0:2 offset1:3
	v_accvgpr_read_b32 v1, a1
	v_accvgpr_read_b32 v2, a0
	ds_write2_b32 v0, v2, v1 offset0:16 offset1:17
	;; [unrolled: 3-line block ×7, first 2 shown]
	s_cmp_gt_i32 s14, 0
	v_add_u32_e32 v0, s2, v69
	s_cselect_b64 s[4:5], -1, 0
	v_cmp_gt_i32_e64 s[0:1], s33, v0
	v_cmp_gt_u32_e32 vcc, 3, v69
	s_and_b64 s[0:1], s[4:5], s[0:1]
	s_and_b64 s[0:1], vcc, s[0:1]
	s_waitcnt lgkmcnt(0)
	s_barrier
	s_and_saveexec_b64 s[2:3], s[0:1]
	s_cbranch_execz .LBB129_19
; %bb.17:
	s_lshl_b64 s[0:1], s[24:25], 2
	s_add_u32 s0, s28, s0
	s_addc_u32 s1, s29, s1
	v_ashrrev_i32_e32 v1, 31, v0
	v_lshl_add_u64 v[0:1], v[0:1], 2, s[0:1]
	global_load_dword v0, v[0:1], off
	s_waitcnt vmcnt(0)
	v_mul_hi_u32 v1, v0, s19
	v_add_u32_e32 v1, v0, v1
	v_lshrrev_b32_e32 v1, s26, v1
	v_cmp_gt_i32_e32 vcc, s13, v1
	s_and_b64 exec, exec, vcc
	s_cbranch_execz .LBB129_19
; %bb.18:
	v_lshlrev_b32_e32 v2, 2, v68
	v_mul_u32_u24_e32 v3, 0x308, v69
	v_add3_u32 v4, 0, v2, v3
	ds_read2st64_b32 v[2:3], v4 offset1:1
	ds_read_b32 v4, v4 offset:512
	v_mul_lo_u32 v6, v1, s27
	v_sub_u32_e32 v0, v0, v6
	v_add_u32_e32 v5, s11, v68
	s_waitcnt lgkmcnt(1)
	v_add_f32_e32 v2, 0, v2
	v_mul_lo_u32 v0, v0, s10
	v_mul_lo_u32 v1, v1, s21
	v_readlane_b32 s0, v82, 0
	v_add_f32_e32 v2, v2, v3
	v_add3_u32 v0, v5, v1, v0
	v_mov_b32_e32 v1, 0
	v_readlane_b32 s1, v82, 1
	s_waitcnt lgkmcnt(0)
	v_add_f32_e32 v2, v2, v4
	v_lshl_add_u64 v[0:1], v[0:1], 2, s[0:1]
	global_store_dword v[0:1], v2, off
.LBB129_19:
	s_endpgm
	.section	.rodata,"a",@progbits
	.p2align	6, 0x0
	.amdhsa_kernel _ZL13mul_mat_f_idsI15__hip_bfloat162Li64ELi3ELi3EEvPKT_PKfPKiS7_S7_Pfiiiiiiiiiiiiii15HIP_vector_typeIjLj3EESA_
		.amdhsa_group_segment_fixed_size 0
		.amdhsa_private_segment_fixed_size 0
		.amdhsa_kernarg_size 128
		.amdhsa_user_sgpr_count 2
		.amdhsa_user_sgpr_dispatch_ptr 0
		.amdhsa_user_sgpr_queue_ptr 0
		.amdhsa_user_sgpr_kernarg_segment_ptr 1
		.amdhsa_user_sgpr_dispatch_id 0
		.amdhsa_user_sgpr_kernarg_preload_length 0
		.amdhsa_user_sgpr_kernarg_preload_offset 0
		.amdhsa_user_sgpr_private_segment_size 0
		.amdhsa_uses_dynamic_stack 0
		.amdhsa_enable_private_segment 0
		.amdhsa_system_sgpr_workgroup_id_x 1
		.amdhsa_system_sgpr_workgroup_id_y 1
		.amdhsa_system_sgpr_workgroup_id_z 1
		.amdhsa_system_sgpr_workgroup_info 0
		.amdhsa_system_vgpr_workitem_id 1
		.amdhsa_next_free_vgpr 100
		.amdhsa_next_free_sgpr 100
		.amdhsa_accum_offset 84
		.amdhsa_reserve_vcc 1
		.amdhsa_float_round_mode_32 0
		.amdhsa_float_round_mode_16_64 0
		.amdhsa_float_denorm_mode_32 3
		.amdhsa_float_denorm_mode_16_64 3
		.amdhsa_dx10_clamp 1
		.amdhsa_ieee_mode 1
		.amdhsa_fp16_overflow 0
		.amdhsa_tg_split 0
		.amdhsa_exception_fp_ieee_invalid_op 0
		.amdhsa_exception_fp_denorm_src 0
		.amdhsa_exception_fp_ieee_div_zero 0
		.amdhsa_exception_fp_ieee_overflow 0
		.amdhsa_exception_fp_ieee_underflow 0
		.amdhsa_exception_fp_ieee_inexact 0
		.amdhsa_exception_int_div_zero 0
	.end_amdhsa_kernel
	.section	.text._ZL13mul_mat_f_idsI15__hip_bfloat162Li64ELi3ELi3EEvPKT_PKfPKiS7_S7_Pfiiiiiiiiiiiiii15HIP_vector_typeIjLj3EESA_,"axG",@progbits,_ZL13mul_mat_f_idsI15__hip_bfloat162Li64ELi3ELi3EEvPKT_PKfPKiS7_S7_Pfiiiiiiiiiiiiii15HIP_vector_typeIjLj3EESA_,comdat
.Lfunc_end129:
	.size	_ZL13mul_mat_f_idsI15__hip_bfloat162Li64ELi3ELi3EEvPKT_PKfPKiS7_S7_Pfiiiiiiiiiiiiii15HIP_vector_typeIjLj3EESA_, .Lfunc_end129-_ZL13mul_mat_f_idsI15__hip_bfloat162Li64ELi3ELi3EEvPKT_PKfPKiS7_S7_Pfiiiiiiiiiiiiii15HIP_vector_typeIjLj3EESA_
                                        ; -- End function
	.set _ZL13mul_mat_f_idsI15__hip_bfloat162Li64ELi3ELi3EEvPKT_PKfPKiS7_S7_Pfiiiiiiiiiiiiii15HIP_vector_typeIjLj3EESA_.num_vgpr, 83
	.set _ZL13mul_mat_f_idsI15__hip_bfloat162Li64ELi3ELi3EEvPKT_PKfPKiS7_S7_Pfiiiiiiiiiiiiii15HIP_vector_typeIjLj3EESA_.num_agpr, 16
	.set _ZL13mul_mat_f_idsI15__hip_bfloat162Li64ELi3ELi3EEvPKT_PKfPKiS7_S7_Pfiiiiiiiiiiiiii15HIP_vector_typeIjLj3EESA_.numbered_sgpr, 100
	.set _ZL13mul_mat_f_idsI15__hip_bfloat162Li64ELi3ELi3EEvPKT_PKfPKiS7_S7_Pfiiiiiiiiiiiiii15HIP_vector_typeIjLj3EESA_.num_named_barrier, 0
	.set _ZL13mul_mat_f_idsI15__hip_bfloat162Li64ELi3ELi3EEvPKT_PKfPKiS7_S7_Pfiiiiiiiiiiiiii15HIP_vector_typeIjLj3EESA_.private_seg_size, 0
	.set _ZL13mul_mat_f_idsI15__hip_bfloat162Li64ELi3ELi3EEvPKT_PKfPKiS7_S7_Pfiiiiiiiiiiiiii15HIP_vector_typeIjLj3EESA_.uses_vcc, 1
	.set _ZL13mul_mat_f_idsI15__hip_bfloat162Li64ELi3ELi3EEvPKT_PKfPKiS7_S7_Pfiiiiiiiiiiiiii15HIP_vector_typeIjLj3EESA_.uses_flat_scratch, 0
	.set _ZL13mul_mat_f_idsI15__hip_bfloat162Li64ELi3ELi3EEvPKT_PKfPKiS7_S7_Pfiiiiiiiiiiiiii15HIP_vector_typeIjLj3EESA_.has_dyn_sized_stack, 0
	.set _ZL13mul_mat_f_idsI15__hip_bfloat162Li64ELi3ELi3EEvPKT_PKfPKiS7_S7_Pfiiiiiiiiiiiiii15HIP_vector_typeIjLj3EESA_.has_recursion, 0
	.set _ZL13mul_mat_f_idsI15__hip_bfloat162Li64ELi3ELi3EEvPKT_PKfPKiS7_S7_Pfiiiiiiiiiiiiii15HIP_vector_typeIjLj3EESA_.has_indirect_call, 0
	.section	.AMDGPU.csdata,"",@progbits
; Kernel info:
; codeLenInByte = 4888
; TotalNumSgprs: 106
; NumVgprs: 83
; NumAgprs: 16
; TotalNumVgprs: 100
; ScratchSize: 0
; MemoryBound: 0
; FloatMode: 240
; IeeeMode: 1
; LDSByteSize: 0 bytes/workgroup (compile time only)
; SGPRBlocks: 13
; VGPRBlocks: 12
; NumSGPRsForWavesPerEU: 106
; NumVGPRsForWavesPerEU: 100
; AccumOffset: 84
; Occupancy: 4
; WaveLimiterHint : 1
; COMPUTE_PGM_RSRC2:SCRATCH_EN: 0
; COMPUTE_PGM_RSRC2:USER_SGPR: 2
; COMPUTE_PGM_RSRC2:TRAP_HANDLER: 0
; COMPUTE_PGM_RSRC2:TGID_X_EN: 1
; COMPUTE_PGM_RSRC2:TGID_Y_EN: 1
; COMPUTE_PGM_RSRC2:TGID_Z_EN: 1
; COMPUTE_PGM_RSRC2:TIDIG_COMP_CNT: 1
; COMPUTE_PGM_RSRC3_GFX90A:ACCUM_OFFSET: 20
; COMPUTE_PGM_RSRC3_GFX90A:TG_SPLIT: 0
	.section	.text._ZL9mul_mat_fI15__hip_bfloat162Li64ELi3ELi3ELb1EEvPKT_PKfPKiPfiiiiiiiiiiiiiiii,"axG",@progbits,_ZL9mul_mat_fI15__hip_bfloat162Li64ELi3ELi3ELb1EEvPKT_PKfPKiPfiiiiiiiiiiiiiiii,comdat
	.globl	_ZL9mul_mat_fI15__hip_bfloat162Li64ELi3ELi3ELb1EEvPKT_PKfPKiPfiiiiiiiiiiiiiiii ; -- Begin function _ZL9mul_mat_fI15__hip_bfloat162Li64ELi3ELi3ELb1EEvPKT_PKfPKiPfiiiiiiiiiiiiiiii
	.p2align	8
	.type	_ZL9mul_mat_fI15__hip_bfloat162Li64ELi3ELi3ELb1EEvPKT_PKfPKiPfiiiiiiiiiiiiiiii,@function
_ZL9mul_mat_fI15__hip_bfloat162Li64ELi3ELi3ELb1EEvPKT_PKfPKiPfiiiiiiiiiiiiiiii: ; @_ZL9mul_mat_fI15__hip_bfloat162Li64ELi3ELi3ELb1EEvPKT_PKfPKiPfiiiiiiiiiiiiiiii
; %bb.0:
	s_load_dwordx8 s[12:19], s[0:1], 0x20
	s_waitcnt lgkmcnt(0)
	s_add_i32 s5, s13, 2
	s_mul_hi_i32 s5, s5, 0x55555556
	s_lshr_b32 s6, s5, 31
	s_add_i32 s5, s5, s6
	v_cvt_f32_u32_e32 v1, s5
	s_load_dwordx4 s[20:23], s[0:1], 0x44
	s_load_dword s6, s[0:1], 0x64
	s_add_u32 s30, s0, 0x60
	s_addc_u32 s31, s1, 0
	v_rcp_iflag_f32_e32 v1, v1
	s_sub_i32 s7, 0, s5
	s_waitcnt lgkmcnt(0)
	s_abs_i32 s33, s23
	v_cvt_f32_u32_e32 v5, s33
	v_mul_f32_e32 v1, 0x4f7ffffe, v1
	v_cvt_u32_f32_e32 v1, v1
	v_mul_lo_u32 v2, s7, v1
	v_mul_hi_u32 v2, v1, v2
	v_add_u32_e32 v1, v1, v2
	v_mul_hi_u32 v1, s6, v1
	v_mul_lo_u32 v2, v1, s5
	v_sub_u32_e32 v2, s6, v2
	v_add_u32_e32 v3, 1, v1
	v_subrev_u32_e32 v4, s5, v2
	v_cmp_le_u32_e32 vcc, s5, v2
	s_nop 1
	v_cndmask_b32_e32 v1, v1, v3, vcc
	v_cndmask_b32_e32 v2, v2, v4, vcc
	v_add_u32_e32 v3, 1, v1
	v_cmp_le_u32_e32 vcc, s5, v2
	v_rcp_iflag_f32_e32 v2, v5
	s_sub_i32 s5, 0, s33
	v_cndmask_b32_e32 v4, v1, v3, vcc
	v_cvt_f32_u32_e32 v1, v4
	v_sub_u32_e32 v5, 0, v4
	v_rcp_iflag_f32_e32 v3, v1
	v_mul_f32_e32 v1, 0x4f7ffffe, v2
	v_cvt_u32_f32_e32 v1, v1
	v_mul_f32_e32 v2, 0x4f7ffffe, v3
	v_cvt_u32_f32_e32 v2, v2
	v_mul_lo_u32 v3, s5, v1
	v_mul_hi_u32 v6, v1, v3
	v_bfe_u32 v3, v0, 10, 10
	v_mul_lo_u32 v5, v5, v2
	v_mul_hi_u32 v5, v2, v5
	v_add_u32_e32 v2, v2, v5
	v_mul_hi_u32 v5, s3, v2
	v_and_b32_e32 v2, 0x3ff, v0
	v_cmp_eq_u32_e32 vcc, 0, v2
	s_and_saveexec_b64 s[6:7], vcc
; %bb.1:
	v_mov_b32_e32 v7, 0x100
	v_lshl_add_u32 v7, v3, 2, v7
	v_mov_b32_e32 v8, -1
	ds_write_b32 v7, v8
; %bb.2:
	s_or_b64 exec, exec, s[6:7]
	v_add_u32_e32 v1, v1, v6
	v_mul_lo_u32 v6, v5, v4
	v_sub_u32_e32 v6, s3, v6
	v_add_u32_e32 v7, 1, v5
	v_sub_u32_e32 v8, v6, v4
	v_cmp_ge_u32_e32 vcc, v6, v4
	s_load_dwordx4 s[24:27], s[0:1], 0x54
	s_waitcnt lgkmcnt(0)
	s_abs_i32 s27, s4
	v_cndmask_b32_e32 v5, v5, v7, vcc
	v_cndmask_b32_e32 v6, v6, v8, vcc
	v_add_u32_e32 v7, 1, v5
	v_cmp_ge_u32_e32 vcc, v6, v4
	v_mov_b32_e32 v9, 0
	s_nop 0
	v_cndmask_b32_e32 v5, v5, v7, vcc
	v_mul_lo_u32 v4, v5, v4
	v_mul_lo_u32 v78, v5, 3
	v_sub_u32_e32 v8, s3, v4
	v_add_u32_e32 v4, v3, v78
	v_cmp_gt_i32_e64 s[8:9], s13, v4
	s_and_saveexec_b64 s[10:11], s[8:9]
	s_cbranch_execz .LBB130_10
; %bb.3:
	v_cmp_gt_i32_e32 vcc, s14, v2
	v_mov_b32_e32 v9, 0
	s_and_saveexec_b64 s[28:29], vcc
	s_cbranch_execz .LBB130_9
; %bb.4:
	s_load_dwordx2 s[6:7], s[0:1], 0x10
	v_mul_hi_i32 v5, v78, s19
	v_mul_lo_u32 v4, v78, s19
	v_mul_lo_u32 v6, v3, s19
	v_lshlrev_b64 v[4:5], 2, v[4:5]
	s_waitcnt lgkmcnt(0)
	v_lshl_add_u64 v[4:5], s[6:7], 0, v[4:5]
	v_ashrrev_i32_e32 v7, 31, v6
	v_lshl_add_u64 v[4:5], v[6:7], 2, v[4:5]
	v_mov_b32_e32 v6, 0x100
	v_lshl_add_u32 v10, v3, 2, v6
	v_mul_lo_u32 v6, v2, s18
	s_lshl_b32 s3, s18, 6
	v_mov_b32_e32 v9, 0
	s_mov_b64 s[18:19], 0
	v_mov_b32_e32 v11, v2
	s_branch .LBB130_6
.LBB130_5:                              ;   in Loop: Header=BB130_6 Depth=1
	s_or_b64 exec, exec, s[34:35]
	v_add_u32_e32 v11, 64, v11
	v_cmp_le_i32_e64 s[6:7], s14, v11
	s_xor_b64 s[34:35], vcc, -1
	s_or_b64 s[6:7], s[34:35], s[6:7]
	s_and_b64 s[6:7], exec, s[6:7]
	s_or_b64 s[18:19], s[6:7], s[18:19]
	v_add_u32_e32 v6, s3, v6
	s_andn2_b64 exec, exec, s[18:19]
	s_cbranch_execz .LBB130_8
.LBB130_6:                              ; =>This Inner Loop Header: Depth=1
	v_ashrrev_i32_e32 v7, 31, v6
	v_lshl_add_u64 v[12:13], v[6:7], 2, v[4:5]
	global_load_dword v7, v[12:13], off
	s_waitcnt vmcnt(0)
	v_cmp_ne_u32_e32 vcc, v7, v8
	v_cmp_eq_u32_e64 s[6:7], v7, v8
	s_and_saveexec_b64 s[34:35], s[6:7]
	s_cbranch_execz .LBB130_5
; %bb.7:                                ;   in Loop: Header=BB130_6 Depth=1
	v_mov_b32_e32 v9, 1
	ds_write_b32 v10, v11
	s_branch .LBB130_5
.LBB130_8:
	s_or_b64 exec, exec, s[18:19]
.LBB130_9:
	s_or_b64 exec, exec, s[28:29]
.LBB130_10:
	s_or_b64 exec, exec, s[10:11]
	s_load_dwordx2 s[18:19], s[30:31], 0xc
	s_load_dwordx2 s[28:29], s[0:1], 0x8
	;; [unrolled: 1-line block ×3, first 2 shown]
	v_mul_hi_u32 v4, s27, v1
	v_or_b32_dpp v1, v9, v9 row_shl:1 row_mask:0xf bank_mask:0xf bound_ctrl:1
	s_waitcnt lgkmcnt(0)
	s_lshr_b32 s6, s18, 16
	s_and_b32 s5, s18, 0xffff
	v_or_b32_dpp v1, v1, v1 row_shl:2 row_mask:0xf bank_mask:0xf bound_ctrl:1
	s_mul_i32 s7, s6, s5
	s_and_b32 s3, s19, 0xffff
	v_or_b32_dpp v1, v1, v1 row_shl:4 row_mask:0xf bank_mask:0xf bound_ctrl:1
	s_bfe_i32 s7, s7, 0x180000
	s_mul_i32 s3, s7, s3
	v_or_b32_dpp v1, v1, v1 row_shl:8 row_mask:0xf bank_mask:0xf bound_ctrl:1
	s_add_i32 s7, s3, 63
	s_bitcmp1_b32 exec_hi, 0
	v_mov_b32_dpp v5, v1 wave_shl:1 row_mask:0xf bank_mask:0xf bound_ctrl:1
	s_nop 1
	v_or_b32_dpp v1, v5, v1 row_mirror row_mask:0xf bank_mask:0xf bound_ctrl:1
	s_nop 0
	v_readlane_b32 s3, v1, 32
	s_cselect_b32 s3, s3, 0
	v_readlane_b32 s14, v1, 0
	s_or_b32 s3, s3, s14
	s_andn2_b32 s7, s7, 63
	s_cmp_lg_u32 s7, 64
	v_mov_b32_e32 v1, s3
	s_cbranch_scc0 .LBB130_17
; %bb.11:
	v_bfe_u32 v0, v0, 20, 10
	v_mbcnt_lo_u32_b32 v1, -1, 0
	v_mad_u32_u24 v0, v0, s6, v3
	v_mbcnt_hi_u32_b32 v5, -1, v1
	v_mad_u64_u32 v[0:1], s[6:7], v0, s5, v[2:3]
	v_lshrrev_b32_e32 v1, 6, v0
	v_or_b32_e32 v1, v5, v1
	v_cmp_eq_u32_e32 vcc, 0, v1
	s_and_saveexec_b64 s[6:7], vcc
; %bb.12:
	v_mov_b32_e32 v1, 0
	v_mov_b32_e32 v6, s3
	ds_write_b32 v1, v6
; %bb.13:
	s_or_b64 exec, exec, s[6:7]
	v_cmp_eq_u32_e32 vcc, 0, v5
	v_cmp_lt_u32_e64 s[6:7], 63, v0
	s_and_b64 s[18:19], s[6:7], vcc
	s_waitcnt lgkmcnt(0)
	s_barrier
	s_and_saveexec_b64 s[6:7], s[18:19]
	s_cbranch_execz .LBB130_16
; %bb.14:
	v_mbcnt_lo_u32_b32 v0, exec_lo, 0
	v_mbcnt_hi_u32_b32 v0, exec_hi, v0
	v_cmp_eq_u32_e32 vcc, 0, v0
	s_and_b64 exec, exec, vcc
; %bb.15:
	v_mov_b32_e32 v0, 0
	v_mov_b32_e32 v1, s3
	ds_or_b32 v0, v1
.LBB130_16:
	s_or_b64 exec, exec, s[6:7]
	v_mov_b32_e32 v0, 0
	s_waitcnt lgkmcnt(0)
	s_barrier
	ds_read_b32 v1, v0
	s_waitcnt lgkmcnt(0)
	s_barrier
.LBB130_17:
	s_load_dwordx2 s[0:1], s[0:1], 0x0
	v_cmp_ne_u32_e32 vcc, 0, v1
	s_ashr_i32 s3, s4, 31
	s_ashr_i32 s14, s23, 31
	s_cbranch_vccz .LBB130_40
; %bb.18:
	v_lshlrev_b32_e32 v79, 6, v3
	v_add_u32_e32 v81, v79, v2
	v_cmp_le_i32_e32 vcc, s12, v81
	v_and_b32_e32 v80, 15, v2
	s_and_saveexec_b64 s[6:7], vcc
	s_xor_b64 s[6:7], exec, s[6:7]
; %bb.19:
	v_and_b32_e32 v80, 15, v2
                                        ; implicit-def: $vgpr81
                                        ; implicit-def: $vgpr4
                                        ; implicit-def: $vgpr8
; %bb.20:
	s_or_saveexec_b64 s[18:19], s[6:7]
	s_lshl_b32 s5, s2, 6
	v_mov_b32_e32 v1, 0
	v_accvgpr_write_b32 a0, 0
	v_accvgpr_write_b32 a1, 0
	;; [unrolled: 1-line block ×16, first 2 shown]
	s_xor_b64 exec, exec, s[18:19]
	s_cbranch_execz .LBB130_36
; %bb.21:
	v_mul_lo_u32 v0, v4, s33
	v_sub_u32_e32 v0, s27, v0
	v_add_u32_e32 v5, 1, v4
	v_subrev_u32_e32 v6, s33, v0
	v_cmp_le_u32_e32 vcc, s33, v0
	s_xor_b32 s2, s3, s14
	s_movk_i32 s6, 0x1080
	v_cndmask_b32_e32 v4, v4, v5, vcc
	v_cndmask_b32_e32 v0, v0, v6, vcc
	v_add_u32_e32 v5, 1, v4
	v_cmp_le_u32_e32 vcc, s33, v0
	v_mov_b32_e32 v82, 0x100
	v_mul_lo_u32 v6, v8, s20
	v_cndmask_b32_e32 v0, v4, v5, vcc
	v_xor_b32_e32 v0, s2, v0
	v_subrev_u32_e32 v0, s2, v0
	s_mul_i32 s2, s15, s5
	v_mul_hi_i32 v5, v0, s24
	v_mul_lo_u32 v4, v0, s24
	s_ashr_i32 s3, s2, 31
	v_mad_u32_u24 v0, v3, s6, v82
	s_mul_hi_i32 s7, s25, s4
	s_mul_i32 s6, s25, s4
	v_ashrrev_i32_e32 v7, 31, v6
	v_lshlrev_b64 v[8:9], 2, v[4:5]
	s_lshl_b64 s[2:3], s[2:3], 2
	s_lshl_b64 s[6:7], s[6:7], 2
	v_lshrrev_b32_e32 v13, 1, v2
	s_waitcnt lgkmcnt(0)
	v_lshl_add_u64 v[4:5], s[0:1], 0, v[8:9]
	v_lshlrev_b64 v[10:11], 2, v[6:7]
	v_mul_hi_i32 v7, s16, v78
	v_mul_lo_u32 v6, s16, v78
	s_add_u32 s6, s28, s6
	v_mul_u32_u24_e32 v12, 0x108, v80
	v_and_b32_e32 v13, 0x1f8, v13
	v_lshl_add_u64 v[8:9], v[8:9], 0, s[2:3]
	v_lshlrev_b64 v[6:7], 3, v[6:7]
	s_addc_u32 s7, s29, s7
	v_lshl_add_u32 v83, v2, 2, v0
	v_add3_u32 v84, v0, v12, v13
	v_lshl_add_u64 v[8:9], v[8:9], 0, v[10:11]
	v_lshlrev_b32_e32 v0, 1, v2
	v_lshl_add_u64 v[4:5], v[4:5], 0, v[10:11]
	v_lshl_add_u64 v[6:7], s[6:7], 0, v[6:7]
	v_add_u32_e32 v12, 1, v78
	v_add_u32_e32 v13, 2, v78
	s_ashr_i32 s7, s15, 31
	s_mov_b32 s6, s15
	v_lshl_add_u64 v[8:9], s[0:1], 0, v[8:9]
	v_lshl_add_u32 v85, v3, 7, v0
	v_lshlrev_b32_e32 v0, 2, v81
	v_lshl_add_u64 v[4:5], v[4:5], 0, s[2:3]
	s_lshl_b32 s20, s16, 2
	s_add_i32 s23, s15, s15
	s_mul_i32 s27, s15, 3
	s_lshl_b32 s30, s15, 2
	s_mul_i32 s31, s15, 5
	s_mul_i32 s33, s15, 6
	;; [unrolled: 1-line block ×3, first 2 shown]
	s_lshl_b32 s35, s15, 3
	s_mul_i32 s36, s15, 9
	s_mul_i32 s37, s15, 10
	;; [unrolled: 1-line block ×7, first 2 shown]
	s_lshl_b32 s43, s15, 4
	s_mul_i32 s44, s15, 17
	s_mul_i32 s45, s15, 18
	s_mul_i32 s46, s15, 19
	s_mul_i32 s47, s15, 20
	s_mul_i32 s48, s15, 21
	s_mul_i32 s49, s15, 22
	s_mul_i32 s50, s15, 23
	s_mul_i32 s51, s15, 24
	s_mul_i32 s52, s15, 25
	s_mul_i32 s53, s15, 26
	s_mul_i32 s54, s15, 27
	s_mul_i32 s55, s15, 28
	s_mul_i32 s56, s15, 29
	s_mul_i32 s57, s15, 30
	s_mul_i32 s58, s15, 31
	s_lshl_b32 s59, s15, 5
	s_mul_i32 s60, s15, 33
	s_mul_i32 s61, s15, 34
	;; [unrolled: 1-line block ×22, first 2 shown]
	v_cmp_gt_i32_e64 s[2:3], s13, v78
	s_mul_i32 s82, s15, 55
	s_mul_i32 s83, s15, 56
	s_lshl_b64 s[24:25], s[6:7], 2
	v_accvgpr_write_b32 a15, 0
	v_accvgpr_write_b32 a14, 0
	;; [unrolled: 1-line block ×16, first 2 shown]
	v_lshl_add_u64 v[8:9], v[8:9], 0, v[0:1]
	s_mul_i32 s84, s15, 57
	s_mul_i32 s85, s15, 58
	;; [unrolled: 1-line block ×7, first 2 shown]
	s_lshl_b32 s16, s16, 1
	v_cmp_gt_i32_e64 s[0:1], s13, v12
	v_cmp_gt_i32_e64 s[6:7], s13, v13
	s_mov_b64 s[14:15], 0
	s_mov_b64 s[28:29], 0x300
	s_branch .LBB130_24
.LBB130_22:                             ;   in Loop: Header=BB130_24 Depth=1
	v_mul_lo_u32 v0, v0, s21
	v_add_u32_e32 v0, s20, v0
	v_add_u32_e32 v74, v0, v85
	v_ashrrev_i32_e32 v75, 31, v74
	v_lshl_add_u64 v[74:75], v[74:75], 2, v[6:7]
	global_load_dwordx2 v[74:75], v[74:75], off
.LBB130_23:                             ;   in Loop: Header=BB130_24 Depth=1
	s_waitcnt vmcnt(0)
	v_cvt_pk_bf16_f32 v0, v74, v75
	ds_write2_b32 v83, v0, v1 offset0:148 offset1:214
	v_add_u32_e32 v0, 0x400, v83
	ds_write2_b32 v0, v1, v1 offset0:24 offset1:90
	ds_write2_b32 v0, v1, v1 offset0:156 offset1:222
	v_add_u32_e32 v0, 0x800, v83
	ds_write2_b32 v0, v1, v1 offset0:32 offset1:98
	;; [unrolled: 3-line block ×3, first 2 shown]
	ds_write2_b32 v0, v1, v1 offset0:172 offset1:238
	ds_read2_b64 v[74:77], v84 offset0:8 offset1:12
	v_add_u32_e32 v81, 0xc0, v81
	s_waitcnt lgkmcnt(0)
	v_mfma_f32_16x16x16_bf16 a[8:11], v[42:43], v[74:75], a[8:11]
	v_cmp_le_i32_e32 vcc, s12, v81
	v_add_u32_e32 v85, 0x180, v85
	v_lshl_add_u64 v[8:9], v[8:9], 0, s[28:29]
	v_mfma_f32_16x16x16_bf16 a[12:15], v[28:29], v[74:75], a[12:15]
	s_or_b64 s[14:15], vcc, s[14:15]
	v_mfma_f32_16x16x16_bf16 a[4:7], v[56:57], v[74:75], a[4:7]
	v_mfma_f32_16x16x16_bf16 a[0:3], v[72:73], v[74:75], a[0:3]
	v_mfma_f32_16x16x16_bf16 a[8:11], v[40:41], v[76:77], a[8:11]
	ds_read2_b64 v[40:43], v84 offset0:16 offset1:20
	v_mfma_f32_16x16x16_bf16 a[12:15], v[22:23], v[76:77], a[12:15]
	v_mfma_f32_16x16x16_bf16 a[4:7], v[54:55], v[76:77], a[4:7]
	v_mfma_f32_16x16x16_bf16 a[0:3], v[70:71], v[76:77], a[0:3]
	s_waitcnt lgkmcnt(0)
	v_mfma_f32_16x16x16_bf16 a[12:15], v[20:21], v[40:41], a[12:15]
	v_mfma_f32_16x16x16_bf16 a[8:11], v[36:37], v[40:41], a[8:11]
	v_mfma_f32_16x16x16_bf16 a[4:7], v[52:53], v[40:41], a[4:7]
	v_mfma_f32_16x16x16_bf16 a[0:3], v[68:69], v[40:41], a[0:3]
	v_mfma_f32_16x16x16_bf16 a[12:15], v[18:19], v[42:43], a[12:15]
	ds_read2_b64 v[18:21], v84 offset0:24 offset1:28
	v_mfma_f32_16x16x16_bf16 a[8:11], v[34:35], v[42:43], a[8:11]
	v_mfma_f32_16x16x16_bf16 a[4:7], v[50:51], v[42:43], a[4:7]
	v_mfma_f32_16x16x16_bf16 a[0:3], v[66:67], v[42:43], a[0:3]
	s_waitcnt lgkmcnt(0)
	v_mfma_f32_16x16x16_bf16 a[12:15], v[16:17], v[18:19], a[12:15]
	v_mfma_f32_16x16x16_bf16 a[8:11], v[32:33], v[18:19], a[8:11]
	;; [unrolled: 10-line block ×3, first 2 shown]
	v_mfma_f32_16x16x16_bf16 a[4:7], v[44:45], v[14:15], a[4:7]
	v_mfma_f32_16x16x16_bf16 a[0:3], v[60:61], v[14:15], a[0:3]
	v_mfma_f32_16x16x16_bf16 a[12:15], v[10:11], v[16:17], a[12:15]
	v_mfma_f32_16x16x16_bf16 a[8:11], v[24:25], v[16:17], a[8:11]
	v_mfma_f32_16x16x16_bf16 a[4:7], v[38:39], v[16:17], a[4:7]
	v_mfma_f32_16x16x16_bf16 a[0:3], v[58:59], v[16:17], a[0:3]
	s_andn2_b64 exec, exec, s[14:15]
	s_cbranch_execz .LBB130_35
.LBB130_24:                             ; =>This Inner Loop Header: Depth=1
	v_lshl_add_u64 v[10:11], v[8:9], 0, s[24:25]
	global_load_dword v0, v[8:9], off
	global_load_dword v26, v[10:11], off
	v_add_u32_e32 v10, s23, v81
	v_add_u32_e32 v14, s30, v81
	;; [unrolled: 1-line block ×5, first 2 shown]
	v_ashrrev_i32_e32 v11, 31, v10
	v_add_u32_e32 v12, s27, v81
	v_ashrrev_i32_e32 v15, 31, v14
	v_ashrrev_i32_e32 v17, 31, v16
	;; [unrolled: 1-line block ×3, first 2 shown]
	v_add_u32_e32 v20, s34, v81
	v_ashrrev_i32_e32 v23, 31, v22
	v_add_u32_e32 v24, s36, v81
	v_lshl_add_u64 v[10:11], v[10:11], 2, v[4:5]
	v_ashrrev_i32_e32 v13, 31, v12
	v_lshl_add_u64 v[14:15], v[14:15], 2, v[4:5]
	v_lshl_add_u64 v[16:17], v[16:17], 2, v[4:5]
	;; [unrolled: 1-line block ×3, first 2 shown]
	v_ashrrev_i32_e32 v21, 31, v20
	v_lshl_add_u64 v[22:23], v[22:23], 2, v[4:5]
	v_ashrrev_i32_e32 v25, 31, v24
	v_lshl_add_u64 v[12:13], v[12:13], 2, v[4:5]
	v_lshl_add_u64 v[20:21], v[20:21], 2, v[4:5]
	v_lshl_add_u64 v[24:25], v[24:25], 2, v[4:5]
	global_load_dword v27, v[10:11], off
	global_load_dword v28, v[12:13], off
	;; [unrolled: 1-line block ×6, first 2 shown]
	s_nop 0
	global_load_dword v22, v[22:23], off
	s_nop 0
	global_load_dword v23, v[24:25], off
	v_add_u32_e32 v10, s37, v81
	v_add_u32_e32 v14, s39, v81
	;; [unrolled: 1-line block ×4, first 2 shown]
	v_ashrrev_i32_e32 v11, 31, v10
	v_add_u32_e32 v12, s38, v81
	v_ashrrev_i32_e32 v15, 31, v14
	v_ashrrev_i32_e32 v17, 31, v16
	;; [unrolled: 1-line block ×3, first 2 shown]
	v_add_u32_e32 v20, s42, v81
	v_lshl_add_u64 v[10:11], v[10:11], 2, v[4:5]
	v_ashrrev_i32_e32 v13, 31, v12
	v_lshl_add_u64 v[14:15], v[14:15], 2, v[4:5]
	v_lshl_add_u64 v[16:17], v[16:17], 2, v[4:5]
	;; [unrolled: 1-line block ×3, first 2 shown]
	v_ashrrev_i32_e32 v21, 31, v20
	v_lshl_add_u64 v[12:13], v[12:13], 2, v[4:5]
	v_lshl_add_u64 v[20:21], v[20:21], 2, v[4:5]
	global_load_dword v24, v[10:11], off
	global_load_dword v25, v[12:13], off
	s_nop 0
	global_load_dword v15, v[14:15], off
	s_nop 0
	;; [unrolled: 2-line block ×4, first 2 shown]
	global_load_dword v18, v[20:21], off
	v_add_u32_e32 v10, s43, v81
	v_add_u32_e32 v12, s44, v81
	v_ashrrev_i32_e32 v11, 31, v10
	v_add_u32_e32 v14, s45, v81
	v_ashrrev_i32_e32 v13, 31, v12
	v_lshl_add_u64 v[10:11], v[10:11], 2, v[4:5]
	v_lshl_add_u64 v[12:13], v[12:13], 2, v[4:5]
	global_load_dword v33, v[10:11], off
	global_load_dword v34, v[12:13], off
	v_add_u32_e32 v12, s46, v81
	v_add_u32_e32 v20, s50, v81
	v_ashrrev_i32_e32 v13, 31, v12
	v_ashrrev_i32_e32 v21, 31, v20
	v_lshl_add_u64 v[12:13], v[12:13], 2, v[4:5]
	v_lshl_add_u64 v[20:21], v[20:21], 2, v[4:5]
	s_andn2_b64 vcc, exec, s[2:3]
	v_mov_b32_e32 v76, 0
	v_mov_b32_e32 v77, 0
	s_waitcnt vmcnt(17)
	ds_write_b32 v83, v0 offset:64
	s_waitcnt vmcnt(16)
	ds_write_b32 v83, v26 offset:328
	;; [unrolled: 2-line block ×16, first 2 shown]
	v_ashrrev_i32_e32 v15, 31, v14
	v_lshl_add_u64 v[10:11], v[14:15], 2, v[4:5]
	v_add_u32_e32 v14, s47, v81
	v_add_u32_e32 v16, s48, v81
	;; [unrolled: 1-line block ×5, first 2 shown]
	v_ashrrev_i32_e32 v15, 31, v14
	v_ashrrev_i32_e32 v17, 31, v16
	;; [unrolled: 1-line block ×5, first 2 shown]
	v_lshl_add_u64 v[14:15], v[14:15], 2, v[4:5]
	v_lshl_add_u64 v[16:17], v[16:17], 2, v[4:5]
	v_lshl_add_u64 v[18:19], v[18:19], 2, v[4:5]
	v_lshl_add_u64 v[22:23], v[22:23], 2, v[4:5]
	v_lshl_add_u64 v[24:25], v[24:25], 2, v[4:5]
	global_load_dword v0, v[10:11], off
	global_load_dword v26, v[12:13], off
	global_load_dword v27, v[14:15], off
	global_load_dword v30, v[16:17], off
	global_load_dword v31, v[18:19], off
	global_load_dword v32, v[20:21], off
	global_load_dword v35, v[22:23], off
	global_load_dword v36, v[24:25], off
	v_add_u32_e32 v10, s53, v81
	v_ashrrev_i32_e32 v11, 31, v10
	v_add_u32_e32 v12, s54, v81
	v_add_u32_e32 v14, s55, v81
	v_add_u32_e32 v16, s56, v81
	v_add_u32_e32 v18, s57, v81
	v_add_u32_e32 v20, s58, v81
	v_add_u32_e32 v22, s59, v81
	v_add_u32_e32 v24, s60, v81
	v_lshl_add_u64 v[10:11], v[10:11], 2, v[4:5]
	v_ashrrev_i32_e32 v13, 31, v12
	v_ashrrev_i32_e32 v15, 31, v14
	v_ashrrev_i32_e32 v17, 31, v16
	v_ashrrev_i32_e32 v19, 31, v18
	v_ashrrev_i32_e32 v21, 31, v20
	v_ashrrev_i32_e32 v23, 31, v22
	v_ashrrev_i32_e32 v25, 31, v24
	v_lshl_add_u64 v[12:13], v[12:13], 2, v[4:5]
	v_lshl_add_u64 v[14:15], v[14:15], 2, v[4:5]
	v_lshl_add_u64 v[16:17], v[16:17], 2, v[4:5]
	v_lshl_add_u64 v[18:19], v[18:19], 2, v[4:5]
	v_lshl_add_u64 v[20:21], v[20:21], 2, v[4:5]
	v_lshl_add_u64 v[22:23], v[22:23], 2, v[4:5]
	v_lshl_add_u64 v[24:25], v[24:25], 2, v[4:5]
	global_load_dword v37, v[10:11], off
	global_load_dword v38, v[12:13], off
	global_load_dword v39, v[14:15], off
	global_load_dword v40, v[16:17], off
	global_load_dword v41, v[18:19], off
	global_load_dword v42, v[20:21], off
	global_load_dword v44, v[22:23], off
	global_load_dword v45, v[24:25], off
	v_add_u32_e32 v10, s61, v81
	v_ashrrev_i32_e32 v11, 31, v10
	v_add_u32_e32 v12, s62, v81
	v_add_u32_e32 v14, s63, v81
	v_add_u32_e32 v16, s64, v81
	v_add_u32_e32 v18, s65, v81
	v_add_u32_e32 v20, s66, v81
	v_add_u32_e32 v22, s67, v81
	v_add_u32_e32 v24, s68, v81
	v_lshl_add_u64 v[10:11], v[10:11], 2, v[4:5]
	v_ashrrev_i32_e32 v13, 31, v12
	v_ashrrev_i32_e32 v15, 31, v14
	v_ashrrev_i32_e32 v17, 31, v16
	v_ashrrev_i32_e32 v19, 31, v18
	v_ashrrev_i32_e32 v21, 31, v20
	v_ashrrev_i32_e32 v23, 31, v22
	v_ashrrev_i32_e32 v25, 31, v24
	v_lshl_add_u64 v[12:13], v[12:13], 2, v[4:5]
	v_lshl_add_u64 v[14:15], v[14:15], 2, v[4:5]
	;; [unrolled: 32-line block ×4, first 2 shown]
	v_lshl_add_u64 v[16:17], v[16:17], 2, v[4:5]
	v_lshl_add_u64 v[18:19], v[18:19], 2, v[4:5]
	;; [unrolled: 1-line block ×5, first 2 shown]
	global_load_dword v62, v[10:11], off
	global_load_dword v63, v[12:13], off
	;; [unrolled: 1-line block ×8, first 2 shown]
	v_add_u32_e32 v10, s85, v81
	v_ashrrev_i32_e32 v11, 31, v10
	v_add_u32_e32 v12, s86, v81
	v_lshl_add_u64 v[10:11], v[10:11], 2, v[4:5]
	v_ashrrev_i32_e32 v13, 31, v12
	v_lshl_add_u64 v[12:13], v[12:13], 2, v[4:5]
	global_load_dword v70, v[10:11], off
	global_load_dword v71, v[12:13], off
	v_add_u32_e32 v10, s87, v81
	v_ashrrev_i32_e32 v11, 31, v10
	v_add_u32_e32 v12, s88, v81
	v_add_u32_e32 v14, s89, v81
	;; [unrolled: 1-line block ×3, first 2 shown]
	v_lshl_add_u64 v[10:11], v[10:11], 2, v[4:5]
	v_ashrrev_i32_e32 v13, 31, v12
	v_ashrrev_i32_e32 v15, 31, v14
	;; [unrolled: 1-line block ×3, first 2 shown]
	v_lshl_add_u64 v[12:13], v[12:13], 2, v[4:5]
	v_lshl_add_u64 v[14:15], v[14:15], 2, v[4:5]
	;; [unrolled: 1-line block ×3, first 2 shown]
	global_load_dword v72, v[10:11], off
	global_load_dword v73, v[12:13], off
	;; [unrolled: 1-line block ×4, first 2 shown]
	ds_read_b64 v[28:29], v84 offset:64
	ds_read_b64 v[22:23], v84 offset:96
	ds_read_b64 v[20:21], v84 offset:128
	ds_read_b64 v[18:19], v84 offset:160
	ds_read_b64 v[16:17], v84 offset:192
	ds_read_b64 v[14:15], v84 offset:224
	ds_read_b64 v[12:13], v84 offset:256
	ds_read_b64 v[10:11], v84 offset:288
	s_waitcnt vmcnt(47)
	ds_write_b32 v83, v33 offset:64
	s_waitcnt vmcnt(46)
	ds_write_b32 v83, v34 offset:328
	s_waitcnt vmcnt(45)
	ds_write_b32 v83, v0 offset:592
	s_waitcnt vmcnt(44)
	ds_write_b32 v83, v26 offset:856
	s_waitcnt vmcnt(43)
	ds_write_b32 v83, v27 offset:1120
	s_waitcnt vmcnt(42)
	ds_write_b32 v83, v30 offset:1384
	s_waitcnt vmcnt(41)
	ds_write_b32 v83, v31 offset:1648
	s_waitcnt vmcnt(40)
	ds_write_b32 v83, v32 offset:1912
	s_waitcnt vmcnt(39)
	ds_write_b32 v83, v35 offset:2176
	s_waitcnt vmcnt(38)
	ds_write_b32 v83, v36 offset:2440
	s_waitcnt vmcnt(37)
	ds_write_b32 v83, v37 offset:2704
	s_waitcnt vmcnt(36)
	ds_write_b32 v83, v38 offset:2968
	s_waitcnt vmcnt(35)
	ds_write_b32 v83, v39 offset:3232
	s_waitcnt vmcnt(34)
	ds_write_b32 v83, v40 offset:3496
	s_waitcnt vmcnt(33)
	ds_write_b32 v83, v41 offset:3760
	s_waitcnt vmcnt(32)
	ds_write_b32 v83, v42 offset:4024
	ds_read_b64 v[42:43], v84 offset:64
	ds_read_b64 v[40:41], v84 offset:96
	ds_read_b64 v[36:37], v84 offset:128
	ds_read_b64 v[34:35], v84 offset:160
	ds_read_b64 v[32:33], v84 offset:192
	ds_read_b64 v[30:31], v84 offset:224
	ds_read_b64 v[26:27], v84 offset:256
	ds_read_b64 v[24:25], v84 offset:288
	s_waitcnt vmcnt(31)
	ds_write_b32 v83, v44 offset:64
	s_waitcnt vmcnt(30)
	ds_write_b32 v83, v45 offset:328
	s_waitcnt vmcnt(29)
	ds_write_b32 v83, v46 offset:592
	s_waitcnt vmcnt(28)
	ds_write_b32 v83, v47 offset:856
	s_waitcnt vmcnt(27)
	ds_write_b32 v83, v48 offset:1120
	s_waitcnt vmcnt(26)
	ds_write_b32 v83, v49 offset:1384
	s_waitcnt vmcnt(25)
	ds_write_b32 v83, v50 offset:1648
	s_waitcnt vmcnt(24)
	ds_write_b32 v83, v51 offset:1912
	s_waitcnt vmcnt(23)
	ds_write_b32 v83, v52 offset:2176
	s_waitcnt vmcnt(22)
	ds_write_b32 v83, v53 offset:2440
	s_waitcnt vmcnt(21)
	ds_write_b32 v83, v54 offset:2704
	s_waitcnt vmcnt(20)
	ds_write_b32 v83, v55 offset:2968
	s_waitcnt vmcnt(19)
	ds_write_b32 v83, v56 offset:3232
	s_waitcnt vmcnt(18)
	ds_write_b32 v83, v57 offset:3496
	s_waitcnt vmcnt(17)
	ds_write_b32 v83, v58 offset:3760
	s_waitcnt vmcnt(16)
	ds_write_b32 v83, v59 offset:4024
	;; [unrolled: 40-line block ×3, first 2 shown]
	ds_read_b64 v[72:73], v84 offset:64
	ds_read_b64 v[70:71], v84 offset:96
	ds_read_b64 v[68:69], v84 offset:128
	ds_read_b64 v[66:67], v84 offset:160
	ds_read_b64 v[64:65], v84 offset:192
	ds_read_b64 v[62:63], v84 offset:224
	ds_read_b64 v[60:61], v84 offset:256
	ds_read_b64 v[58:59], v84 offset:288
	v_mov_b32_e32 v74, 0
	s_cbranch_vccnz .LBB130_28
; %bb.25:                               ;   in Loop: Header=BB130_24 Depth=1
	ds_read_b32 v0, v82
	s_waitcnt lgkmcnt(0)
	v_cmp_gt_i32_e32 vcc, 0, v0
	s_cbranch_vccnz .LBB130_27
; %bb.26:                               ;   in Loop: Header=BB130_24 Depth=1
	v_mul_lo_u32 v0, v0, s21
	v_add_u32_e32 v76, v85, v0
	v_ashrrev_i32_e32 v77, 31, v76
	v_lshl_add_u64 v[76:77], v[76:77], 2, v[6:7]
	global_load_dwordx2 v[76:77], v[76:77], off
	s_branch .LBB130_28
.LBB130_27:                             ;   in Loop: Header=BB130_24 Depth=1
	v_mov_b32_e32 v76, 0
	v_mov_b32_e32 v77, 0
.LBB130_28:                             ;   in Loop: Header=BB130_24 Depth=1
	s_waitcnt vmcnt(0)
	v_cvt_pk_bf16_f32 v0, v76, v77
	s_andn2_b64 vcc, exec, s[0:1]
	v_mov_b32_e32 v76, 0
	v_mov_b32_e32 v77, 0
	ds_write_b32 v83, v0 offset:64
	s_cbranch_vccnz .LBB130_32
; %bb.29:                               ;   in Loop: Header=BB130_24 Depth=1
	ds_read_b32 v0, v82 offset:4
	s_waitcnt lgkmcnt(0)
	v_cmp_gt_i32_e32 vcc, 0, v0
	s_cbranch_vccnz .LBB130_31
; %bb.30:                               ;   in Loop: Header=BB130_24 Depth=1
	v_mul_lo_u32 v0, v0, s21
	v_add_u32_e32 v0, s16, v0
	v_add_u32_e32 v76, v0, v85
	v_ashrrev_i32_e32 v77, 31, v76
	v_lshl_add_u64 v[76:77], v[76:77], 2, v[6:7]
	global_load_dwordx2 v[76:77], v[76:77], off
	s_branch .LBB130_32
.LBB130_31:                             ;   in Loop: Header=BB130_24 Depth=1
	v_mov_b32_e32 v76, 0
	v_mov_b32_e32 v77, 0
.LBB130_32:                             ;   in Loop: Header=BB130_24 Depth=1
	s_waitcnt vmcnt(0)
	v_cvt_pk_bf16_f32 v0, v76, v77
	s_andn2_b64 vcc, exec, s[6:7]
	v_mov_b32_e32 v75, 0
	ds_write_b32 v83, v0 offset:328
	s_cbranch_vccnz .LBB130_23
; %bb.33:                               ;   in Loop: Header=BB130_24 Depth=1
	ds_read_b32 v0, v82 offset:8
	s_waitcnt lgkmcnt(0)
	v_cmp_gt_i32_e32 vcc, 0, v0
	s_cbranch_vccz .LBB130_22
; %bb.34:                               ;   in Loop: Header=BB130_24 Depth=1
	v_mov_b32_e32 v74, 0
	v_mov_b32_e32 v75, 0
	s_branch .LBB130_23
.LBB130_35:
	s_or_b64 exec, exec, s[14:15]
.LBB130_36:
	s_or_b64 exec, exec, s[18:19]
	v_mov_b32_e32 v0, 0x100
	v_lshl_add_u32 v4, v79, 2, v0
	v_mul_u32_u24_e32 v0, 0x308, v80
	v_and_b32_e32 v1, 0x3f0, v2
	v_add3_u32 v0, v4, v0, v1
	v_accvgpr_read_b32 v1, a13
	v_accvgpr_read_b32 v5, a12
	s_waitcnt lgkmcnt(0)
	s_barrier
	ds_write2_b32 v0, v5, v1 offset0:16 offset1:17
	v_accvgpr_read_b32 v1, a15
	v_accvgpr_read_b32 v5, a14
	ds_write2_b32 v0, v5, v1 offset0:18 offset1:19
	v_accvgpr_read_b32 v1, a9
	v_accvgpr_read_b32 v5, a8
	;; [unrolled: 3-line block ×7, first 2 shown]
	s_movk_i32 s0, 0x100
	ds_write2_b32 v0, v5, v1 offset0:66 offset1:67
	v_lshlrev_b32_e32 v0, 2, v2
	v_mul_u32_u24_e32 v1, 0x308, v3
	v_add3_u32 v5, s0, v0, v1
	s_waitcnt lgkmcnt(0)
	s_barrier
	ds_read2_b32 v[0:1], v5 offset0:16 offset1:80
	ds_read_b32 v6, v5 offset:576
	v_cmp_gt_u32_e32 vcc, 3, v3
	v_mov_b32_e32 v5, -1
	s_and_saveexec_b64 s[0:1], vcc
; %bb.37:
	s_movk_i32 s2, 0xff04
	v_mad_i32_i24 v4, v3, s2, v4
	ds_read_b32 v5, v4
; %bb.38:
	s_or_b64 exec, exec, s[0:1]
	s_waitcnt lgkmcnt(0)
	v_cmp_lt_i32_e32 vcc, -1, v5
	s_and_b64 s[0:1], vcc, s[8:9]
	s_and_saveexec_b64 s[2:3], s[0:1]
	s_cbranch_execz .LBB130_40
; %bb.39:
	v_add_f32_e32 v0, 0, v0
	s_mul_hi_i32 s1, s26, s4
	s_mul_i32 s0, s26, s4
	v_add_f32_e32 v0, v0, v1
	s_lshl_b64 s[0:1], s[0:1], 2
	v_add_f32_e32 v4, v0, v6
	v_mul_hi_i32 v1, v78, s17
	v_mul_lo_u32 v0, v78, s17
	s_add_u32 s0, s10, s0
	v_add_u32_e32 v2, s5, v2
	s_addc_u32 s1, s11, s1
	v_lshlrev_b64 v[0:1], 2, v[0:1]
	v_mul_lo_u32 v5, v5, s22
	v_mul_lo_u32 v3, v3, s17
	v_lshl_add_u64 v[0:1], s[0:1], 0, v[0:1]
	v_add3_u32 v2, v2, v3, v5
	v_mov_b32_e32 v3, 0
	v_lshl_add_u64 v[0:1], v[2:3], 2, v[0:1]
	global_store_dword v[0:1], v4, off
.LBB130_40:
	s_endpgm
	.section	.rodata,"a",@progbits
	.p2align	6, 0x0
	.amdhsa_kernel _ZL9mul_mat_fI15__hip_bfloat162Li64ELi3ELi3ELb1EEvPKT_PKfPKiPfiiiiiiiiiiiiiiii
		.amdhsa_group_segment_fixed_size 256
		.amdhsa_private_segment_fixed_size 0
		.amdhsa_kernarg_size 352
		.amdhsa_user_sgpr_count 2
		.amdhsa_user_sgpr_dispatch_ptr 0
		.amdhsa_user_sgpr_queue_ptr 0
		.amdhsa_user_sgpr_kernarg_segment_ptr 1
		.amdhsa_user_sgpr_dispatch_id 0
		.amdhsa_user_sgpr_kernarg_preload_length 0
		.amdhsa_user_sgpr_kernarg_preload_offset 0
		.amdhsa_user_sgpr_private_segment_size 0
		.amdhsa_uses_dynamic_stack 0
		.amdhsa_enable_private_segment 0
		.amdhsa_system_sgpr_workgroup_id_x 1
		.amdhsa_system_sgpr_workgroup_id_y 1
		.amdhsa_system_sgpr_workgroup_id_z 1
		.amdhsa_system_sgpr_workgroup_info 0
		.amdhsa_system_vgpr_workitem_id 2
		.amdhsa_next_free_vgpr 104
		.amdhsa_next_free_sgpr 91
		.amdhsa_accum_offset 88
		.amdhsa_reserve_vcc 1
		.amdhsa_float_round_mode_32 0
		.amdhsa_float_round_mode_16_64 0
		.amdhsa_float_denorm_mode_32 3
		.amdhsa_float_denorm_mode_16_64 3
		.amdhsa_dx10_clamp 1
		.amdhsa_ieee_mode 1
		.amdhsa_fp16_overflow 0
		.amdhsa_tg_split 0
		.amdhsa_exception_fp_ieee_invalid_op 0
		.amdhsa_exception_fp_denorm_src 0
		.amdhsa_exception_fp_ieee_div_zero 0
		.amdhsa_exception_fp_ieee_overflow 0
		.amdhsa_exception_fp_ieee_underflow 0
		.amdhsa_exception_fp_ieee_inexact 0
		.amdhsa_exception_int_div_zero 0
	.end_amdhsa_kernel
	.section	.text._ZL9mul_mat_fI15__hip_bfloat162Li64ELi3ELi3ELb1EEvPKT_PKfPKiPfiiiiiiiiiiiiiiii,"axG",@progbits,_ZL9mul_mat_fI15__hip_bfloat162Li64ELi3ELi3ELb1EEvPKT_PKfPKiPfiiiiiiiiiiiiiiii,comdat
.Lfunc_end130:
	.size	_ZL9mul_mat_fI15__hip_bfloat162Li64ELi3ELi3ELb1EEvPKT_PKfPKiPfiiiiiiiiiiiiiiii, .Lfunc_end130-_ZL9mul_mat_fI15__hip_bfloat162Li64ELi3ELi3ELb1EEvPKT_PKfPKiPfiiiiiiiiiiiiiiii
                                        ; -- End function
	.set _ZL9mul_mat_fI15__hip_bfloat162Li64ELi3ELi3ELb1EEvPKT_PKfPKiPfiiiiiiiiiiiiiiii.num_vgpr, 86
	.set _ZL9mul_mat_fI15__hip_bfloat162Li64ELi3ELi3ELb1EEvPKT_PKfPKiPfiiiiiiiiiiiiiiii.num_agpr, 16
	.set _ZL9mul_mat_fI15__hip_bfloat162Li64ELi3ELi3ELb1EEvPKT_PKfPKiPfiiiiiiiiiiiiiiii.numbered_sgpr, 91
	.set _ZL9mul_mat_fI15__hip_bfloat162Li64ELi3ELi3ELb1EEvPKT_PKfPKiPfiiiiiiiiiiiiiiii.num_named_barrier, 0
	.set _ZL9mul_mat_fI15__hip_bfloat162Li64ELi3ELi3ELb1EEvPKT_PKfPKiPfiiiiiiiiiiiiiiii.private_seg_size, 0
	.set _ZL9mul_mat_fI15__hip_bfloat162Li64ELi3ELi3ELb1EEvPKT_PKfPKiPfiiiiiiiiiiiiiiii.uses_vcc, 1
	.set _ZL9mul_mat_fI15__hip_bfloat162Li64ELi3ELi3ELb1EEvPKT_PKfPKiPfiiiiiiiiiiiiiiii.uses_flat_scratch, 0
	.set _ZL9mul_mat_fI15__hip_bfloat162Li64ELi3ELi3ELb1EEvPKT_PKfPKiPfiiiiiiiiiiiiiiii.has_dyn_sized_stack, 0
	.set _ZL9mul_mat_fI15__hip_bfloat162Li64ELi3ELi3ELb1EEvPKT_PKfPKiPfiiiiiiiiiiiiiiii.has_recursion, 0
	.set _ZL9mul_mat_fI15__hip_bfloat162Li64ELi3ELi3ELb1EEvPKT_PKfPKiPfiiiiiiiiiiiiiiii.has_indirect_call, 0
	.section	.AMDGPU.csdata,"",@progbits
; Kernel info:
; codeLenInByte = 5716
; TotalNumSgprs: 97
; NumVgprs: 86
; NumAgprs: 16
; TotalNumVgprs: 104
; ScratchSize: 0
; MemoryBound: 0
; FloatMode: 240
; IeeeMode: 1
; LDSByteSize: 256 bytes/workgroup (compile time only)
; SGPRBlocks: 12
; VGPRBlocks: 12
; NumSGPRsForWavesPerEU: 97
; NumVGPRsForWavesPerEU: 104
; AccumOffset: 88
; Occupancy: 4
; WaveLimiterHint : 0
; COMPUTE_PGM_RSRC2:SCRATCH_EN: 0
; COMPUTE_PGM_RSRC2:USER_SGPR: 2
; COMPUTE_PGM_RSRC2:TRAP_HANDLER: 0
; COMPUTE_PGM_RSRC2:TGID_X_EN: 1
; COMPUTE_PGM_RSRC2:TGID_Y_EN: 1
; COMPUTE_PGM_RSRC2:TGID_Z_EN: 1
; COMPUTE_PGM_RSRC2:TIDIG_COMP_CNT: 2
; COMPUTE_PGM_RSRC3_GFX90A:ACCUM_OFFSET: 21
; COMPUTE_PGM_RSRC3_GFX90A:TG_SPLIT: 0
	.section	.text._ZL9mul_mat_fI15__hip_bfloat162Li64ELi3ELi3ELb0EEvPKT_PKfPKiPfiiiiiiiiiiiiiiii,"axG",@progbits,_ZL9mul_mat_fI15__hip_bfloat162Li64ELi3ELi3ELb0EEvPKT_PKfPKiPfiiiiiiiiiiiiiiii,comdat
	.globl	_ZL9mul_mat_fI15__hip_bfloat162Li64ELi3ELi3ELb0EEvPKT_PKfPKiPfiiiiiiiiiiiiiiii ; -- Begin function _ZL9mul_mat_fI15__hip_bfloat162Li64ELi3ELi3ELb0EEvPKT_PKfPKiPfiiiiiiiiiiiiiiii
	.p2align	8
	.type	_ZL9mul_mat_fI15__hip_bfloat162Li64ELi3ELi3ELb0EEvPKT_PKfPKiPfiiiiiiiiiiiiiiii,@function
_ZL9mul_mat_fI15__hip_bfloat162Li64ELi3ELi3ELb0EEvPKT_PKfPKiPfiiiiiiiiiiiiiiii: ; @_ZL9mul_mat_fI15__hip_bfloat162Li64ELi3ELi3ELb0EEvPKT_PKfPKiPfiiiiiiiiiiiiiiii
; %bb.0:
	s_load_dword s5, s[0:1], 0x20
	s_load_dwordx4 s[16:19], s[0:1], 0x2c
	v_bfe_u32 v84, v0, 10, 10
	v_lshlrev_b32_e32 v86, 6, v84
	v_and_b32_e32 v85, 0x3ff, v0
	v_add_u32_e32 v88, v86, v85
	s_waitcnt lgkmcnt(0)
	s_ashr_i32 s19, s4, 31
	v_cmp_le_i32_e32 vcc, s5, v88
	v_and_b32_e32 v87, 15, v85
	s_and_saveexec_b64 s[6:7], vcc
	s_xor_b64 s[6:7], exec, s[6:7]
; %bb.1:
	v_and_b32_e32 v87, 15, v85
                                        ; implicit-def: $vgpr88
; %bb.2:
	s_or_saveexec_b64 s[24:25], s[6:7]
	s_load_dwordx8 s[8:15], s[0:1], 0x40
	s_load_dwordx2 s[6:7], s[0:1], 0x18
	s_lshl_b32 s2, s2, 6
	v_mov_b32_e32 v3, 0
	v_accvgpr_write_b32 a0, 0
	v_accvgpr_write_b32 a1, 0
	;; [unrolled: 1-line block ×16, first 2 shown]
	v_lshlrev_b32_e32 v0, 2, v85
	s_xor_b64 exec, exec, s[24:25]
	s_cbranch_execz .LBB131_6
; %bb.3:
	s_waitcnt lgkmcnt(0)
	s_abs_i32 s26, s8
	v_cvt_f32_u32_e32 v1, s26
	s_abs_i32 s27, s12
	v_cvt_f32_u32_e32 v2, s27
	s_sub_i32 s20, 0, s26
	v_rcp_iflag_f32_e32 v1, v1
	s_abs_i32 s28, s3
	v_rcp_iflag_f32_e32 v2, v2
	s_sub_i32 s21, 0, s27
	v_mul_f32_e32 v1, 0x4f7ffffe, v1
	v_cvt_u32_f32_e32 v1, v1
	v_mul_f32_e32 v2, 0x4f7ffffe, v2
	v_cvt_u32_f32_e32 v2, v2
	s_abs_i32 s29, s4
	v_mul_lo_u32 v4, s20, v1
	v_mul_hi_u32 v4, v1, v4
	v_add_u32_e32 v1, v1, v4
	v_mul_hi_u32 v1, s28, v1
	v_mul_lo_u32 v5, s21, v2
	v_mul_lo_u32 v4, v1, s26
	v_mul_hi_u32 v5, v2, v5
	v_sub_u32_e32 v4, s28, v4
	v_add_u32_e32 v2, v2, v5
	v_subrev_u32_e32 v6, s26, v4
	v_cmp_le_u32_e32 vcc, s26, v4
	v_mul_hi_u32 v2, s29, v2
	v_add_u32_e32 v5, 1, v1
	v_cndmask_b32_e32 v4, v4, v6, vcc
	v_cndmask_b32_e32 v1, v1, v5, vcc
	v_cmp_le_u32_e32 vcc, s26, v4
	v_mul_lo_u32 v4, v2, s27
	s_load_dwordx4 s[20:23], s[0:1], 0x0
	s_ashr_i32 s0, s3, 31
	s_ashr_i32 s1, s8, 31
	v_add_u32_e32 v5, 1, v1
	v_sub_u32_e32 v4, s29, v4
	s_xor_b32 s0, s0, s1
	v_cndmask_b32_e32 v1, v1, v5, vcc
	v_add_u32_e32 v5, 1, v2
	v_subrev_u32_e32 v6, s27, v4
	v_cmp_le_u32_e32 vcc, s27, v4
	v_xor_b32_e32 v1, s0, v1
	s_ashr_i32 s8, s12, 31
	v_cndmask_b32_e32 v2, v2, v5, vcc
	v_cndmask_b32_e32 v4, v4, v6, vcc
	v_subrev_u32_e32 v1, s0, v1
	v_add_u32_e32 v5, 1, v2
	v_cmp_le_u32_e32 vcc, s27, v4
	s_xor_b32 s0, s19, s8
	v_mul_lo_u32 v6, v1, s9
	v_cndmask_b32_e32 v2, v2, v5, vcc
	s_mul_hi_i32 s9, s14, s4
	s_mul_i32 s8, s14, s4
	v_xor_b32_e32 v2, s0, v2
	s_lshl_b64 s[26:27], s[8:9], 2
	v_subrev_u32_e32 v2, s0, v2
	s_mul_i32 s0, s16, s2
	s_mul_i32 s28, s10, s3
	s_waitcnt lgkmcnt(0)
	s_add_u32 s8, s22, s26
	v_mul_hi_i32 v5, v2, s13
	v_mul_lo_u32 v4, v2, s13
	s_addc_u32 s9, s23, s27
	s_ashr_i32 s1, s0, 31
	s_ashr_i32 s29, s28, 31
	v_ashrrev_i32_e32 v7, 31, v6
	v_lshlrev_b64 v[8:9], 2, v[4:5]
	s_lshl_b64 s[12:13], s[0:1], 2
	s_lshl_b64 s[28:29], s[28:29], 2
	v_lshl_add_u64 v[4:5], s[20:21], 0, v[8:9]
	v_lshlrev_b64 v[6:7], 2, v[6:7]
	s_add_u32 s0, s8, s28
	s_movk_i32 s8, 0x1080
	v_lshrrev_b32_e32 v10, 1, v85
	v_lshl_add_u64 v[4:5], v[4:5], 0, v[6:7]
	v_mad_u32_u24 v1, v84, s8, 0
	v_mul_u32_u24_e32 v2, 0x108, v87
	v_and_b32_e32 v10, 0x1f8, v10
	v_lshl_add_u64 v[6:7], v[6:7], 0, s[12:13]
	s_addc_u32 s1, s9, s29
	v_add3_u32 v90, v1, v2, v10
	s_ashr_i32 s9, s16, 31
	s_mov_b32 s8, s16
	s_ashr_i32 s75, s17, 31
	s_mov_b32 s74, s17
	v_lshlrev_b32_e32 v2, 8, v84
	v_lshl_add_u64 v[6:7], v[6:7], 0, v[8:9]
	v_lshl_add_u64 v[4:5], v[4:5], 0, s[12:13]
	s_add_i32 s10, s16, s16
	s_add_i32 s14, s17, s17
	s_lshl_b32 s30, s16, 2
	s_lshl_b32 s35, s16, 3
	s_lshl_b32 s43, s16, 4
	s_lshl_b32 s59, s16, 5
	s_lshl_b64 s[8:9], s[8:9], 2
	s_lshl_b64 s[12:13], s[74:75], 3
	v_lshl_add_u64 v[6:7], v[6:7], 0, v[2:3]
	v_lshlrev_b32_e32 v2, 9, v84
	v_add_u32_e32 v89, v1, v0
	s_add_u32 s22, s22, s28
	v_mov_b32_e32 v1, v3
	v_lshl_add_u64 v[8:9], s[26:27], 0, v[2:3]
	v_lshlrev_b32_e32 v2, 3, v85
	s_addc_u32 s23, s23, s29
	v_lshl_add_u64 v[6:7], v[6:7], 0, v[0:1]
	v_lshl_add_u64 v[8:9], v[8:9], 0, v[2:3]
	s_mul_i32 s19, s16, 3
	s_mul_i32 s31, s16, 5
	;; [unrolled: 1-line block ×41, first 2 shown]
	v_lshl_add_u64 v[6:7], s[20:21], 0, v[6:7]
	s_mul_i32 s73, s16, 48
	s_mul_i32 s74, s16, 49
	;; [unrolled: 1-line block ×6, first 2 shown]
	v_lshl_add_u64 v[8:9], s[22:23], 0, v[8:9]
	s_mul_i32 s77, s16, 54
	s_mul_i32 s78, s16, 55
	v_accvgpr_write_b32 a15, 0
	v_accvgpr_write_b32 a14, 0
	;; [unrolled: 1-line block ×16, first 2 shown]
	s_mul_i32 s79, s16, 56
	s_mul_i32 s80, s16, 57
	s_mul_i32 s81, s16, 58
	s_mul_i32 s82, s16, 59
	s_mul_i32 s83, s16, 60
	s_mul_i32 s84, s16, 61
	s_mul_i32 s85, s16, 62
	s_mul_i32 s86, s16, 63
	s_mov_b64 s[16:17], 0
	s_mov_b64 s[20:21], 0x300
	;; [unrolled: 1-line block ×3, first 2 shown]
.LBB131_4:                              ; =>This Inner Loop Header: Depth=1
	v_add_u32_e32 v82, s10, v88
	v_add_u32_e32 v66, s19, v88
	;; [unrolled: 1-line block ×3, first 2 shown]
	v_lshl_add_u64 v[62:63], v[6:7], 0, s[8:9]
	v_add_u32_e32 v76, s31, v88
	v_add_u32_e32 v78, s33, v88
	v_ashrrev_i32_e32 v83, 31, v82
	v_ashrrev_i32_e32 v67, 31, v66
	;; [unrolled: 1-line block ×3, first 2 shown]
	v_add_u32_e32 v72, s34, v88
	v_add_u32_e32 v74, s35, v88
	global_load_dword v1, v[62:63], off
	v_lshl_add_u64 v[62:63], v[82:83], 2, v[4:5]
	v_lshl_add_u64 v[66:67], v[66:67], 2, v[4:5]
	;; [unrolled: 1-line block ×3, first 2 shown]
	v_ashrrev_i32_e32 v77, 31, v76
	v_ashrrev_i32_e32 v79, 31, v78
	v_add_u32_e32 v68, s36, v88
	v_add_u32_e32 v70, s37, v88
	global_load_dword v2, v[62:63], off
	global_load_dword v80, v[66:67], off
	;; [unrolled: 1-line block ×3, first 2 shown]
	v_lshl_add_u64 v[76:77], v[76:77], 2, v[4:5]
	v_lshl_add_u64 v[82:83], v[78:79], 2, v[4:5]
	v_ashrrev_i32_e32 v73, 31, v72
	v_ashrrev_i32_e32 v75, 31, v74
	v_add_u32_e32 v60, s38, v88
	v_add_u32_e32 v64, s39, v88
	global_load_dword v78, v[76:77], off
	global_load_dword v79, v[82:83], off
	v_lshl_add_u64 v[72:73], v[72:73], 2, v[4:5]
	v_lshl_add_u64 v[82:83], v[74:75], 2, v[4:5]
	v_ashrrev_i32_e32 v69, 31, v68
	v_ashrrev_i32_e32 v71, 31, v70
	v_add_u32_e32 v54, s40, v88
	v_add_u32_e32 v58, s41, v88
	global_load_dword v74, v[72:73], off
	global_load_dword v75, v[82:83], off
	;; [unrolled: 8-line block ×3, first 2 shown]
	v_lshl_add_u64 v[60:61], v[60:61], 2, v[4:5]
	v_lshl_add_u64 v[82:83], v[64:65], 2, v[4:5]
	v_ashrrev_i32_e32 v55, 31, v54
	v_ashrrev_i32_e32 v59, 31, v58
	v_add_u32_e32 v40, s44, v88
	v_add_u32_e32 v46, s45, v88
	;; [unrolled: 1-line block ×6, first 2 shown]
	global_load_dword v64, v[60:61], off
	global_load_dword v65, v[82:83], off
	v_lshl_add_u64 v[54:55], v[54:55], 2, v[4:5]
	v_lshl_add_u64 v[82:83], v[58:59], 2, v[4:5]
	v_ashrrev_i32_e32 v45, 31, v44
	v_ashrrev_i32_e32 v57, 31, v56
	v_add_u32_e32 v36, s47, v88
	v_add_u32_e32 v16, s51, v88
	;; [unrolled: 1-line block ×4, first 2 shown]
	global_load_dword v58, v[54:55], off
	global_load_dword v59, v[82:83], off
	v_lshl_add_u64 v[44:45], v[44:45], 2, v[4:5]
	v_lshl_add_u64 v[82:83], v[56:57], 2, v[4:5]
	v_ashrrev_i32_e32 v41, 31, v40
	v_ashrrev_i32_e32 v47, 31, v46
	;; [unrolled: 1-line block ×6, first 2 shown]
	v_add_u32_e32 v14, s54, v88
	v_add_u32_e32 v22, s55, v88
	global_load_dword v57, v[44:45], off
	global_load_dword v56, v[82:83], off
	v_lshl_add_u64 v[40:41], v[40:41], 2, v[4:5]
	v_lshl_add_u64 v[82:83], v[46:47], 2, v[4:5]
	v_ashrrev_i32_e32 v37, 31, v36
	v_lshl_add_u64 v[32:33], v[32:33], 2, v[4:5]
	v_lshl_add_u64 v[24:25], v[24:25], 2, v[4:5]
	;; [unrolled: 1-line block ×3, first 2 shown]
	v_ashrrev_i32_e32 v17, 31, v16
	v_lshl_add_u64 v[12:13], v[12:13], 2, v[4:5]
	v_ashrrev_i32_e32 v11, 31, v10
	v_ashrrev_i32_e32 v19, 31, v18
	v_add_u32_e32 v20, s56, v88
	v_add_u32_e32 v30, s57, v88
	global_load_dword v46, v[40:41], off
	global_load_dword v47, v[82:83], off
	v_lshl_add_u64 v[82:83], v[36:37], 2, v[4:5]
	global_load_dword v36, v[32:33], off
	global_load_dword v37, v[82:83], off
	s_nop 0
	global_load_dword v24, v[24:25], off
	s_nop 0
	global_load_dword v25, v[28:29], off
	v_lshl_add_u64 v[16:17], v[16:17], 2, v[4:5]
	global_load_dword v28, v[12:13], off
	global_load_dword v29, v[16:17], off
	v_lshl_add_u64 v[10:11], v[10:11], 2, v[4:5]
	v_lshl_add_u64 v[12:13], v[18:19], 2, v[4:5]
	v_ashrrev_i32_e32 v15, 31, v14
	v_ashrrev_i32_e32 v23, 31, v22
	v_add_u32_e32 v26, s58, v88
	v_add_u32_e32 v38, s59, v88
	global_load_dword v82, v[10:11], off
	global_load_dword v83, v[12:13], off
	v_lshl_add_u64 v[10:11], v[14:15], 2, v[4:5]
	v_lshl_add_u64 v[12:13], v[22:23], 2, v[4:5]
	v_ashrrev_i32_e32 v21, 31, v20
	v_ashrrev_i32_e32 v31, 31, v30
	v_add_u32_e32 v34, s60, v88
	v_add_u32_e32 v48, s61, v88
	;; [unrolled: 8-line block ×10, first 2 shown]
	global_load_dword v50, v[10:11], off
	global_load_dword v51, v[12:13], off
	v_lshl_add_u64 v[10:11], v[44:45], 2, v[4:5]
	v_lshl_add_u64 v[12:13], v[40:41], 2, v[4:5]
	v_ashrrev_i32_e32 v33, 31, v32
	v_ashrrev_i32_e32 v93, 31, v92
	v_add_u32_e32 v94, s76, v88
	global_load_dword v40, v[10:11], off
	global_load_dword v41, v[12:13], off
	v_lshl_add_u64 v[12:13], v[32:33], 2, v[4:5]
	v_lshl_add_u64 v[14:15], v[92:93], 2, v[4:5]
	v_ashrrev_i32_e32 v17, 31, v16
	v_ashrrev_i32_e32 v19, 31, v18
	v_add_u32_e32 v96, s26, v88
	v_add_u32_e32 v98, s27, v88
	global_load_dword v33, v[12:13], off
	global_load_dword v32, v[14:15], off
	v_lshl_add_u64 v[14:15], v[16:17], 2, v[4:5]
	v_lshl_add_u64 v[16:17], v[18:19], 2, v[4:5]
	v_ashrrev_i32_e32 v95, 31, v94
	v_add_u32_e32 v100, s77, v88
	v_add_u32_e32 v52, s78, v88
	global_load_dword v60, v[14:15], off
	global_load_dword v61, v[16:17], off
	v_ashrrev_i32_e32 v97, 31, v96
	v_lshl_add_u64 v[16:17], v[94:95], 2, v[4:5]
	v_ashrrev_i32_e32 v99, 31, v98
	v_add_u32_e32 v62, s79, v88
	v_add_u32_e32 v66, s80, v88
	v_lshl_add_u64 v[18:19], v[96:97], 2, v[4:5]
	global_load_dword v72, v[16:17], off
	global_load_dword v73, v[18:19], off
	v_lshl_add_u64 v[16:17], v[98:99], 2, v[4:5]
	v_ashrrev_i32_e32 v101, 31, v100
	v_ashrrev_i32_e32 v53, 31, v52
	v_add_u32_e32 v68, s81, v88
	global_load_dword v76, v[16:17], off
	global_load_dword v77, v[6:7], off
	v_lshl_add_u64 v[16:17], v[100:101], 2, v[4:5]
	v_lshl_add_u64 v[44:45], v[52:53], 2, v[4:5]
	v_ashrrev_i32_e32 v63, 31, v62
	v_ashrrev_i32_e32 v67, 31, v66
	v_add_u32_e32 v54, s82, v88
	global_load_dword v91, v[16:17], off
	global_load_dword v92, v[44:45], off
	s_nop 0
	global_load_dwordx2 v[16:17], v[8:9], off
	v_lshl_add_u64 v[44:45], v[62:63], 2, v[4:5]
	v_lshl_add_u64 v[52:53], v[66:67], 2, v[4:5]
	v_ashrrev_i32_e32 v69, 31, v68
	global_load_dword v62, v[44:45], off
	global_load_dword v63, v[52:53], off
	v_ashrrev_i32_e32 v55, 31, v54
	v_lshl_add_u64 v[52:53], v[68:69], 2, v[4:5]
	v_lshl_add_u64 v[44:45], v[8:9], 0, s[12:13]
	;; [unrolled: 1-line block ×3, first 2 shown]
	global_load_dword v66, v[52:53], off
	global_load_dword v67, v[54:55], off
	v_add_u32_e32 v52, s14, v88
	v_add_u32_e32 v10, s83, v88
	v_add_u32_e32 v12, s84, v88
	v_add_u32_e32 v14, s85, v88
	v_add_u32_e32 v18, s86, v88
	global_load_dwordx2 v[44:45], v[44:45], off
	v_ashrrev_i32_e32 v53, 31, v52
	v_ashrrev_i32_e32 v11, 31, v10
	;; [unrolled: 1-line block ×5, first 2 shown]
	v_lshl_add_u64 v[52:53], v[52:53], 3, s[0:1]
	v_lshl_add_u64 v[10:11], v[10:11], 2, v[4:5]
	v_lshl_add_u64 v[12:13], v[12:13], 2, v[4:5]
	v_lshl_add_u64 v[14:15], v[14:15], 2, v[4:5]
	v_lshl_add_u64 v[18:19], v[18:19], 2, v[4:5]
	global_load_dwordx2 v[52:53], v[52:53], off
	s_nop 0
	global_load_dword v68, v[10:11], off
	global_load_dword v69, v[12:13], off
	;; [unrolled: 1-line block ×4, first 2 shown]
	s_waitcnt vmcnt(62)
	ds_write_b32 v89, v1 offset:264
	v_accvgpr_read_b32 v97, a9
	v_accvgpr_read_b32 v96, a8
	;; [unrolled: 1-line block ×4, first 2 shown]
	v_accvgpr_mov_b32 a6, a12
	v_accvgpr_read_b32 v100, a4
	v_accvgpr_read_b32 v99, a11
	;; [unrolled: 1-line block ×3, first 2 shown]
	v_accvgpr_mov_b32 a7, a13
	v_accvgpr_mov_b32 a8, a14
	;; [unrolled: 1-line block ×3, first 2 shown]
	v_accvgpr_read_b32 v101, a5
	v_accvgpr_write_b32 a10, v96
	v_accvgpr_mov_b32 a17, a3
	v_accvgpr_mov_b32 a16, a2
	v_accvgpr_write_b32 a2, v100
	v_accvgpr_write_b32 a11, v97
	;; [unrolled: 1-line block ×7, first 2 shown]
	v_accvgpr_mov_b32 a15, a1
	v_accvgpr_mov_b32 a14, a0
	v_add_u32_e32 v88, 0xc0, v88
	v_cmp_le_i32_e32 vcc, s5, v88
	v_lshl_add_u64 v[6:7], v[6:7], 0, s[20:21]
	s_or_b64 s[16:17], vcc, s[16:17]
	v_lshl_add_u64 v[8:9], v[8:9], 0, s[22:23]
	s_waitcnt vmcnt(13)
	ds_write_b32 v89, v77
	ds_write_b32 v89, v2 offset:528
	ds_write_b32 v89, v80 offset:792
	;; [unrolled: 1-line block ×14, first 2 shown]
	s_waitcnt vmcnt(10)
	v_cvt_pk_bf16_f32 v77, v16, v17
	s_waitcnt vmcnt(5)
	v_cvt_pk_bf16_f32 v1, v44, v45
	;; [unrolled: 2-line block ×3, first 2 shown]
	ds_read_b64 v[10:11], v90
	ds_read_b64 v[12:13], v90 offset:32
	ds_read_b64 v[14:15], v90 offset:64
	;; [unrolled: 1-line block ×7, first 2 shown]
	ds_write_b32 v89, v56
	ds_write_b32 v89, v46 offset:264
	ds_write_b32 v89, v47 offset:528
	ds_write_b32 v89, v36 offset:792
	ds_write_b32 v89, v37 offset:1056
	ds_write_b32 v89, v24 offset:1320
	ds_write_b32 v89, v25 offset:1584
	ds_write_b32 v89, v28 offset:1848
	ds_write_b32 v89, v29 offset:2112
	ds_write_b32 v89, v82 offset:2376
	ds_write_b32 v89, v83 offset:2640
	ds_write_b32 v89, v22 offset:2904
	ds_write_b32 v89, v23 offset:3168
	ds_write_b32 v89, v20 offset:3432
	ds_write_b32 v89, v21 offset:3696
	ds_write_b32 v89, v27 offset:3960
	ds_read_b64 v[20:21], v90
	ds_read_b64 v[22:23], v90 offset:32
	ds_read_b64 v[24:25], v90 offset:64
	;; [unrolled: 1-line block ×7, first 2 shown]
	ds_write_b32 v89, v26
	ds_write_b32 v89, v30 offset:264
	ds_write_b32 v89, v31 offset:528
	;; [unrolled: 1-line block ×15, first 2 shown]
	ds_read_b64 v[26:27], v90
	ds_read_b64 v[30:31], v90 offset:32
	ds_read_b64 v[34:35], v90 offset:64
	;; [unrolled: 1-line block ×7, first 2 shown]
	ds_write_b32 v89, v32
	ds_write_b32 v89, v60 offset:264
	ds_write_b32 v89, v61 offset:528
	;; [unrolled: 1-line block ×11, first 2 shown]
	s_waitcnt vmcnt(3)
	ds_write_b32 v89, v68 offset:3168
	s_waitcnt vmcnt(2)
	ds_write_b32 v89, v69 offset:3432
	;; [unrolled: 2-line block ×4, first 2 shown]
	ds_read_b64 v[32:33], v90
	ds_read_b64 v[60:61], v90 offset:32
	ds_read_b64 v[62:63], v90 offset:64
	;; [unrolled: 1-line block ×7, first 2 shown]
	ds_write_b32 v89, v77
	ds_write_b32 v89, v1 offset:264
	ds_write_b32 v89, v2 offset:528
	;; [unrolled: 1-line block ×15, first 2 shown]
	ds_read_b64 v[74:75], v90
	s_waitcnt lgkmcnt(0)
	v_mfma_f32_16x16x16_bf16 a[6:9], v[10:11], v[74:75], a[6:9]
	ds_read_b64 v[10:11], v90 offset:32
	v_mfma_f32_16x16x16_bf16 a[10:13], v[20:21], v[74:75], a[10:13]
	v_mfma_f32_16x16x16_bf16 a[2:5], v[26:27], v[74:75], a[2:5]
	;; [unrolled: 1-line block ×3, first 2 shown]
	s_waitcnt lgkmcnt(0)
	v_mfma_f32_16x16x16_bf16 a[6:9], v[12:13], v[10:11], a[6:9]
	v_mfma_f32_16x16x16_bf16 a[10:13], v[22:23], v[10:11], a[10:13]
	v_mfma_f32_16x16x16_bf16 a[0:3], v[30:31], v[10:11], a[2:5]
	v_mfma_f32_16x16x16_bf16 a[14:17], v[60:61], v[10:11], a[14:17]
	ds_read_b64 v[10:11], v90 offset:64
	s_waitcnt lgkmcnt(0)
	v_mfma_f32_16x16x16_bf16 a[4:7], v[14:15], v[10:11], a[6:9]
	v_mfma_f32_16x16x16_bf16 a[8:11], v[24:25], v[10:11], a[10:13]
	v_mfma_f32_16x16x16_bf16 a[0:3], v[34:35], v[10:11], a[0:3]
	v_mfma_f32_16x16x16_bf16 a[12:15], v[62:63], v[10:11], a[14:17]
	ds_read_b64 v[10:11], v90 offset:96
	;; [unrolled: 6-line block ×6, first 2 shown]
	s_waitcnt lgkmcnt(0)
	v_mfma_f32_16x16x16_bf16 a[12:15], v[54:55], v[10:11], a[4:7]
	v_mfma_f32_16x16x16_bf16 a[8:11], v[58:59], v[10:11], a[8:11]
	;; [unrolled: 1-line block ×4, first 2 shown]
	s_andn2_b64 exec, exec, s[16:17]
	s_cbranch_execnz .LBB131_4
; %bb.5:
	s_or_b64 exec, exec, s[16:17]
.LBB131_6:
	s_or_b64 exec, exec, s[24:25]
	v_lshl_add_u32 v1, v86, 2, 0
	v_mul_u32_u24_e32 v2, 0x308, v87
	v_and_b32_e32 v3, 0x3f0, v85
	v_add3_u32 v1, v1, v2, v3
	v_accvgpr_read_b32 v2, a13
	v_accvgpr_read_b32 v3, a12
	s_waitcnt lgkmcnt(0)
	s_barrier
	ds_write2_b32 v1, v3, v2 offset1:1
	v_accvgpr_read_b32 v2, a15
	v_accvgpr_read_b32 v3, a14
	ds_write2_b32 v1, v3, v2 offset0:2 offset1:3
	v_accvgpr_read_b32 v2, a9
	v_accvgpr_read_b32 v3, a8
	ds_write2_b32 v1, v3, v2 offset0:16 offset1:17
	;; [unrolled: 3-line block ×7, first 2 shown]
	v_mul_u32_u24_e32 v1, 0x308, v84
	v_add3_u32 v2, 0, v0, v1
	s_waitcnt lgkmcnt(0)
	s_barrier
	ds_read2st64_b32 v[0:1], v2 offset1:1
	s_mul_hi_i32 s1, s15, s4
	s_mul_i32 s0, s15, s4
	ds_read_b32 v2, v2 offset:512
	s_lshl_b64 s[0:1], s[0:1], 2
	s_add_u32 s4, s6, s0
	s_mul_i32 s0, s11, s3
	s_addc_u32 s5, s7, s1
	s_ashr_i32 s1, s0, 31
	s_waitcnt lgkmcnt(1)
	v_add_f32_e32 v0, 0, v0
	s_lshl_b64 s[0:1], s[0:1], 2
	v_add_f32_e32 v0, v0, v1
	s_add_u32 s0, s4, s0
	s_waitcnt lgkmcnt(0)
	v_add_f32_e32 v2, v0, v2
	v_mul_lo_u32 v0, v84, s18
	s_addc_u32 s1, s5, s1
	v_add3_u32 v0, s2, v85, v0
	v_mov_b32_e32 v1, 0
	v_lshl_add_u64 v[0:1], v[0:1], 2, s[0:1]
	global_store_dword v[0:1], v2, off
	s_endpgm
	.section	.rodata,"a",@progbits
	.p2align	6, 0x0
	.amdhsa_kernel _ZL9mul_mat_fI15__hip_bfloat162Li64ELi3ELi3ELb0EEvPKT_PKfPKiPfiiiiiiiiiiiiiiii
		.amdhsa_group_segment_fixed_size 0
		.amdhsa_private_segment_fixed_size 0
		.amdhsa_kernarg_size 96
		.amdhsa_user_sgpr_count 2
		.amdhsa_user_sgpr_dispatch_ptr 0
		.amdhsa_user_sgpr_queue_ptr 0
		.amdhsa_user_sgpr_kernarg_segment_ptr 1
		.amdhsa_user_sgpr_dispatch_id 0
		.amdhsa_user_sgpr_kernarg_preload_length 0
		.amdhsa_user_sgpr_kernarg_preload_offset 0
		.amdhsa_user_sgpr_private_segment_size 0
		.amdhsa_uses_dynamic_stack 0
		.amdhsa_enable_private_segment 0
		.amdhsa_system_sgpr_workgroup_id_x 1
		.amdhsa_system_sgpr_workgroup_id_y 1
		.amdhsa_system_sgpr_workgroup_id_z 1
		.amdhsa_system_sgpr_workgroup_info 0
		.amdhsa_system_vgpr_workitem_id 1
		.amdhsa_next_free_vgpr 124
		.amdhsa_next_free_sgpr 87
		.amdhsa_accum_offset 104
		.amdhsa_reserve_vcc 1
		.amdhsa_float_round_mode_32 0
		.amdhsa_float_round_mode_16_64 0
		.amdhsa_float_denorm_mode_32 3
		.amdhsa_float_denorm_mode_16_64 3
		.amdhsa_dx10_clamp 1
		.amdhsa_ieee_mode 1
		.amdhsa_fp16_overflow 0
		.amdhsa_tg_split 0
		.amdhsa_exception_fp_ieee_invalid_op 0
		.amdhsa_exception_fp_denorm_src 0
		.amdhsa_exception_fp_ieee_div_zero 0
		.amdhsa_exception_fp_ieee_overflow 0
		.amdhsa_exception_fp_ieee_underflow 0
		.amdhsa_exception_fp_ieee_inexact 0
		.amdhsa_exception_int_div_zero 0
	.end_amdhsa_kernel
	.section	.text._ZL9mul_mat_fI15__hip_bfloat162Li64ELi3ELi3ELb0EEvPKT_PKfPKiPfiiiiiiiiiiiiiiii,"axG",@progbits,_ZL9mul_mat_fI15__hip_bfloat162Li64ELi3ELi3ELb0EEvPKT_PKfPKiPfiiiiiiiiiiiiiiii,comdat
.Lfunc_end131:
	.size	_ZL9mul_mat_fI15__hip_bfloat162Li64ELi3ELi3ELb0EEvPKT_PKfPKiPfiiiiiiiiiiiiiiii, .Lfunc_end131-_ZL9mul_mat_fI15__hip_bfloat162Li64ELi3ELi3ELb0EEvPKT_PKfPKiPfiiiiiiiiiiiiiiii
                                        ; -- End function
	.set _ZL9mul_mat_fI15__hip_bfloat162Li64ELi3ELi3ELb0EEvPKT_PKfPKiPfiiiiiiiiiiiiiiii.num_vgpr, 104
	.set _ZL9mul_mat_fI15__hip_bfloat162Li64ELi3ELi3ELb0EEvPKT_PKfPKiPfiiiiiiiiiiiiiiii.num_agpr, 20
	.set _ZL9mul_mat_fI15__hip_bfloat162Li64ELi3ELi3ELb0EEvPKT_PKfPKiPfiiiiiiiiiiiiiiii.numbered_sgpr, 87
	.set _ZL9mul_mat_fI15__hip_bfloat162Li64ELi3ELi3ELb0EEvPKT_PKfPKiPfiiiiiiiiiiiiiiii.num_named_barrier, 0
	.set _ZL9mul_mat_fI15__hip_bfloat162Li64ELi3ELi3ELb0EEvPKT_PKfPKiPfiiiiiiiiiiiiiiii.private_seg_size, 0
	.set _ZL9mul_mat_fI15__hip_bfloat162Li64ELi3ELi3ELb0EEvPKT_PKfPKiPfiiiiiiiiiiiiiiii.uses_vcc, 1
	.set _ZL9mul_mat_fI15__hip_bfloat162Li64ELi3ELi3ELb0EEvPKT_PKfPKiPfiiiiiiiiiiiiiiii.uses_flat_scratch, 0
	.set _ZL9mul_mat_fI15__hip_bfloat162Li64ELi3ELi3ELb0EEvPKT_PKfPKiPfiiiiiiiiiiiiiiii.has_dyn_sized_stack, 0
	.set _ZL9mul_mat_fI15__hip_bfloat162Li64ELi3ELi3ELb0EEvPKT_PKfPKiPfiiiiiiiiiiiiiiii.has_recursion, 0
	.set _ZL9mul_mat_fI15__hip_bfloat162Li64ELi3ELi3ELb0EEvPKT_PKfPKiPfiiiiiiiiiiiiiiii.has_indirect_call, 0
	.section	.AMDGPU.csdata,"",@progbits
; Kernel info:
; codeLenInByte = 4636
; TotalNumSgprs: 93
; NumVgprs: 104
; NumAgprs: 20
; TotalNumVgprs: 124
; ScratchSize: 0
; MemoryBound: 0
; FloatMode: 240
; IeeeMode: 1
; LDSByteSize: 0 bytes/workgroup (compile time only)
; SGPRBlocks: 11
; VGPRBlocks: 15
; NumSGPRsForWavesPerEU: 93
; NumVGPRsForWavesPerEU: 124
; AccumOffset: 104
; Occupancy: 4
; WaveLimiterHint : 0
; COMPUTE_PGM_RSRC2:SCRATCH_EN: 0
; COMPUTE_PGM_RSRC2:USER_SGPR: 2
; COMPUTE_PGM_RSRC2:TRAP_HANDLER: 0
; COMPUTE_PGM_RSRC2:TGID_X_EN: 1
; COMPUTE_PGM_RSRC2:TGID_Y_EN: 1
; COMPUTE_PGM_RSRC2:TGID_Z_EN: 1
; COMPUTE_PGM_RSRC2:TIDIG_COMP_CNT: 1
; COMPUTE_PGM_RSRC3_GFX90A:ACCUM_OFFSET: 25
; COMPUTE_PGM_RSRC3_GFX90A:TG_SPLIT: 0
	.section	.text._ZL13mul_mat_f_idsI15__hip_bfloat162Li64ELi3ELi4EEvPKT_PKfPKiS7_S7_Pfiiiiiiiiiiiiii15HIP_vector_typeIjLj3EESA_,"axG",@progbits,_ZL13mul_mat_f_idsI15__hip_bfloat162Li64ELi3ELi4EEvPKT_PKfPKiS7_S7_Pfiiiiiiiiiiiiii15HIP_vector_typeIjLj3EESA_,comdat
	.globl	_ZL13mul_mat_f_idsI15__hip_bfloat162Li64ELi3ELi4EEvPKT_PKfPKiS7_S7_Pfiiiiiiiiiiiiii15HIP_vector_typeIjLj3EESA_ ; -- Begin function _ZL13mul_mat_f_idsI15__hip_bfloat162Li64ELi3ELi4EEvPKT_PKfPKiS7_S7_Pfiiiiiiiiiiiiii15HIP_vector_typeIjLj3EESA_
	.p2align	8
	.type	_ZL13mul_mat_f_idsI15__hip_bfloat162Li64ELi3ELi4EEvPKT_PKfPKiS7_S7_Pfiiiiiiiiiiiiii15HIP_vector_typeIjLj3EESA_,@function
_ZL13mul_mat_f_idsI15__hip_bfloat162Li64ELi3ELi4EEvPKT_PKfPKiS7_S7_Pfiiiiiiiiiiiiii15HIP_vector_typeIjLj3EESA_: ; @_ZL13mul_mat_f_idsI15__hip_bfloat162Li64ELi3ELi4EEvPKT_PKfPKiS7_S7_Pfiiiiiiiiiiiiii15HIP_vector_typeIjLj3EESA_
; %bb.0:
	s_load_dwordx2 s[6:7], s[0:1], 0x20
	s_mov_b32 s34, s3
	s_ashr_i32 s35, s3, 31
	s_lshl_b64 s[8:9], s[34:35], 2
	s_waitcnt lgkmcnt(0)
	s_add_u32 s6, s6, s8
	s_addc_u32 s7, s7, s9
	s_load_dwordx2 s[26:27], s[6:7], 0x0
	s_waitcnt lgkmcnt(0)
	s_sub_i32 s33, s27, s26
	s_add_i32 s3, s33, 2
	s_mul_hi_i32 s3, s3, 0x55555556
	s_lshr_b32 s5, s3, 31
	s_add_i32 s3, s3, s5
	s_cmp_ge_i32 s4, s3
	s_cbranch_scc1 .LBB132_20
; %bb.1:
	v_bfe_u32 v69, v0, 10, 10
	v_lshlrev_b32_e32 v70, 6, v69
	v_and_b32_e32 v68, 0x3ff, v0
	s_load_dwordx4 s[12:15], s[0:1], 0x30
	s_load_dwordx2 s[20:21], s[0:1], 0x40
	s_load_dwordx4 s[8:11], s[0:1], 0x4c
	s_load_dwordx4 s[16:19], s[0:1], 0x68
	s_load_dwordx2 s[24:25], s[0:1], 0x78
	v_add_u32_e32 v72, v70, v68
	s_ashr_i32 s27, s26, 31
	s_waitcnt lgkmcnt(0)
	v_cmp_le_i32_e32 vcc, s12, v72
	v_and_b32_e32 v71, 15, v68
	s_and_saveexec_b64 s[6:7], vcc
	s_xor_b64 s[6:7], exec, s[6:7]
; %bb.2:
	v_and_b32_e32 v71, 15, v68
                                        ; implicit-def: $vgpr72
; %bb.3:
	s_or_saveexec_b64 s[30:31], s[6:7]
	s_load_dwordx2 s[6:7], s[0:1], 0x18
                                        ; implicit-def: $vgpr82 : SGPR spill to VGPR lane
	s_lshl_b32 s11, s2, 6
	s_mul_i32 s2, s4, 3
	v_mov_b32_e32 v1, 0
	v_accvgpr_write_b32 a4, 0
	s_waitcnt lgkmcnt(0)
	v_writelane_b32 v82, s6, 0
	v_accvgpr_write_b32 a5, 0
	v_accvgpr_write_b32 a6, 0
	v_writelane_b32 v82, s7, 1
	s_load_dwordx2 s[6:7], s[0:1], 0x28
	v_accvgpr_write_b32 a7, 0
	v_accvgpr_write_b32 a0, 0
	;; [unrolled: 1-line block ×4, first 2 shown]
	s_waitcnt lgkmcnt(0)
	v_writelane_b32 v82, s6, 2
	v_accvgpr_write_b32 a3, 0
	v_accvgpr_write_b32 a8, 0
	;; [unrolled: 1-line block ×9, first 2 shown]
	v_writelane_b32 v82, s7, 3
	s_xor_b64 exec, exec, s[30:31]
	s_cbranch_execz .LBB132_16
; %bb.4:
	s_load_dwordx4 s[4:7], s[0:1], 0x0
	s_load_dwordx2 s[22:23], s[0:1], 0x10
	s_mul_i32 s0, s8, s34
	s_ashr_i32 s1, s0, 31
	v_writelane_b32 v82, s24, 4
	s_lshl_b64 s[44:45], s[0:1], 2
	s_waitcnt lgkmcnt(0)
	s_add_u32 s0, s4, s44
	v_writelane_b32 v82, s25, 5
	s_mul_i32 s24, s15, s11
	s_addc_u32 s1, s5, s45
	s_ashr_i32 s25, s24, 31
	s_lshl_b64 s[46:47], s[24:25], 2
	s_add_u32 s0, s0, s46
	s_addc_u32 s1, s1, s47
	s_lshl_b64 s[24:25], s[26:27], 2
	s_add_u32 s8, s22, s24
	s_addc_u32 s24, s23, s25
	s_movk_i32 s3, 0x1080
	s_cmp_lt_i32 s2, s33
	v_mad_u32_u24 v0, v69, s3, 0
	s_cselect_b64 s[34:35], -1, 0
	s_ashr_i32 s3, s2, 31
	s_lshl_b64 s[22:23], s[2:3], 2
	s_add_u32 s36, s8, s22
	s_addc_u32 s37, s24, s23
	s_add_i32 s3, s2, 1
	s_cmp_lt_i32 s3, s33
	s_cselect_b64 s[38:39], -1, 0
	s_add_i32 s3, s2, 2
	s_cmp_lt_i32 s3, s33
	s_cselect_b64 s[40:41], -1, 0
	s_ashr_i32 s23, s15, 31
	s_mov_b32 s22, s15
	v_lshrrev_b32_e32 v4, 1, v68
	s_add_i32 s3, s15, s15
	s_lshl_b32 s48, s15, 2
	s_lshl_b32 s52, s15, 3
	;; [unrolled: 1-line block ×4, first 2 shown]
	s_lshl_b64 s[42:43], s[22:23], 2
	v_lshlrev_b32_e32 v2, 2, v68
	v_mul_u32_u24_e32 v3, 0x108, v71
	v_and_b32_e32 v4, 0x1f8, v4
	s_add_u32 s22, s44, s46
	v_add_u32_e32 v73, v0, v2
	v_add3_u32 v74, v0, v3, v4
	s_addc_u32 s23, s45, s47
	v_lshlrev_b32_e32 v0, 8, v69
	v_lshl_add_u64 v[4:5], s[22:23], 0, v[0:1]
	v_mov_b32_e32 v3, v1
	v_lshl_add_u64 v[2:3], v[4:5], 0, v[2:3]
	s_mul_i32 s8, s15, 3
	s_mul_i32 s49, s15, 5
	;; [unrolled: 1-line block ×43, first 2 shown]
	v_accvgpr_write_b32 a15, 0
	v_accvgpr_write_b32 a14, 0
	v_accvgpr_write_b32 a13, 0
	v_accvgpr_write_b32 a12, 0
	v_accvgpr_write_b32 a11, 0
	v_accvgpr_write_b32 a10, 0
	v_accvgpr_write_b32 a9, 0
	v_accvgpr_write_b32 a8, 0
	v_accvgpr_write_b32 a3, 0
	v_accvgpr_write_b32 a2, 0
	v_accvgpr_write_b32 a1, 0
	v_accvgpr_write_b32 a0, 0
	v_accvgpr_write_b32 a7, 0
	v_accvgpr_write_b32 a6, 0
	v_accvgpr_write_b32 a5, 0
	v_accvgpr_write_b32 a4, 0
	v_lshl_add_u64 v[2:3], s[4:5], 0, v[2:3]
	s_mul_i32 s90, s15, 50
	s_mul_i32 s91, s15, 51
	;; [unrolled: 1-line block ×14, first 2 shown]
	s_mov_b32 s23, 0x5040100
	s_mov_b64 s[4:5], 0
	s_branch .LBB132_6
.LBB132_5:                              ;   in Loop: Header=BB132_6 Depth=1
	v_perm_b32 v0, v0, v75, s23
	v_perm_b32 v75, v77, v78, s23
	ds_write2_b32 v73, v0, v75 offset1:66
	v_perm_b32 v0, v79, v76, s23
	ds_write2_b32 v73, v0, v1 offset0:132 offset1:198
	v_add_u32_e32 v0, 0x400, v73
	ds_write2_b32 v0, v1, v1 offset0:8 offset1:74
	ds_write2_b32 v0, v1, v1 offset0:140 offset1:206
	v_add_u32_e32 v0, 0x800, v73
	ds_write2_b32 v0, v1, v1 offset0:16 offset1:82
	;; [unrolled: 3-line block ×3, first 2 shown]
	ds_write2_b32 v0, v1, v1 offset0:156 offset1:222
	ds_read2_b64 v[76:79], v74 offset1:4
	s_waitcnt lgkmcnt(0)
	v_mfma_f32_16x16x16_bf16 a[4:7], v[10:11], v[76:77], a[4:7]
	v_add_u32_e32 v72, 0x100, v72
	s_mov_b64 vcc, 0x400
	v_lshl_add_u64 v[2:3], v[2:3], 0, vcc
	v_mfma_f32_16x16x16_bf16 a[0:3], v[36:37], v[76:77], a[0:3]
	v_cmp_le_i32_e32 vcc, s12, v72
	s_or_b64 s[4:5], vcc, s[4:5]
	v_mfma_f32_16x16x16_bf16 a[8:11], v[50:51], v[76:77], a[8:11]
	v_mfma_f32_16x16x16_bf16 a[12:15], v[66:67], v[76:77], a[12:15]
	;; [unrolled: 1-line block ×3, first 2 shown]
	ds_read2_b64 v[8:11], v74 offset0:8 offset1:12
	v_mfma_f32_16x16x16_bf16 a[0:3], v[34:35], v[78:79], a[0:3]
	v_mfma_f32_16x16x16_bf16 a[8:11], v[48:49], v[78:79], a[8:11]
	;; [unrolled: 1-line block ×3, first 2 shown]
	s_waitcnt lgkmcnt(0)
	v_mfma_f32_16x16x16_bf16 a[4:7], v[6:7], v[8:9], a[4:7]
	v_mfma_f32_16x16x16_bf16 a[0:3], v[30:31], v[8:9], a[0:3]
	;; [unrolled: 1-line block ×5, first 2 shown]
	ds_read2_b64 v[4:7], v74 offset0:16 offset1:20
	v_mfma_f32_16x16x16_bf16 a[0:3], v[28:29], v[10:11], a[0:3]
	v_mfma_f32_16x16x16_bf16 a[8:11], v[44:45], v[10:11], a[8:11]
	;; [unrolled: 1-line block ×3, first 2 shown]
	s_waitcnt lgkmcnt(0)
	v_mfma_f32_16x16x16_bf16 a[4:7], v[18:19], v[4:5], a[4:7]
	v_mfma_f32_16x16x16_bf16 a[0:3], v[26:27], v[4:5], a[0:3]
	;; [unrolled: 1-line block ×8, first 2 shown]
	ds_read2_b64 v[4:7], v74 offset0:24 offset1:28
	s_waitcnt lgkmcnt(0)
	v_mfma_f32_16x16x16_bf16 a[4:7], v[14:15], v[4:5], a[4:7]
	v_mfma_f32_16x16x16_bf16 a[0:3], v[22:23], v[4:5], a[0:3]
	;; [unrolled: 1-line block ×8, first 2 shown]
	s_andn2_b64 exec, exec, s[4:5]
	s_cbranch_execz .LBB132_15
.LBB132_6:                              ; =>This Inner Loop Header: Depth=1
	v_lshl_add_u64 v[4:5], v[2:3], 0, s[42:43]
	global_load_dword v0, v[2:3], off
	global_load_dword v20, v[4:5], off
	v_add_u32_e32 v4, s3, v72
	v_add_u32_e32 v8, s48, v72
	;; [unrolled: 1-line block ×4, first 2 shown]
	v_ashrrev_i32_e32 v5, 31, v4
	v_add_u32_e32 v6, s8, v72
	v_ashrrev_i32_e32 v9, 31, v8
	v_ashrrev_i32_e32 v11, 31, v10
	v_add_u32_e32 v12, s50, v72
	v_add_u32_e32 v14, s51, v72
	v_ashrrev_i32_e32 v17, 31, v16
	v_add_u32_e32 v18, s53, v72
	v_lshl_add_u64 v[4:5], v[4:5], 2, s[0:1]
	v_ashrrev_i32_e32 v7, 31, v6
	v_lshl_add_u64 v[8:9], v[8:9], 2, s[0:1]
	v_lshl_add_u64 v[10:11], v[10:11], 2, s[0:1]
	v_ashrrev_i32_e32 v13, 31, v12
	v_ashrrev_i32_e32 v15, 31, v14
	v_lshl_add_u64 v[16:17], v[16:17], 2, s[0:1]
	v_ashrrev_i32_e32 v19, 31, v18
	v_lshl_add_u64 v[6:7], v[6:7], 2, s[0:1]
	v_lshl_add_u64 v[12:13], v[12:13], 2, s[0:1]
	v_lshl_add_u64 v[14:15], v[14:15], 2, s[0:1]
	v_lshl_add_u64 v[18:19], v[18:19], 2, s[0:1]
	global_load_dword v21, v[4:5], off
	global_load_dword v22, v[6:7], off
	;; [unrolled: 1-line block ×6, first 2 shown]
	s_nop 0
	global_load_dword v16, v[16:17], off
	s_nop 0
	global_load_dword v17, v[18:19], off
	v_add_u32_e32 v4, s54, v72
	v_add_u32_e32 v8, s56, v72
	v_add_u32_e32 v10, s57, v72
	v_ashrrev_i32_e32 v5, 31, v4
	v_add_u32_e32 v6, s55, v72
	v_ashrrev_i32_e32 v9, 31, v8
	v_ashrrev_i32_e32 v11, 31, v10
	v_add_u32_e32 v12, s58, v72
	v_add_u32_e32 v14, s59, v72
	v_lshl_add_u64 v[4:5], v[4:5], 2, s[0:1]
	v_ashrrev_i32_e32 v7, 31, v6
	v_lshl_add_u64 v[8:9], v[8:9], 2, s[0:1]
	v_lshl_add_u64 v[10:11], v[10:11], 2, s[0:1]
	v_ashrrev_i32_e32 v13, 31, v12
	v_ashrrev_i32_e32 v15, 31, v14
	v_lshl_add_u64 v[6:7], v[6:7], 2, s[0:1]
	v_lshl_add_u64 v[12:13], v[12:13], 2, s[0:1]
	;; [unrolled: 1-line block ×3, first 2 shown]
	global_load_dword v18, v[4:5], off
	global_load_dword v19, v[6:7], off
	s_nop 0
	global_load_dword v8, v[8:9], off
	s_nop 0
	;; [unrolled: 2-line block ×3, first 2 shown]
	global_load_dword v10, v[12:13], off
	global_load_dword v11, v[14:15], off
	v_add_u32_e32 v4, s60, v72
	v_add_u32_e32 v6, s61, v72
	v_ashrrev_i32_e32 v5, 31, v4
	v_ashrrev_i32_e32 v7, 31, v6
	v_lshl_add_u64 v[4:5], v[4:5], 2, s[0:1]
	v_add_u32_e32 v12, s62, v72
	v_lshl_add_u64 v[6:7], v[6:7], 2, s[0:1]
	global_load_dword v28, v[4:5], off
	global_load_dword v29, v[6:7], off
	v_ashrrev_i32_e32 v13, 31, v12
	v_add_u32_e32 v14, s63, v72
	v_lshl_add_u64 v[12:13], v[12:13], 2, s[0:1]
	v_ashrrev_i32_e32 v15, 31, v14
	v_lshl_add_u64 v[14:15], v[14:15], 2, s[0:1]
	s_andn2_b64 vcc, exec, s[34:35]
	s_waitcnt vmcnt(17)
	ds_write_b32 v73, v0
	s_waitcnt vmcnt(16)
	ds_write_b32 v73, v20 offset:264
	s_waitcnt vmcnt(15)
	ds_write_b32 v73, v21 offset:528
	;; [unrolled: 2-line block ×15, first 2 shown]
	v_add_u32_e32 v16, s64, v72
	v_add_u32_e32 v18, s65, v72
	;; [unrolled: 1-line block ×6, first 2 shown]
	v_ashrrev_i32_e32 v17, 31, v16
	v_ashrrev_i32_e32 v19, 31, v18
	;; [unrolled: 1-line block ×6, first 2 shown]
	ds_read_b64 v[10:11], v74
	ds_read_b64 v[8:9], v74 offset:32
	ds_read_b64 v[6:7], v74 offset:64
	;; [unrolled: 1-line block ×3, first 2 shown]
	v_lshl_add_u64 v[16:17], v[16:17], 2, s[0:1]
	v_lshl_add_u64 v[18:19], v[18:19], 2, s[0:1]
	v_lshl_add_u64 v[20:21], v[20:21], 2, s[0:1]
	v_lshl_add_u64 v[22:23], v[22:23], 2, s[0:1]
	v_lshl_add_u64 v[24:25], v[24:25], 2, s[0:1]
	v_lshl_add_u64 v[26:27], v[26:27], 2, s[0:1]
	global_load_dword v0, v[12:13], off
	global_load_dword v30, v[14:15], off
	global_load_dword v31, v[16:17], off
	global_load_dword v32, v[18:19], off
	global_load_dword v33, v[20:21], off
	global_load_dword v34, v[22:23], off
	global_load_dword v35, v[24:25], off
	global_load_dword v36, v[26:27], off
	v_add_u32_e32 v12, s70, v72
	v_ashrrev_i32_e32 v13, 31, v12
	v_add_u32_e32 v14, s71, v72
	v_add_u32_e32 v16, s72, v72
	v_add_u32_e32 v18, s73, v72
	v_add_u32_e32 v20, s74, v72
	v_add_u32_e32 v22, s75, v72
	v_add_u32_e32 v24, s76, v72
	v_add_u32_e32 v26, s77, v72
	v_lshl_add_u64 v[12:13], v[12:13], 2, s[0:1]
	v_ashrrev_i32_e32 v15, 31, v14
	v_ashrrev_i32_e32 v17, 31, v16
	v_ashrrev_i32_e32 v19, 31, v18
	v_ashrrev_i32_e32 v21, 31, v20
	v_ashrrev_i32_e32 v23, 31, v22
	v_ashrrev_i32_e32 v25, 31, v24
	v_ashrrev_i32_e32 v27, 31, v26
	v_lshl_add_u64 v[14:15], v[14:15], 2, s[0:1]
	v_lshl_add_u64 v[16:17], v[16:17], 2, s[0:1]
	v_lshl_add_u64 v[18:19], v[18:19], 2, s[0:1]
	v_lshl_add_u64 v[20:21], v[20:21], 2, s[0:1]
	v_lshl_add_u64 v[22:23], v[22:23], 2, s[0:1]
	v_lshl_add_u64 v[24:25], v[24:25], 2, s[0:1]
	v_lshl_add_u64 v[26:27], v[26:27], 2, s[0:1]
	global_load_dword v37, v[12:13], off
	global_load_dword v38, v[14:15], off
	global_load_dword v39, v[16:17], off
	global_load_dword v40, v[18:19], off
	global_load_dword v41, v[20:21], off
	global_load_dword v42, v[22:23], off
	global_load_dword v43, v[24:25], off
	global_load_dword v44, v[26:27], off
	v_add_u32_e32 v12, s78, v72
	v_ashrrev_i32_e32 v13, 31, v12
	v_add_u32_e32 v14, s79, v72
	v_add_u32_e32 v16, s80, v72
	v_add_u32_e32 v18, s81, v72
	v_add_u32_e32 v20, s82, v72
	v_add_u32_e32 v22, s83, v72
	v_add_u32_e32 v24, s84, v72
	v_add_u32_e32 v26, s85, v72
	v_lshl_add_u64 v[12:13], v[12:13], 2, s[0:1]
	v_ashrrev_i32_e32 v15, 31, v14
	v_ashrrev_i32_e32 v17, 31, v16
	v_ashrrev_i32_e32 v19, 31, v18
	v_ashrrev_i32_e32 v21, 31, v20
	v_ashrrev_i32_e32 v23, 31, v22
	v_ashrrev_i32_e32 v25, 31, v24
	v_ashrrev_i32_e32 v27, 31, v26
	v_lshl_add_u64 v[14:15], v[14:15], 2, s[0:1]
	;; [unrolled: 32-line block ×4, first 2 shown]
	v_lshl_add_u64 v[16:17], v[16:17], 2, s[0:1]
	v_lshl_add_u64 v[18:19], v[18:19], 2, s[0:1]
	;; [unrolled: 1-line block ×6, first 2 shown]
	global_load_dword v61, v[12:13], off
	global_load_dword v62, v[14:15], off
	;; [unrolled: 1-line block ×8, first 2 shown]
	v_add_u32_e32 v12, s98, v72
	v_ashrrev_i32_e32 v13, 31, v12
	v_add_u32_e32 v14, s99, v72
	v_add_u32_e32 v16, s24, v72
	;; [unrolled: 1-line block ×5, first 2 shown]
	v_lshl_add_u64 v[12:13], v[12:13], 2, s[0:1]
	v_ashrrev_i32_e32 v15, 31, v14
	v_ashrrev_i32_e32 v17, 31, v16
	;; [unrolled: 1-line block ×5, first 2 shown]
	v_lshl_add_u64 v[14:15], v[14:15], 2, s[0:1]
	v_lshl_add_u64 v[16:17], v[16:17], 2, s[0:1]
	;; [unrolled: 1-line block ×5, first 2 shown]
	global_load_dword v76, v[12:13], off
	global_load_dword v77, v[14:15], off
	;; [unrolled: 1-line block ×6, first 2 shown]
	ds_read_b64 v[18:19], v74 offset:128
	ds_read_b64 v[16:17], v74 offset:160
	ds_read_b64 v[14:15], v74 offset:192
	ds_read_b64 v[12:13], v74 offset:224
	s_waitcnt vmcnt(47)
	ds_write_b32 v73, v28
	s_waitcnt vmcnt(46)
	ds_write_b32 v73, v29 offset:264
	s_waitcnt vmcnt(45)
	ds_write_b32 v73, v0 offset:528
	s_waitcnt vmcnt(44)
	ds_write_b32 v73, v30 offset:792
	s_waitcnt vmcnt(43)
	ds_write_b32 v73, v31 offset:1056
	s_waitcnt vmcnt(42)
	ds_write_b32 v73, v32 offset:1320
	s_waitcnt vmcnt(41)
	ds_write_b32 v73, v33 offset:1584
	s_waitcnt vmcnt(40)
	ds_write_b32 v73, v34 offset:1848
	s_waitcnt vmcnt(39)
	ds_write_b32 v73, v35 offset:2112
	s_waitcnt vmcnt(38)
	ds_write_b32 v73, v36 offset:2376
	s_waitcnt vmcnt(37)
	ds_write_b32 v73, v37 offset:2640
	s_waitcnt vmcnt(36)
	ds_write_b32 v73, v38 offset:2904
	s_waitcnt vmcnt(35)
	ds_write_b32 v73, v39 offset:3168
	s_waitcnt vmcnt(34)
	ds_write_b32 v73, v40 offset:3432
	s_waitcnt vmcnt(33)
	ds_write_b32 v73, v41 offset:3696
	s_waitcnt vmcnt(32)
	ds_write_b32 v73, v42 offset:3960
	ds_read_b64 v[36:37], v74
	ds_read_b64 v[34:35], v74 offset:32
	ds_read_b64 v[30:31], v74 offset:64
	ds_read_b64 v[28:29], v74 offset:96
	ds_read_b64 v[26:27], v74 offset:128
	ds_read_b64 v[24:25], v74 offset:160
	ds_read_b64 v[22:23], v74 offset:192
	ds_read_b64 v[20:21], v74 offset:224
	s_waitcnt vmcnt(31)
	ds_write_b32 v73, v43
	s_waitcnt vmcnt(30)
	ds_write_b32 v73, v44 offset:264
	s_waitcnt vmcnt(29)
	ds_write_b32 v73, v45 offset:528
	s_waitcnt vmcnt(28)
	ds_write_b32 v73, v46 offset:792
	s_waitcnt vmcnt(27)
	ds_write_b32 v73, v47 offset:1056
	s_waitcnt vmcnt(26)
	ds_write_b32 v73, v48 offset:1320
	s_waitcnt vmcnt(25)
	ds_write_b32 v73, v49 offset:1584
	s_waitcnt vmcnt(24)
	ds_write_b32 v73, v50 offset:1848
	s_waitcnt vmcnt(23)
	ds_write_b32 v73, v51 offset:2112
	s_waitcnt vmcnt(22)
	ds_write_b32 v73, v52 offset:2376
	s_waitcnt vmcnt(21)
	ds_write_b32 v73, v53 offset:2640
	s_waitcnt vmcnt(20)
	ds_write_b32 v73, v54 offset:2904
	s_waitcnt vmcnt(19)
	ds_write_b32 v73, v55 offset:3168
	s_waitcnt vmcnt(18)
	ds_write_b32 v73, v56 offset:3432
	s_waitcnt vmcnt(17)
	ds_write_b32 v73, v57 offset:3696
	s_waitcnt vmcnt(16)
	ds_write_b32 v73, v58 offset:3960
	ds_read_b64 v[50:51], v74
	ds_read_b64 v[48:49], v74 offset:32
	ds_read_b64 v[46:47], v74 offset:64
	ds_read_b64 v[44:45], v74 offset:96
	;; [unrolled: 40-line block ×3, first 2 shown]
	ds_read_b64 v[62:63], v74 offset:128
	ds_read_b64 v[58:59], v74 offset:160
	;; [unrolled: 1-line block ×4, first 2 shown]
	v_mov_b32_e32 v75, 0
	v_mov_b32_e32 v0, 0
	s_cbranch_vccnz .LBB132_9
; %bb.7:                                ;   in Loop: Header=BB132_6 Depth=1
	s_load_dword vcc_lo, s[36:37], 0x0
	v_mov_b32_e32 v0, 0
	v_mov_b32_e32 v75, 0
	s_waitcnt lgkmcnt(0)
	s_mul_hi_u32 vcc_hi, vcc_lo, s16
	s_add_i32 vcc_hi, vcc_lo, vcc_hi
	s_lshr_b32 s28, vcc_hi, s17
	s_cmp_ge_i32 s28, s13
	s_cbranch_scc1 .LBB132_9
; %bb.8:                                ;   in Loop: Header=BB132_6 Depth=1
	s_mul_i32 vcc_hi, s28, s18
	s_sub_i32 s29, vcc_lo, vcc_hi
	s_mul_i32 s28, s28, s20
	s_mul_i32 s29, s29, s9
	v_add_u32_e32 v0, s28, v72
	v_lshl_add_u32 v76, v0, 1, s29
	v_ashrrev_i32_e32 v77, 31, v76
	v_lshl_add_u64 v[76:77], v[76:77], 2, s[6:7]
	global_load_dwordx2 v[76:77], v[76:77], off
	s_waitcnt vmcnt(0)
	v_cvt_pk_bf16_f32 v75, v76, s0
	v_cvt_pk_bf16_f32 v0, v77, s0
.LBB132_9:                              ;   in Loop: Header=BB132_6 Depth=1
	v_mov_b32_e32 v76, 0
	s_andn2_b64 vcc, exec, s[38:39]
	v_mov_b32_e32 v78, 0
	v_mov_b32_e32 v77, 0
	s_cbranch_vccnz .LBB132_12
; %bb.10:                               ;   in Loop: Header=BB132_6 Depth=1
	s_load_dword vcc_lo, s[36:37], 0x4
	v_mov_b32_e32 v77, 0
	v_mov_b32_e32 v78, 0
	s_waitcnt lgkmcnt(0)
	s_mul_hi_u32 s28, vcc_lo, s16
	s_add_i32 s28, vcc_lo, s28
	s_lshr_b32 vcc_hi, s28, s17
	s_cmp_ge_i32 vcc_hi, s13
	s_cbranch_scc1 .LBB132_12
; %bb.11:                               ;   in Loop: Header=BB132_6 Depth=1
	s_mul_i32 s28, vcc_hi, s18
	s_sub_i32 s28, vcc_lo, s28
	s_mul_i32 vcc_hi, vcc_hi, s20
	s_mul_i32 s28, s28, s9
	v_add_u32_e32 v77, vcc_hi, v72
	v_lshl_add_u32 v78, v77, 1, s28
	v_ashrrev_i32_e32 v79, 31, v78
	v_lshl_add_u64 v[78:79], v[78:79], 2, s[6:7]
	global_load_dwordx2 v[78:79], v[78:79], off
	s_waitcnt vmcnt(0)
	v_cvt_pk_bf16_f32 v78, v78, s0
	v_cvt_pk_bf16_f32 v77, v79, s0
.LBB132_12:                             ;   in Loop: Header=BB132_6 Depth=1
	s_andn2_b64 vcc, exec, s[40:41]
	v_mov_b32_e32 v79, 0
	s_cbranch_vccnz .LBB132_5
; %bb.13:                               ;   in Loop: Header=BB132_6 Depth=1
	s_load_dword vcc_lo, s[36:37], 0x8
	v_mov_b32_e32 v79, 0
	v_mov_b32_e32 v76, 0
	s_waitcnt lgkmcnt(0)
	s_mul_hi_u32 s28, vcc_lo, s16
	s_add_i32 s28, vcc_lo, s28
	s_lshr_b32 vcc_hi, s28, s17
	s_cmp_ge_i32 vcc_hi, s13
	s_cbranch_scc1 .LBB132_5
; %bb.14:                               ;   in Loop: Header=BB132_6 Depth=1
	s_mul_i32 s28, vcc_hi, s18
	s_sub_i32 s28, vcc_lo, s28
	s_mul_i32 vcc_hi, vcc_hi, s20
	s_mul_i32 s28, s28, s9
	v_add_u32_e32 v76, vcc_hi, v72
	v_lshl_add_u32 v80, v76, 1, s28
	v_ashrrev_i32_e32 v81, 31, v80
	v_lshl_add_u64 v[80:81], v[80:81], 2, s[6:7]
	global_load_dwordx2 v[80:81], v[80:81], off
	s_waitcnt vmcnt(0)
	v_cvt_pk_bf16_f32 v76, v80, s0
	v_cvt_pk_bf16_f32 v79, v81, s0
	s_branch .LBB132_5
.LBB132_15:
	s_or_b64 exec, exec, s[4:5]
	v_readlane_b32 s24, v82, 4
	v_readlane_b32 s25, v82, 5
.LBB132_16:
	s_or_b64 exec, exec, s[30:31]
	v_lshl_add_u32 v0, v70, 2, 0
	v_mul_u32_u24_e32 v1, 0x408, v71
	v_and_b32_e32 v2, 0x3f0, v68
	v_add3_u32 v0, v0, v1, v2
	v_accvgpr_read_b32 v1, a5
	v_accvgpr_read_b32 v2, a4
	s_barrier
	ds_write2_b32 v0, v2, v1 offset1:1
	v_accvgpr_read_b32 v1, a7
	v_accvgpr_read_b32 v2, a6
	ds_write2_b32 v0, v2, v1 offset0:2 offset1:3
	v_accvgpr_read_b32 v1, a1
	v_accvgpr_read_b32 v2, a0
	ds_write2_b32 v0, v2, v1 offset0:16 offset1:17
	;; [unrolled: 3-line block ×6, first 2 shown]
	v_accvgpr_read_b32 v1, a15
	v_accvgpr_read_b32 v2, a14
	v_cmp_gt_u32_e32 vcc, 3, v69
	ds_write2_b32 v0, v2, v1 offset0:50 offset1:51
	s_waitcnt lgkmcnt(0)
	s_barrier
	s_and_saveexec_b64 s[0:1], vcc
	s_cbranch_execz .LBB132_20
; %bb.17:
	v_add_u32_e32 v0, s2, v69
	s_cmp_gt_i32 s14, 0
	v_cmp_gt_i32_e32 vcc, s33, v0
	s_cselect_b64 s[0:1], -1, 0
	s_and_b64 s[0:1], s[0:1], vcc
	s_and_b64 exec, exec, s[0:1]
	s_cbranch_execz .LBB132_20
; %bb.18:
	s_lshl_b64 s[0:1], s[26:27], 2
	v_readlane_b32 s2, v82, 0
	v_readlane_b32 s3, v82, 1
	s_add_u32 s0, s2, s0
	s_addc_u32 s1, s3, s1
	v_ashrrev_i32_e32 v1, 31, v0
	v_lshl_add_u64 v[0:1], v[0:1], 2, s[0:1]
	global_load_dword v0, v[0:1], off
	s_waitcnt vmcnt(0)
	v_mul_hi_u32 v1, v0, s19
	v_add_u32_e32 v1, v0, v1
	v_lshrrev_b32_e32 v1, s24, v1
	v_cmp_gt_i32_e32 vcc, s13, v1
	s_and_b64 exec, exec, vcc
	s_cbranch_execz .LBB132_20
; %bb.19:
	v_lshlrev_b32_e32 v2, 2, v68
	v_mul_u32_u24_e32 v3, 0x408, v69
	v_add3_u32 v4, 0, v2, v3
	ds_read2st64_b32 v[2:3], v4 offset1:1
	ds_read2st64_b32 v[4:5], v4 offset0:2 offset1:3
	v_mul_lo_u32 v7, v1, s25
	v_sub_u32_e32 v0, v0, v7
	v_add_u32_e32 v6, s11, v68
	s_waitcnt lgkmcnt(1)
	v_add_f32_e32 v2, 0, v2
	v_add_f32_e32 v2, v2, v3
	v_mul_lo_u32 v0, v0, s10
	v_mul_lo_u32 v1, v1, s21
	v_readlane_b32 s0, v82, 2
	s_waitcnt lgkmcnt(0)
	v_add_f32_e32 v2, v2, v4
	v_add3_u32 v0, v6, v1, v0
	v_mov_b32_e32 v1, 0
	v_readlane_b32 s1, v82, 3
	v_add_f32_e32 v2, v2, v5
	s_nop 0
	v_lshl_add_u64 v[0:1], v[0:1], 2, s[0:1]
	global_store_dword v[0:1], v2, off
.LBB132_20:
	s_endpgm
	.section	.rodata,"a",@progbits
	.p2align	6, 0x0
	.amdhsa_kernel _ZL13mul_mat_f_idsI15__hip_bfloat162Li64ELi3ELi4EEvPKT_PKfPKiS7_S7_Pfiiiiiiiiiiiiii15HIP_vector_typeIjLj3EESA_
		.amdhsa_group_segment_fixed_size 0
		.amdhsa_private_segment_fixed_size 0
		.amdhsa_kernarg_size 128
		.amdhsa_user_sgpr_count 2
		.amdhsa_user_sgpr_dispatch_ptr 0
		.amdhsa_user_sgpr_queue_ptr 0
		.amdhsa_user_sgpr_kernarg_segment_ptr 1
		.amdhsa_user_sgpr_dispatch_id 0
		.amdhsa_user_sgpr_kernarg_preload_length 0
		.amdhsa_user_sgpr_kernarg_preload_offset 0
		.amdhsa_user_sgpr_private_segment_size 0
		.amdhsa_uses_dynamic_stack 0
		.amdhsa_enable_private_segment 0
		.amdhsa_system_sgpr_workgroup_id_x 1
		.amdhsa_system_sgpr_workgroup_id_y 1
		.amdhsa_system_sgpr_workgroup_id_z 1
		.amdhsa_system_sgpr_workgroup_info 0
		.amdhsa_system_vgpr_workitem_id 1
		.amdhsa_next_free_vgpr 100
		.amdhsa_next_free_sgpr 100
		.amdhsa_accum_offset 84
		.amdhsa_reserve_vcc 1
		.amdhsa_float_round_mode_32 0
		.amdhsa_float_round_mode_16_64 0
		.amdhsa_float_denorm_mode_32 3
		.amdhsa_float_denorm_mode_16_64 3
		.amdhsa_dx10_clamp 1
		.amdhsa_ieee_mode 1
		.amdhsa_fp16_overflow 0
		.amdhsa_tg_split 0
		.amdhsa_exception_fp_ieee_invalid_op 0
		.amdhsa_exception_fp_denorm_src 0
		.amdhsa_exception_fp_ieee_div_zero 0
		.amdhsa_exception_fp_ieee_overflow 0
		.amdhsa_exception_fp_ieee_underflow 0
		.amdhsa_exception_fp_ieee_inexact 0
		.amdhsa_exception_int_div_zero 0
	.end_amdhsa_kernel
	.section	.text._ZL13mul_mat_f_idsI15__hip_bfloat162Li64ELi3ELi4EEvPKT_PKfPKiS7_S7_Pfiiiiiiiiiiiiii15HIP_vector_typeIjLj3EESA_,"axG",@progbits,_ZL13mul_mat_f_idsI15__hip_bfloat162Li64ELi3ELi4EEvPKT_PKfPKiS7_S7_Pfiiiiiiiiiiiiii15HIP_vector_typeIjLj3EESA_,comdat
.Lfunc_end132:
	.size	_ZL13mul_mat_f_idsI15__hip_bfloat162Li64ELi3ELi4EEvPKT_PKfPKiS7_S7_Pfiiiiiiiiiiiiii15HIP_vector_typeIjLj3EESA_, .Lfunc_end132-_ZL13mul_mat_f_idsI15__hip_bfloat162Li64ELi3ELi4EEvPKT_PKfPKiS7_S7_Pfiiiiiiiiiiiiii15HIP_vector_typeIjLj3EESA_
                                        ; -- End function
	.set _ZL13mul_mat_f_idsI15__hip_bfloat162Li64ELi3ELi4EEvPKT_PKfPKiS7_S7_Pfiiiiiiiiiiiiii15HIP_vector_typeIjLj3EESA_.num_vgpr, 83
	.set _ZL13mul_mat_f_idsI15__hip_bfloat162Li64ELi3ELi4EEvPKT_PKfPKiS7_S7_Pfiiiiiiiiiiiiii15HIP_vector_typeIjLj3EESA_.num_agpr, 16
	.set _ZL13mul_mat_f_idsI15__hip_bfloat162Li64ELi3ELi4EEvPKT_PKfPKiS7_S7_Pfiiiiiiiiiiiiii15HIP_vector_typeIjLj3EESA_.numbered_sgpr, 100
	.set _ZL13mul_mat_f_idsI15__hip_bfloat162Li64ELi3ELi4EEvPKT_PKfPKiS7_S7_Pfiiiiiiiiiiiiii15HIP_vector_typeIjLj3EESA_.num_named_barrier, 0
	.set _ZL13mul_mat_f_idsI15__hip_bfloat162Li64ELi3ELi4EEvPKT_PKfPKiS7_S7_Pfiiiiiiiiiiiiii15HIP_vector_typeIjLj3EESA_.private_seg_size, 0
	.set _ZL13mul_mat_f_idsI15__hip_bfloat162Li64ELi3ELi4EEvPKT_PKfPKiS7_S7_Pfiiiiiiiiiiiiii15HIP_vector_typeIjLj3EESA_.uses_vcc, 1
	.set _ZL13mul_mat_f_idsI15__hip_bfloat162Li64ELi3ELi4EEvPKT_PKfPKiS7_S7_Pfiiiiiiiiiiiiii15HIP_vector_typeIjLj3EESA_.uses_flat_scratch, 0
	.set _ZL13mul_mat_f_idsI15__hip_bfloat162Li64ELi3ELi4EEvPKT_PKfPKiS7_S7_Pfiiiiiiiiiiiiii15HIP_vector_typeIjLj3EESA_.has_dyn_sized_stack, 0
	.set _ZL13mul_mat_f_idsI15__hip_bfloat162Li64ELi3ELi4EEvPKT_PKfPKiS7_S7_Pfiiiiiiiiiiiiii15HIP_vector_typeIjLj3EESA_.has_recursion, 0
	.set _ZL13mul_mat_f_idsI15__hip_bfloat162Li64ELi3ELi4EEvPKT_PKfPKiS7_S7_Pfiiiiiiiiiiiiii15HIP_vector_typeIjLj3EESA_.has_indirect_call, 0
	.section	.AMDGPU.csdata,"",@progbits
; Kernel info:
; codeLenInByte = 4916
; TotalNumSgprs: 106
; NumVgprs: 83
; NumAgprs: 16
; TotalNumVgprs: 100
; ScratchSize: 0
; MemoryBound: 0
; FloatMode: 240
; IeeeMode: 1
; LDSByteSize: 0 bytes/workgroup (compile time only)
; SGPRBlocks: 13
; VGPRBlocks: 12
; NumSGPRsForWavesPerEU: 106
; NumVGPRsForWavesPerEU: 100
; AccumOffset: 84
; Occupancy: 4
; WaveLimiterHint : 1
; COMPUTE_PGM_RSRC2:SCRATCH_EN: 0
; COMPUTE_PGM_RSRC2:USER_SGPR: 2
; COMPUTE_PGM_RSRC2:TRAP_HANDLER: 0
; COMPUTE_PGM_RSRC2:TGID_X_EN: 1
; COMPUTE_PGM_RSRC2:TGID_Y_EN: 1
; COMPUTE_PGM_RSRC2:TGID_Z_EN: 1
; COMPUTE_PGM_RSRC2:TIDIG_COMP_CNT: 1
; COMPUTE_PGM_RSRC3_GFX90A:ACCUM_OFFSET: 20
; COMPUTE_PGM_RSRC3_GFX90A:TG_SPLIT: 0
	.section	.text._ZL9mul_mat_fI15__hip_bfloat162Li64ELi3ELi4ELb1EEvPKT_PKfPKiPfiiiiiiiiiiiiiiii,"axG",@progbits,_ZL9mul_mat_fI15__hip_bfloat162Li64ELi3ELi4ELb1EEvPKT_PKfPKiPfiiiiiiiiiiiiiiii,comdat
	.globl	_ZL9mul_mat_fI15__hip_bfloat162Li64ELi3ELi4ELb1EEvPKT_PKfPKiPfiiiiiiiiiiiiiiii ; -- Begin function _ZL9mul_mat_fI15__hip_bfloat162Li64ELi3ELi4ELb1EEvPKT_PKfPKiPfiiiiiiiiiiiiiiii
	.p2align	8
	.type	_ZL9mul_mat_fI15__hip_bfloat162Li64ELi3ELi4ELb1EEvPKT_PKfPKiPfiiiiiiiiiiiiiiii,@function
_ZL9mul_mat_fI15__hip_bfloat162Li64ELi3ELi4ELb1EEvPKT_PKfPKiPfiiiiiiiiiiiiiiii: ; @_ZL9mul_mat_fI15__hip_bfloat162Li64ELi3ELi4ELb1EEvPKT_PKfPKiPfiiiiiiiiiiiiiiii
; %bb.0:
	s_load_dwordx8 s[8:15], s[0:1], 0x20
	s_waitcnt lgkmcnt(0)
	s_add_i32 s5, s9, 2
	s_mul_hi_i32 s5, s5, 0x55555556
	s_lshr_b32 s6, s5, 31
	s_add_i32 s5, s5, s6
	v_cvt_f32_u32_e32 v1, s5
	s_load_dwordx8 s[16:23], s[0:1], 0x44
	s_load_dword s6, s[0:1], 0x64
	s_add_u32 s28, s0, 0x60
	s_addc_u32 s29, s1, 0
	v_rcp_iflag_f32_e32 v1, v1
	s_sub_i32 s7, 0, s5
	s_waitcnt lgkmcnt(0)
	s_abs_i32 s23, s19
	s_abs_i32 s33, s4
	v_mul_f32_e32 v1, 0x4f7ffffe, v1
	v_cvt_u32_f32_e32 v1, v1
	v_mul_lo_u32 v2, s7, v1
	v_mul_hi_u32 v2, v1, v2
	v_add_u32_e32 v1, v1, v2
	v_mul_hi_u32 v1, s6, v1
	v_mul_lo_u32 v2, v1, s5
	v_sub_u32_e32 v2, s6, v2
	v_add_u32_e32 v3, 1, v1
	v_subrev_u32_e32 v4, s5, v2
	v_cmp_le_u32_e32 vcc, s5, v2
	s_nop 1
	v_cndmask_b32_e32 v1, v1, v3, vcc
	v_cndmask_b32_e32 v2, v2, v4, vcc
	v_add_u32_e32 v3, 1, v1
	v_cmp_le_u32_e32 vcc, s5, v2
	s_sub_i32 s5, 0, s23
	s_nop 0
	v_cndmask_b32_e32 v1, v1, v3, vcc
	v_cvt_f32_u32_e32 v2, v1
	v_cvt_f32_u32_e32 v3, s23
	v_sub_u32_e32 v4, 0, v1
	v_rcp_iflag_f32_e32 v2, v2
	v_rcp_iflag_f32_e32 v3, v3
	v_mul_f32_e32 v2, 0x4f7ffffe, v2
	v_cvt_u32_f32_e32 v2, v2
	v_mul_f32_e32 v3, 0x4f7ffffe, v3
	v_cvt_u32_f32_e32 v3, v3
	v_mul_lo_u32 v4, v4, v2
	v_mul_hi_u32 v4, v2, v4
	v_add_u32_e32 v2, v2, v4
	v_mul_hi_u32 v4, s3, v2
	v_mul_lo_u32 v2, s5, v3
	v_mul_hi_u32 v2, v3, v2
	v_add_u32_e32 v5, v3, v2
	v_bfe_u32 v3, v0, 10, 10
	s_movk_i32 s5, 0x1080
	v_mov_b32_e32 v2, 0x100
	v_mad_u32_u24 v78, v3, s5, v2
	v_and_b32_e32 v2, 0x3ff, v0
	v_cmp_eq_u32_e32 vcc, 0, v2
	v_mul_i32_i24_e32 v79, 0xffffef84, v3
	s_and_saveexec_b64 s[6:7], vcc
; %bb.1:
	v_add_u32_e32 v6, v78, v79
	v_mov_b32_e32 v7, -1
	ds_write_b32 v6, v7
; %bb.2:
	s_or_b64 exec, exec, s[6:7]
	v_mul_hi_u32 v8, s33, v5
	v_mul_lo_u32 v5, v4, v1
	v_sub_u32_e32 v5, s3, v5
	v_add_u32_e32 v6, 1, v4
	v_sub_u32_e32 v7, v5, v1
	v_cmp_ge_u32_e32 vcc, v5, v1
	s_load_dwordx2 s[26:27], s[0:1], 0x8
	s_load_dwordx2 s[24:25], s[0:1], 0x18
	v_cndmask_b32_e32 v4, v4, v6, vcc
	v_cndmask_b32_e32 v5, v5, v7, vcc
	v_add_u32_e32 v6, 1, v4
	v_cmp_ge_u32_e32 vcc, v5, v1
	v_cmp_gt_i32_e64 s[6:7], s10, v2
	s_nop 0
	v_cndmask_b32_e32 v4, v4, v6, vcc
	v_mul_lo_u32 v80, v4, 3
	v_add_u32_e32 v81, v80, v3
	v_mul_lo_u32 v1, v4, v1
	v_cmp_gt_i32_e32 vcc, s9, v81
	v_sub_u32_e32 v9, s3, v1
	s_and_b64 s[6:7], vcc, s[6:7]
	v_mov_b32_e32 v1, 0
	s_and_saveexec_b64 s[30:31], s[6:7]
	s_cbranch_execz .LBB133_8
; %bb.3:
	s_load_dwordx2 s[6:7], s[0:1], 0x10
	v_mul_hi_i32 v5, v80, s15
	v_mul_lo_u32 v4, v80, s15
	v_mul_lo_u32 v6, s15, v3
	v_lshlrev_b64 v[4:5], 2, v[4:5]
	s_waitcnt lgkmcnt(0)
	v_lshl_add_u64 v[4:5], s[6:7], 0, v[4:5]
	v_ashrrev_i32_e32 v7, 31, v6
	v_lshl_add_u64 v[4:5], v[6:7], 2, v[4:5]
	v_mul_lo_u32 v6, v2, s14
	s_lshl_b32 s3, s14, 6
	v_mov_b32_e32 v1, 0
	s_mov_b64 s[14:15], 0
	v_add_u32_e32 v10, v78, v79
	v_mov_b32_e32 v11, v2
	s_branch .LBB133_5
.LBB133_4:                              ;   in Loop: Header=BB133_5 Depth=1
	s_or_b64 exec, exec, s[34:35]
	v_add_u32_e32 v11, 64, v11
	v_cmp_le_i32_e64 s[6:7], s10, v11
	s_xor_b64 s[34:35], vcc, -1
	s_or_b64 s[6:7], s[34:35], s[6:7]
	s_and_b64 s[6:7], exec, s[6:7]
	s_or_b64 s[14:15], s[6:7], s[14:15]
	v_add_u32_e32 v6, s3, v6
	s_andn2_b64 exec, exec, s[14:15]
	s_cbranch_execz .LBB133_7
.LBB133_5:                              ; =>This Inner Loop Header: Depth=1
	v_ashrrev_i32_e32 v7, 31, v6
	v_lshl_add_u64 v[12:13], v[6:7], 2, v[4:5]
	global_load_dword v7, v[12:13], off
	s_waitcnt vmcnt(0)
	v_cmp_ne_u32_e32 vcc, v7, v9
	v_cmp_eq_u32_e64 s[6:7], v7, v9
	s_and_saveexec_b64 s[34:35], s[6:7]
	s_cbranch_execz .LBB133_4
; %bb.6:                                ;   in Loop: Header=BB133_5 Depth=1
	v_mov_b32_e32 v1, 1
	ds_write_b32 v10, v11
	s_branch .LBB133_4
.LBB133_7:
	s_or_b64 exec, exec, s[14:15]
.LBB133_8:
	s_or_b64 exec, exec, s[30:31]
	s_load_dwordx2 s[6:7], s[0:1], 0x0
	v_or_b32_dpp v1, v1, v1 row_shl:1 row_mask:0xf bank_mask:0xf bound_ctrl:1
	s_load_dwordx2 s[0:1], s[28:29], 0xc
	s_ashr_i32 s3, s4, 31
	v_or_b32_dpp v1, v1, v1 row_shl:2 row_mask:0xf bank_mask:0xf bound_ctrl:1
	s_ashr_i32 s10, s19, 31
	s_waitcnt lgkmcnt(0)
	s_and_b32 s5, s1, 0xffff
	s_lshr_b32 s1, s0, 16
	s_and_b32 s0, s0, 0xffff
	s_mul_i32 s14, s1, s0
	v_or_b32_dpp v1, v1, v1 row_shl:4 row_mask:0xf bank_mask:0xf bound_ctrl:1
	s_bfe_i32 s14, s14, 0x180000
	s_mul_i32 s5, s14, s5
	v_or_b32_dpp v1, v1, v1 row_shl:8 row_mask:0xf bank_mask:0xf bound_ctrl:1
	s_add_i32 s14, s5, 63
	s_bitcmp1_b32 exec_hi, 0
	v_mov_b32_dpp v4, v1 wave_shl:1 row_mask:0xf bank_mask:0xf bound_ctrl:1
	s_nop 1
	v_or_b32_dpp v1, v4, v1 row_mirror row_mask:0xf bank_mask:0xf bound_ctrl:1
	s_nop 0
	v_readlane_b32 s5, v1, 32
	s_cselect_b32 s5, s5, 0
	v_readlane_b32 s15, v1, 0
	s_or_b32 s5, s5, s15
	s_andn2_b32 s14, s14, 63
	s_cmp_lg_u32 s14, 64
	v_mov_b32_e32 v1, s5
	s_cbranch_scc0 .LBB133_15
; %bb.9:
	v_bfe_u32 v0, v0, 20, 10
	v_mbcnt_lo_u32_b32 v1, -1, 0
	v_mad_u32_u24 v0, v0, s1, v3
	v_mbcnt_hi_u32_b32 v4, -1, v1
	v_mad_u64_u32 v[0:1], s[0:1], v0, s0, v[2:3]
	v_lshrrev_b32_e32 v1, 6, v0
	v_or_b32_e32 v1, v4, v1
	v_cmp_eq_u32_e32 vcc, 0, v1
	s_and_saveexec_b64 s[0:1], vcc
; %bb.10:
	v_mov_b32_e32 v1, 0
	v_mov_b32_e32 v5, s5
	ds_write_b32 v1, v5
; %bb.11:
	s_or_b64 exec, exec, s[0:1]
	v_cmp_eq_u32_e32 vcc, 0, v4
	v_cmp_lt_u32_e64 s[0:1], 63, v0
	s_and_b64 s[14:15], s[0:1], vcc
	s_waitcnt lgkmcnt(0)
	s_barrier
	s_and_saveexec_b64 s[0:1], s[14:15]
	s_cbranch_execz .LBB133_14
; %bb.12:
	v_mbcnt_lo_u32_b32 v0, exec_lo, 0
	v_mbcnt_hi_u32_b32 v0, exec_hi, v0
	v_cmp_eq_u32_e32 vcc, 0, v0
	s_and_b64 exec, exec, vcc
; %bb.13:
	v_mov_b32_e32 v0, 0
	v_mov_b32_e32 v1, s5
	ds_or_b32 v0, v1
.LBB133_14:
	s_or_b64 exec, exec, s[0:1]
	v_mov_b32_e32 v0, 0
	s_waitcnt lgkmcnt(0)
	s_barrier
	ds_read_b32 v1, v0
	s_waitcnt lgkmcnt(0)
	s_barrier
.LBB133_15:
	v_cmp_ne_u32_e32 vcc, 0, v1
	s_cbranch_vccz .LBB133_37
; %bb.16:
	v_lshlrev_b32_e32 v82, 6, v3
	v_add_u32_e32 v84, v82, v2
	v_cmp_le_i32_e32 vcc, s8, v84
	v_and_b32_e32 v83, 15, v2
	s_and_saveexec_b64 s[0:1], vcc
	s_xor_b64 s[0:1], exec, s[0:1]
; %bb.17:
	v_and_b32_e32 v83, 15, v2
                                        ; implicit-def: $vgpr84
                                        ; implicit-def: $vgpr8
                                        ; implicit-def: $vgpr9
; %bb.18:
	s_or_saveexec_b64 s[14:15], s[0:1]
	s_lshl_b32 s5, s2, 6
	v_mov_b32_e32 v1, 0
	v_accvgpr_write_b32 a0, 0
	v_accvgpr_write_b32 a1, 0
	;; [unrolled: 1-line block ×16, first 2 shown]
	s_xor_b64 exec, exec, s[14:15]
	s_cbranch_execz .LBB133_34
; %bb.19:
	v_mul_lo_u32 v0, v8, s23
	v_sub_u32_e32 v0, s33, v0
	v_add_u32_e32 v4, 1, v8
	v_subrev_u32_e32 v5, s23, v0
	v_cmp_le_u32_e32 vcc, s23, v0
	s_xor_b32 s0, s3, s10
	v_mul_lo_u32 v6, v9, s16
	v_cndmask_b32_e32 v4, v8, v4, vcc
	v_cndmask_b32_e32 v0, v0, v5, vcc
	v_add_u32_e32 v5, 1, v4
	v_cmp_le_u32_e32 vcc, s23, v0
	s_mul_hi_i32 s3, s21, s4
	s_mul_i32 s2, s21, s4
	v_cndmask_b32_e32 v0, v4, v5, vcc
	v_xor_b32_e32 v0, s0, v0
	v_subrev_u32_e32 v0, s0, v0
	s_mul_i32 s0, s11, s5
	v_mul_hi_i32 v5, v0, s20
	v_mul_lo_u32 v4, v0, s20
	s_ashr_i32 s1, s0, 31
	v_ashrrev_i32_e32 v7, 31, v6
	v_lshlrev_b64 v[8:9], 2, v[4:5]
	s_lshl_b64 s[0:1], s[0:1], 2
	s_lshl_b64 s[2:3], s[2:3], 2
	v_lshrrev_b32_e32 v12, 1, v2
	v_lshl_add_u64 v[4:5], s[6:7], 0, v[8:9]
	v_lshlrev_b64 v[10:11], 2, v[6:7]
	v_mul_hi_i32 v7, s12, v80
	v_mul_lo_u32 v6, s12, v80
	s_add_u32 s2, s26, s2
	v_mul_u32_u24_e32 v0, 0x108, v83
	v_and_b32_e32 v12, 0x1f8, v12
	v_lshl_add_u64 v[8:9], v[8:9], 0, s[0:1]
	v_lshlrev_b64 v[6:7], 3, v[6:7]
	s_addc_u32 s3, s27, s3
	v_add3_u32 v86, v78, v0, v12
	v_lshl_add_u64 v[8:9], v[8:9], 0, v[10:11]
	v_lshlrev_b32_e32 v0, 1, v2
	v_lshl_add_u64 v[4:5], v[4:5], 0, v[10:11]
	v_lshl_add_u64 v[6:7], s[2:3], 0, v[6:7]
	v_add_u32_e32 v12, 1, v80
	v_add_u32_e32 v13, 2, v80
	s_ashr_i32 s3, s11, 31
	s_mov_b32 s2, s11
	v_lshl_add_u64 v[8:9], s[6:7], 0, v[8:9]
	v_lshl_add_u32 v87, v3, 7, v0
	v_lshlrev_b32_e32 v0, 2, v84
	v_lshl_add_u64 v[4:5], v[4:5], 0, s[0:1]
	v_lshl_add_u32 v85, v2, 2, v78
	s_lshl_b32 s16, s12, 2
	s_add_i32 s19, s11, s11
	s_mul_i32 s23, s11, 3
	s_lshl_b32 s28, s11, 2
	s_mul_i32 s29, s11, 5
	s_mul_i32 s30, s11, 6
	;; [unrolled: 1-line block ×3, first 2 shown]
	s_lshl_b32 s33, s11, 3
	s_mul_i32 s34, s11, 9
	s_mul_i32 s35, s11, 10
	;; [unrolled: 1-line block ×7, first 2 shown]
	s_lshl_b32 s41, s11, 4
	s_mul_i32 s42, s11, 17
	s_mul_i32 s43, s11, 18
	;; [unrolled: 1-line block ×15, first 2 shown]
	s_lshl_b32 s57, s11, 5
	s_mul_i32 s58, s11, 33
	s_mul_i32 s59, s11, 34
	;; [unrolled: 1-line block ×22, first 2 shown]
	v_cmp_gt_i32_e64 s[0:1], s9, v80
	s_mul_i32 s80, s11, 55
	s_mul_i32 s81, s11, 56
	s_lshl_b64 s[20:21], s[2:3], 2
	v_accvgpr_write_b32 a15, 0
	v_accvgpr_write_b32 a14, 0
	;; [unrolled: 1-line block ×16, first 2 shown]
	v_lshl_add_u64 v[8:9], v[8:9], 0, v[0:1]
	v_mov_b32_e32 v0, 0x100
	s_mul_i32 s82, s11, 57
	s_mul_i32 s83, s11, 58
	;; [unrolled: 1-line block ×7, first 2 shown]
	s_lshl_b32 s12, s12, 1
	v_cmp_gt_i32_e64 s[2:3], s9, v12
	v_cmp_gt_i32_e64 s[6:7], s9, v13
	s_mov_b64 s[10:11], 0
	s_mov_b64 s[26:27], 0x400
	s_branch .LBB133_22
.LBB133_20:                             ;   in Loop: Header=BB133_22 Depth=1
	v_mul_lo_u32 v74, v74, s17
	v_add_u32_e32 v74, s16, v74
	v_add_u32_e32 v74, v74, v87
	v_ashrrev_i32_e32 v75, 31, v74
	v_lshl_add_u64 v[74:75], v[74:75], 2, v[6:7]
	global_load_dwordx2 v[74:75], v[74:75], off
.LBB133_21:                             ;   in Loop: Header=BB133_22 Depth=1
	s_waitcnt vmcnt(0)
	v_cvt_pk_bf16_f32 v74, v74, v75
	ds_write2_b32 v85, v74, v1 offset0:148 offset1:214
	v_add_u32_e32 v74, 0x400, v85
	ds_write2_b32 v74, v1, v1 offset0:24 offset1:90
	ds_write2_b32 v74, v1, v1 offset0:156 offset1:222
	v_add_u32_e32 v74, 0x800, v85
	ds_write2_b32 v74, v1, v1 offset0:32 offset1:98
	;; [unrolled: 3-line block ×3, first 2 shown]
	ds_write2_b32 v74, v1, v1 offset0:172 offset1:238
	ds_read2_b64 v[74:77], v86 offset0:8 offset1:12
	v_add_u32_e32 v84, 0x100, v84
	s_waitcnt lgkmcnt(0)
	v_mfma_f32_16x16x16_bf16 a[8:11], v[42:43], v[74:75], a[8:11]
	v_cmp_le_i32_e32 vcc, s8, v84
	v_add_u32_e32 v87, 0x200, v87
	v_lshl_add_u64 v[8:9], v[8:9], 0, s[26:27]
	v_mfma_f32_16x16x16_bf16 a[12:15], v[28:29], v[74:75], a[12:15]
	s_or_b64 s[10:11], vcc, s[10:11]
	v_mfma_f32_16x16x16_bf16 a[4:7], v[56:57], v[74:75], a[4:7]
	v_mfma_f32_16x16x16_bf16 a[0:3], v[72:73], v[74:75], a[0:3]
	v_mfma_f32_16x16x16_bf16 a[8:11], v[40:41], v[76:77], a[8:11]
	ds_read2_b64 v[40:43], v86 offset0:16 offset1:20
	v_mfma_f32_16x16x16_bf16 a[12:15], v[22:23], v[76:77], a[12:15]
	v_mfma_f32_16x16x16_bf16 a[4:7], v[54:55], v[76:77], a[4:7]
	v_mfma_f32_16x16x16_bf16 a[0:3], v[70:71], v[76:77], a[0:3]
	s_waitcnt lgkmcnt(0)
	v_mfma_f32_16x16x16_bf16 a[12:15], v[20:21], v[40:41], a[12:15]
	v_mfma_f32_16x16x16_bf16 a[8:11], v[36:37], v[40:41], a[8:11]
	v_mfma_f32_16x16x16_bf16 a[4:7], v[52:53], v[40:41], a[4:7]
	v_mfma_f32_16x16x16_bf16 a[0:3], v[68:69], v[40:41], a[0:3]
	v_mfma_f32_16x16x16_bf16 a[12:15], v[18:19], v[42:43], a[12:15]
	ds_read2_b64 v[18:21], v86 offset0:24 offset1:28
	v_mfma_f32_16x16x16_bf16 a[8:11], v[34:35], v[42:43], a[8:11]
	v_mfma_f32_16x16x16_bf16 a[4:7], v[50:51], v[42:43], a[4:7]
	v_mfma_f32_16x16x16_bf16 a[0:3], v[66:67], v[42:43], a[0:3]
	s_waitcnt lgkmcnt(0)
	v_mfma_f32_16x16x16_bf16 a[12:15], v[16:17], v[18:19], a[12:15]
	v_mfma_f32_16x16x16_bf16 a[8:11], v[32:33], v[18:19], a[8:11]
	;; [unrolled: 10-line block ×3, first 2 shown]
	v_mfma_f32_16x16x16_bf16 a[4:7], v[44:45], v[14:15], a[4:7]
	v_mfma_f32_16x16x16_bf16 a[0:3], v[60:61], v[14:15], a[0:3]
	;; [unrolled: 1-line block ×6, first 2 shown]
	s_andn2_b64 exec, exec, s[10:11]
	s_cbranch_execz .LBB133_33
.LBB133_22:                             ; =>This Inner Loop Header: Depth=1
	v_lshl_add_u64 v[10:11], v[8:9], 0, s[20:21]
	global_load_dword v26, v[8:9], off
	global_load_dword v27, v[10:11], off
	v_add_u32_e32 v10, s19, v84
	v_add_u32_e32 v14, s28, v84
	;; [unrolled: 1-line block ×5, first 2 shown]
	v_ashrrev_i32_e32 v11, 31, v10
	v_add_u32_e32 v12, s23, v84
	v_ashrrev_i32_e32 v15, 31, v14
	v_ashrrev_i32_e32 v17, 31, v16
	;; [unrolled: 1-line block ×3, first 2 shown]
	v_add_u32_e32 v20, s31, v84
	v_ashrrev_i32_e32 v23, 31, v22
	v_add_u32_e32 v24, s34, v84
	v_lshl_add_u64 v[10:11], v[10:11], 2, v[4:5]
	v_ashrrev_i32_e32 v13, 31, v12
	v_lshl_add_u64 v[14:15], v[14:15], 2, v[4:5]
	v_lshl_add_u64 v[16:17], v[16:17], 2, v[4:5]
	v_lshl_add_u64 v[18:19], v[18:19], 2, v[4:5]
	v_ashrrev_i32_e32 v21, 31, v20
	v_lshl_add_u64 v[22:23], v[22:23], 2, v[4:5]
	v_ashrrev_i32_e32 v25, 31, v24
	v_lshl_add_u64 v[12:13], v[12:13], 2, v[4:5]
	v_lshl_add_u64 v[20:21], v[20:21], 2, v[4:5]
	;; [unrolled: 1-line block ×3, first 2 shown]
	global_load_dword v28, v[10:11], off
	global_load_dword v29, v[12:13], off
	;; [unrolled: 1-line block ×6, first 2 shown]
	s_nop 0
	global_load_dword v22, v[22:23], off
	s_nop 0
	global_load_dword v23, v[24:25], off
	v_add_u32_e32 v10, s35, v84
	v_add_u32_e32 v14, s37, v84
	v_add_u32_e32 v16, s38, v84
	v_add_u32_e32 v18, s39, v84
	v_ashrrev_i32_e32 v11, 31, v10
	v_add_u32_e32 v12, s36, v84
	v_ashrrev_i32_e32 v15, 31, v14
	v_ashrrev_i32_e32 v17, 31, v16
	v_ashrrev_i32_e32 v19, 31, v18
	v_add_u32_e32 v20, s40, v84
	v_lshl_add_u64 v[10:11], v[10:11], 2, v[4:5]
	v_ashrrev_i32_e32 v13, 31, v12
	v_lshl_add_u64 v[14:15], v[14:15], 2, v[4:5]
	v_lshl_add_u64 v[16:17], v[16:17], 2, v[4:5]
	;; [unrolled: 1-line block ×3, first 2 shown]
	v_ashrrev_i32_e32 v21, 31, v20
	v_lshl_add_u64 v[12:13], v[12:13], 2, v[4:5]
	v_lshl_add_u64 v[20:21], v[20:21], 2, v[4:5]
	global_load_dword v24, v[10:11], off
	global_load_dword v25, v[12:13], off
	s_nop 0
	global_load_dword v15, v[14:15], off
	s_nop 0
	;; [unrolled: 2-line block ×4, first 2 shown]
	global_load_dword v18, v[20:21], off
	v_add_u32_e32 v10, s41, v84
	v_add_u32_e32 v12, s42, v84
	v_ashrrev_i32_e32 v11, 31, v10
	v_add_u32_e32 v14, s43, v84
	v_ashrrev_i32_e32 v13, 31, v12
	v_lshl_add_u64 v[10:11], v[10:11], 2, v[4:5]
	v_lshl_add_u64 v[12:13], v[12:13], 2, v[4:5]
	global_load_dword v34, v[10:11], off
	global_load_dword v35, v[12:13], off
	v_add_u32_e32 v12, s44, v84
	v_add_u32_e32 v20, s48, v84
	v_ashrrev_i32_e32 v13, 31, v12
	v_ashrrev_i32_e32 v21, 31, v20
	v_lshl_add_u64 v[12:13], v[12:13], 2, v[4:5]
	v_lshl_add_u64 v[20:21], v[20:21], 2, v[4:5]
	s_andn2_b64 vcc, exec, s[0:1]
	v_mov_b32_e32 v76, 0
	v_mov_b32_e32 v77, 0
	s_waitcnt vmcnt(17)
	ds_write_b32 v85, v26 offset:64
	s_waitcnt vmcnt(16)
	ds_write_b32 v85, v27 offset:328
	;; [unrolled: 2-line block ×16, first 2 shown]
	v_ashrrev_i32_e32 v15, 31, v14
	v_lshl_add_u64 v[10:11], v[14:15], 2, v[4:5]
	v_add_u32_e32 v14, s45, v84
	v_add_u32_e32 v16, s46, v84
	;; [unrolled: 1-line block ×5, first 2 shown]
	v_ashrrev_i32_e32 v15, 31, v14
	v_ashrrev_i32_e32 v17, 31, v16
	v_ashrrev_i32_e32 v19, 31, v18
	v_ashrrev_i32_e32 v23, 31, v22
	v_ashrrev_i32_e32 v25, 31, v24
	v_lshl_add_u64 v[14:15], v[14:15], 2, v[4:5]
	v_lshl_add_u64 v[16:17], v[16:17], 2, v[4:5]
	v_lshl_add_u64 v[18:19], v[18:19], 2, v[4:5]
	v_lshl_add_u64 v[22:23], v[22:23], 2, v[4:5]
	v_lshl_add_u64 v[24:25], v[24:25], 2, v[4:5]
	global_load_dword v26, v[10:11], off
	global_load_dword v27, v[12:13], off
	global_load_dword v30, v[14:15], off
	global_load_dword v31, v[16:17], off
	global_load_dword v32, v[18:19], off
	global_load_dword v33, v[20:21], off
	global_load_dword v36, v[22:23], off
	global_load_dword v37, v[24:25], off
	v_add_u32_e32 v10, s51, v84
	v_ashrrev_i32_e32 v11, 31, v10
	v_add_u32_e32 v12, s52, v84
	v_add_u32_e32 v14, s53, v84
	v_add_u32_e32 v16, s54, v84
	v_add_u32_e32 v18, s55, v84
	v_add_u32_e32 v20, s56, v84
	v_add_u32_e32 v22, s57, v84
	v_add_u32_e32 v24, s58, v84
	v_lshl_add_u64 v[10:11], v[10:11], 2, v[4:5]
	v_ashrrev_i32_e32 v13, 31, v12
	v_ashrrev_i32_e32 v15, 31, v14
	v_ashrrev_i32_e32 v17, 31, v16
	v_ashrrev_i32_e32 v19, 31, v18
	v_ashrrev_i32_e32 v21, 31, v20
	v_ashrrev_i32_e32 v23, 31, v22
	v_ashrrev_i32_e32 v25, 31, v24
	v_lshl_add_u64 v[12:13], v[12:13], 2, v[4:5]
	v_lshl_add_u64 v[14:15], v[14:15], 2, v[4:5]
	v_lshl_add_u64 v[16:17], v[16:17], 2, v[4:5]
	v_lshl_add_u64 v[18:19], v[18:19], 2, v[4:5]
	v_lshl_add_u64 v[20:21], v[20:21], 2, v[4:5]
	v_lshl_add_u64 v[22:23], v[22:23], 2, v[4:5]
	v_lshl_add_u64 v[24:25], v[24:25], 2, v[4:5]
	global_load_dword v38, v[10:11], off
	global_load_dword v39, v[12:13], off
	global_load_dword v40, v[14:15], off
	global_load_dword v41, v[16:17], off
	global_load_dword v42, v[18:19], off
	global_load_dword v43, v[20:21], off
	global_load_dword v44, v[22:23], off
	global_load_dword v45, v[24:25], off
	v_add_u32_e32 v10, s59, v84
	v_ashrrev_i32_e32 v11, 31, v10
	v_add_u32_e32 v12, s60, v84
	v_add_u32_e32 v14, s61, v84
	v_add_u32_e32 v16, s62, v84
	v_add_u32_e32 v18, s63, v84
	v_add_u32_e32 v20, s64, v84
	v_add_u32_e32 v22, s65, v84
	v_add_u32_e32 v24, s66, v84
	v_lshl_add_u64 v[10:11], v[10:11], 2, v[4:5]
	v_ashrrev_i32_e32 v13, 31, v12
	v_ashrrev_i32_e32 v15, 31, v14
	v_ashrrev_i32_e32 v17, 31, v16
	v_ashrrev_i32_e32 v19, 31, v18
	v_ashrrev_i32_e32 v21, 31, v20
	v_ashrrev_i32_e32 v23, 31, v22
	v_ashrrev_i32_e32 v25, 31, v24
	v_lshl_add_u64 v[12:13], v[12:13], 2, v[4:5]
	v_lshl_add_u64 v[14:15], v[14:15], 2, v[4:5]
	;; [unrolled: 32-line block ×4, first 2 shown]
	v_lshl_add_u64 v[16:17], v[16:17], 2, v[4:5]
	v_lshl_add_u64 v[18:19], v[18:19], 2, v[4:5]
	;; [unrolled: 1-line block ×5, first 2 shown]
	global_load_dword v62, v[10:11], off
	global_load_dword v63, v[12:13], off
	global_load_dword v64, v[14:15], off
	global_load_dword v65, v[16:17], off
	global_load_dword v66, v[18:19], off
	global_load_dword v67, v[20:21], off
	global_load_dword v68, v[22:23], off
	global_load_dword v69, v[24:25], off
	v_add_u32_e32 v10, s83, v84
	v_ashrrev_i32_e32 v11, 31, v10
	v_add_u32_e32 v12, s84, v84
	v_lshl_add_u64 v[10:11], v[10:11], 2, v[4:5]
	v_ashrrev_i32_e32 v13, 31, v12
	v_lshl_add_u64 v[12:13], v[12:13], 2, v[4:5]
	global_load_dword v70, v[10:11], off
	global_load_dword v71, v[12:13], off
	v_add_u32_e32 v10, s85, v84
	v_ashrrev_i32_e32 v11, 31, v10
	v_add_u32_e32 v12, s86, v84
	v_add_u32_e32 v14, s87, v84
	;; [unrolled: 1-line block ×3, first 2 shown]
	v_lshl_add_u64 v[10:11], v[10:11], 2, v[4:5]
	v_ashrrev_i32_e32 v13, 31, v12
	v_ashrrev_i32_e32 v15, 31, v14
	;; [unrolled: 1-line block ×3, first 2 shown]
	v_lshl_add_u64 v[12:13], v[12:13], 2, v[4:5]
	v_lshl_add_u64 v[14:15], v[14:15], 2, v[4:5]
	;; [unrolled: 1-line block ×3, first 2 shown]
	global_load_dword v72, v[10:11], off
	global_load_dword v73, v[12:13], off
	;; [unrolled: 1-line block ×4, first 2 shown]
	ds_read_b64 v[28:29], v86 offset:64
	ds_read_b64 v[22:23], v86 offset:96
	ds_read_b64 v[20:21], v86 offset:128
	ds_read_b64 v[18:19], v86 offset:160
	ds_read_b64 v[16:17], v86 offset:192
	ds_read_b64 v[14:15], v86 offset:224
	ds_read_b64 v[12:13], v86 offset:256
	ds_read_b64 v[10:11], v86 offset:288
	s_waitcnt vmcnt(47)
	ds_write_b32 v85, v34 offset:64
	s_waitcnt vmcnt(46)
	ds_write_b32 v85, v35 offset:328
	s_waitcnt vmcnt(45)
	ds_write_b32 v85, v26 offset:592
	s_waitcnt vmcnt(44)
	ds_write_b32 v85, v27 offset:856
	s_waitcnt vmcnt(43)
	ds_write_b32 v85, v30 offset:1120
	s_waitcnt vmcnt(42)
	ds_write_b32 v85, v31 offset:1384
	s_waitcnt vmcnt(41)
	ds_write_b32 v85, v32 offset:1648
	s_waitcnt vmcnt(40)
	ds_write_b32 v85, v33 offset:1912
	s_waitcnt vmcnt(39)
	ds_write_b32 v85, v36 offset:2176
	s_waitcnt vmcnt(38)
	ds_write_b32 v85, v37 offset:2440
	s_waitcnt vmcnt(37)
	ds_write_b32 v85, v38 offset:2704
	s_waitcnt vmcnt(36)
	ds_write_b32 v85, v39 offset:2968
	s_waitcnt vmcnt(35)
	ds_write_b32 v85, v40 offset:3232
	s_waitcnt vmcnt(34)
	ds_write_b32 v85, v41 offset:3496
	s_waitcnt vmcnt(33)
	ds_write_b32 v85, v42 offset:3760
	s_waitcnt vmcnt(32)
	ds_write_b32 v85, v43 offset:4024
	ds_read_b64 v[42:43], v86 offset:64
	ds_read_b64 v[40:41], v86 offset:96
	ds_read_b64 v[36:37], v86 offset:128
	ds_read_b64 v[34:35], v86 offset:160
	ds_read_b64 v[32:33], v86 offset:192
	ds_read_b64 v[30:31], v86 offset:224
	ds_read_b64 v[26:27], v86 offset:256
	ds_read_b64 v[24:25], v86 offset:288
	s_waitcnt vmcnt(31)
	ds_write_b32 v85, v44 offset:64
	s_waitcnt vmcnt(30)
	ds_write_b32 v85, v45 offset:328
	s_waitcnt vmcnt(29)
	ds_write_b32 v85, v46 offset:592
	s_waitcnt vmcnt(28)
	ds_write_b32 v85, v47 offset:856
	s_waitcnt vmcnt(27)
	ds_write_b32 v85, v48 offset:1120
	s_waitcnt vmcnt(26)
	ds_write_b32 v85, v49 offset:1384
	s_waitcnt vmcnt(25)
	ds_write_b32 v85, v50 offset:1648
	s_waitcnt vmcnt(24)
	ds_write_b32 v85, v51 offset:1912
	s_waitcnt vmcnt(23)
	ds_write_b32 v85, v52 offset:2176
	s_waitcnt vmcnt(22)
	ds_write_b32 v85, v53 offset:2440
	s_waitcnt vmcnt(21)
	ds_write_b32 v85, v54 offset:2704
	s_waitcnt vmcnt(20)
	ds_write_b32 v85, v55 offset:2968
	s_waitcnt vmcnt(19)
	ds_write_b32 v85, v56 offset:3232
	s_waitcnt vmcnt(18)
	ds_write_b32 v85, v57 offset:3496
	s_waitcnt vmcnt(17)
	ds_write_b32 v85, v58 offset:3760
	s_waitcnt vmcnt(16)
	ds_write_b32 v85, v59 offset:4024
	ds_read_b64 v[56:57], v86 offset:64
	ds_read_b64 v[54:55], v86 offset:96
	ds_read_b64 v[52:53], v86 offset:128
	ds_read_b64 v[50:51], v86 offset:160
	ds_read_b64 v[48:49], v86 offset:192
	ds_read_b64 v[46:47], v86 offset:224
	ds_read_b64 v[44:45], v86 offset:256
	ds_read_b64 v[38:39], v86 offset:288
	s_waitcnt vmcnt(15)
	ds_write_b32 v85, v60 offset:64
	s_waitcnt vmcnt(14)
	ds_write_b32 v85, v61 offset:328
	s_waitcnt vmcnt(13)
	ds_write_b32 v85, v62 offset:592
	s_waitcnt vmcnt(12)
	ds_write_b32 v85, v63 offset:856
	s_waitcnt vmcnt(11)
	ds_write_b32 v85, v64 offset:1120
	s_waitcnt vmcnt(10)
	ds_write_b32 v85, v65 offset:1384
	s_waitcnt vmcnt(9)
	ds_write_b32 v85, v66 offset:1648
	s_waitcnt vmcnt(8)
	ds_write_b32 v85, v67 offset:1912
	s_waitcnt vmcnt(7)
	ds_write_b32 v85, v68 offset:2176
	s_waitcnt vmcnt(6)
	ds_write_b32 v85, v69 offset:2440
	s_waitcnt vmcnt(5)
	ds_write_b32 v85, v70 offset:2704
	s_waitcnt vmcnt(4)
	ds_write_b32 v85, v71 offset:2968
	s_waitcnt vmcnt(3)
	ds_write_b32 v85, v72 offset:3232
	s_waitcnt vmcnt(2)
	ds_write_b32 v85, v73 offset:3496
	s_waitcnt vmcnt(1)
	ds_write_b32 v85, v74 offset:3760
	s_waitcnt vmcnt(0)
	ds_write_b32 v85, v75 offset:4024
	ds_read_b64 v[72:73], v86 offset:64
	ds_read_b64 v[70:71], v86 offset:96
	;; [unrolled: 1-line block ×8, first 2 shown]
	v_mov_b32_e32 v74, 0
	s_cbranch_vccnz .LBB133_26
; %bb.23:                               ;   in Loop: Header=BB133_22 Depth=1
	ds_read_b32 v75, v0
	s_waitcnt lgkmcnt(0)
	v_cmp_gt_i32_e32 vcc, 0, v75
	s_cbranch_vccnz .LBB133_25
; %bb.24:                               ;   in Loop: Header=BB133_22 Depth=1
	v_mul_lo_u32 v75, v75, s17
	v_add_u32_e32 v76, v87, v75
	v_ashrrev_i32_e32 v77, 31, v76
	v_lshl_add_u64 v[76:77], v[76:77], 2, v[6:7]
	global_load_dwordx2 v[76:77], v[76:77], off
	s_branch .LBB133_26
.LBB133_25:                             ;   in Loop: Header=BB133_22 Depth=1
	v_mov_b32_e32 v76, 0
	v_mov_b32_e32 v77, 0
.LBB133_26:                             ;   in Loop: Header=BB133_22 Depth=1
	s_waitcnt vmcnt(0)
	v_cvt_pk_bf16_f32 v75, v76, v77
	s_andn2_b64 vcc, exec, s[2:3]
	v_mov_b32_e32 v76, 0
	v_mov_b32_e32 v77, 0
	ds_write_b32 v85, v75 offset:64
	s_cbranch_vccnz .LBB133_30
; %bb.27:                               ;   in Loop: Header=BB133_22 Depth=1
	ds_read_b32 v75, v0 offset:4
	s_waitcnt lgkmcnt(0)
	v_cmp_gt_i32_e32 vcc, 0, v75
	s_cbranch_vccnz .LBB133_29
; %bb.28:                               ;   in Loop: Header=BB133_22 Depth=1
	v_mul_lo_u32 v75, v75, s17
	v_add_u32_e32 v75, s12, v75
	v_add_u32_e32 v76, v75, v87
	v_ashrrev_i32_e32 v77, 31, v76
	v_lshl_add_u64 v[76:77], v[76:77], 2, v[6:7]
	global_load_dwordx2 v[76:77], v[76:77], off
	s_branch .LBB133_30
.LBB133_29:                             ;   in Loop: Header=BB133_22 Depth=1
	v_mov_b32_e32 v76, 0
	v_mov_b32_e32 v77, 0
.LBB133_30:                             ;   in Loop: Header=BB133_22 Depth=1
	s_waitcnt vmcnt(0)
	v_cvt_pk_bf16_f32 v75, v76, v77
	ds_write_b32 v85, v75 offset:328
	s_andn2_b64 vcc, exec, s[6:7]
	v_mov_b32_e32 v75, 0
	s_cbranch_vccnz .LBB133_21
; %bb.31:                               ;   in Loop: Header=BB133_22 Depth=1
	ds_read_b32 v74, v0 offset:8
	s_waitcnt lgkmcnt(0)
	v_cmp_gt_i32_e32 vcc, 0, v74
	s_cbranch_vccz .LBB133_20
; %bb.32:                               ;   in Loop: Header=BB133_22 Depth=1
	v_mov_b32_e32 v74, 0
	v_mov_b32_e32 v75, 0
	s_branch .LBB133_21
.LBB133_33:
	s_or_b64 exec, exec, s[10:11]
.LBB133_34:
	s_or_b64 exec, exec, s[14:15]
	v_mov_b32_e32 v0, 0x100
	v_lshl_add_u32 v0, v82, 2, v0
	v_mul_u32_u24_e32 v1, 0x408, v83
	v_and_b32_e32 v4, 0x3f0, v2
	v_add3_u32 v0, v0, v1, v4
	v_accvgpr_read_b32 v1, a13
	v_accvgpr_read_b32 v4, a12
	s_barrier
	ds_write2_b32 v0, v4, v1 offset0:16 offset1:17
	v_accvgpr_read_b32 v1, a15
	v_accvgpr_read_b32 v4, a14
	ds_write2_b32 v0, v4, v1 offset0:18 offset1:19
	v_accvgpr_read_b32 v1, a9
	v_accvgpr_read_b32 v4, a8
	;; [unrolled: 3-line block ×7, first 2 shown]
	v_cmp_gt_u32_e32 vcc, 3, v3
	ds_write2_b32 v0, v4, v1 offset0:66 offset1:67
	s_waitcnt lgkmcnt(0)
	s_barrier
	s_and_saveexec_b64 s[0:1], vcc
	s_cbranch_execz .LBB133_37
; %bb.35:
	v_add_u32_e32 v0, v78, v79
	ds_read_b32 v0, v0
	v_cmp_gt_i32_e64 s[0:1], s9, v81
	s_waitcnt lgkmcnt(0)
	v_cmp_lt_i32_e32 vcc, -1, v0
	s_and_b64 s[0:1], vcc, s[0:1]
	s_and_b64 exec, exec, s[0:1]
	s_cbranch_execz .LBB133_37
; %bb.36:
	v_lshlrev_b32_e32 v1, 2, v2
	s_movk_i32 s2, 0x100
	v_mul_u32_u24_e32 v6, 0x408, v3
	v_add3_u32 v1, s2, v1, v6
	ds_read2_b32 v[6:7], v1 offset0:16 offset1:80
	ds_read2_b32 v[8:9], v1 offset0:144 offset1:208
	s_mul_hi_i32 s1, s22, s4
	s_mul_i32 s0, s22, s4
	s_lshl_b64 s[0:1], s[0:1], 2
	s_waitcnt lgkmcnt(1)
	v_add_f32_e32 v1, 0, v6
	v_add_f32_e32 v1, v1, v7
	v_mul_hi_i32 v5, v80, s13
	v_mul_lo_u32 v4, v80, s13
	s_add_u32 s0, s24, s0
	s_waitcnt lgkmcnt(0)
	v_add_f32_e32 v1, v1, v8
	s_addc_u32 s1, s25, s1
	v_lshlrev_b64 v[4:5], 2, v[4:5]
	v_add_f32_e32 v6, v1, v9
	v_add_u32_e32 v1, s5, v2
	v_mul_lo_u32 v2, s13, v3
	v_mul_lo_u32 v0, v0, s18
	v_lshl_add_u64 v[4:5], s[0:1], 0, v[4:5]
	v_add3_u32 v0, v1, v2, v0
	v_mov_b32_e32 v1, 0
	v_lshl_add_u64 v[0:1], v[0:1], 2, v[4:5]
	global_store_dword v[0:1], v6, off
.LBB133_37:
	s_endpgm
	.section	.rodata,"a",@progbits
	.p2align	6, 0x0
	.amdhsa_kernel _ZL9mul_mat_fI15__hip_bfloat162Li64ELi3ELi4ELb1EEvPKT_PKfPKiPfiiiiiiiiiiiiiiii
		.amdhsa_group_segment_fixed_size 256
		.amdhsa_private_segment_fixed_size 0
		.amdhsa_kernarg_size 352
		.amdhsa_user_sgpr_count 2
		.amdhsa_user_sgpr_dispatch_ptr 0
		.amdhsa_user_sgpr_queue_ptr 0
		.amdhsa_user_sgpr_kernarg_segment_ptr 1
		.amdhsa_user_sgpr_dispatch_id 0
		.amdhsa_user_sgpr_kernarg_preload_length 0
		.amdhsa_user_sgpr_kernarg_preload_offset 0
		.amdhsa_user_sgpr_private_segment_size 0
		.amdhsa_uses_dynamic_stack 0
		.amdhsa_enable_private_segment 0
		.amdhsa_system_sgpr_workgroup_id_x 1
		.amdhsa_system_sgpr_workgroup_id_y 1
		.amdhsa_system_sgpr_workgroup_id_z 1
		.amdhsa_system_sgpr_workgroup_info 0
		.amdhsa_system_vgpr_workitem_id 2
		.amdhsa_next_free_vgpr 104
		.amdhsa_next_free_sgpr 89
		.amdhsa_accum_offset 88
		.amdhsa_reserve_vcc 1
		.amdhsa_float_round_mode_32 0
		.amdhsa_float_round_mode_16_64 0
		.amdhsa_float_denorm_mode_32 3
		.amdhsa_float_denorm_mode_16_64 3
		.amdhsa_dx10_clamp 1
		.amdhsa_ieee_mode 1
		.amdhsa_fp16_overflow 0
		.amdhsa_tg_split 0
		.amdhsa_exception_fp_ieee_invalid_op 0
		.amdhsa_exception_fp_denorm_src 0
		.amdhsa_exception_fp_ieee_div_zero 0
		.amdhsa_exception_fp_ieee_overflow 0
		.amdhsa_exception_fp_ieee_underflow 0
		.amdhsa_exception_fp_ieee_inexact 0
		.amdhsa_exception_int_div_zero 0
	.end_amdhsa_kernel
	.section	.text._ZL9mul_mat_fI15__hip_bfloat162Li64ELi3ELi4ELb1EEvPKT_PKfPKiPfiiiiiiiiiiiiiiii,"axG",@progbits,_ZL9mul_mat_fI15__hip_bfloat162Li64ELi3ELi4ELb1EEvPKT_PKfPKiPfiiiiiiiiiiiiiiii,comdat
.Lfunc_end133:
	.size	_ZL9mul_mat_fI15__hip_bfloat162Li64ELi3ELi4ELb1EEvPKT_PKfPKiPfiiiiiiiiiiiiiiii, .Lfunc_end133-_ZL9mul_mat_fI15__hip_bfloat162Li64ELi3ELi4ELb1EEvPKT_PKfPKiPfiiiiiiiiiiiiiiii
                                        ; -- End function
	.set _ZL9mul_mat_fI15__hip_bfloat162Li64ELi3ELi4ELb1EEvPKT_PKfPKiPfiiiiiiiiiiiiiiii.num_vgpr, 88
	.set _ZL9mul_mat_fI15__hip_bfloat162Li64ELi3ELi4ELb1EEvPKT_PKfPKiPfiiiiiiiiiiiiiiii.num_agpr, 16
	.set _ZL9mul_mat_fI15__hip_bfloat162Li64ELi3ELi4ELb1EEvPKT_PKfPKiPfiiiiiiiiiiiiiiii.numbered_sgpr, 89
	.set _ZL9mul_mat_fI15__hip_bfloat162Li64ELi3ELi4ELb1EEvPKT_PKfPKiPfiiiiiiiiiiiiiiii.num_named_barrier, 0
	.set _ZL9mul_mat_fI15__hip_bfloat162Li64ELi3ELi4ELb1EEvPKT_PKfPKiPfiiiiiiiiiiiiiiii.private_seg_size, 0
	.set _ZL9mul_mat_fI15__hip_bfloat162Li64ELi3ELi4ELb1EEvPKT_PKfPKiPfiiiiiiiiiiiiiiii.uses_vcc, 1
	.set _ZL9mul_mat_fI15__hip_bfloat162Li64ELi3ELi4ELb1EEvPKT_PKfPKiPfiiiiiiiiiiiiiiii.uses_flat_scratch, 0
	.set _ZL9mul_mat_fI15__hip_bfloat162Li64ELi3ELi4ELb1EEvPKT_PKfPKiPfiiiiiiiiiiiiiiii.has_dyn_sized_stack, 0
	.set _ZL9mul_mat_fI15__hip_bfloat162Li64ELi3ELi4ELb1EEvPKT_PKfPKiPfiiiiiiiiiiiiiiii.has_recursion, 0
	.set _ZL9mul_mat_fI15__hip_bfloat162Li64ELi3ELi4ELb1EEvPKT_PKfPKiPfiiiiiiiiiiiiiiii.has_indirect_call, 0
	.section	.AMDGPU.csdata,"",@progbits
; Kernel info:
; codeLenInByte = 5688
; TotalNumSgprs: 95
; NumVgprs: 88
; NumAgprs: 16
; TotalNumVgprs: 104
; ScratchSize: 0
; MemoryBound: 0
; FloatMode: 240
; IeeeMode: 1
; LDSByteSize: 256 bytes/workgroup (compile time only)
; SGPRBlocks: 11
; VGPRBlocks: 12
; NumSGPRsForWavesPerEU: 95
; NumVGPRsForWavesPerEU: 104
; AccumOffset: 88
; Occupancy: 4
; WaveLimiterHint : 0
; COMPUTE_PGM_RSRC2:SCRATCH_EN: 0
; COMPUTE_PGM_RSRC2:USER_SGPR: 2
; COMPUTE_PGM_RSRC2:TRAP_HANDLER: 0
; COMPUTE_PGM_RSRC2:TGID_X_EN: 1
; COMPUTE_PGM_RSRC2:TGID_Y_EN: 1
; COMPUTE_PGM_RSRC2:TGID_Z_EN: 1
; COMPUTE_PGM_RSRC2:TIDIG_COMP_CNT: 2
; COMPUTE_PGM_RSRC3_GFX90A:ACCUM_OFFSET: 21
; COMPUTE_PGM_RSRC3_GFX90A:TG_SPLIT: 0
	.section	.text._ZL9mul_mat_fI15__hip_bfloat162Li64ELi3ELi4ELb0EEvPKT_PKfPKiPfiiiiiiiiiiiiiiii,"axG",@progbits,_ZL9mul_mat_fI15__hip_bfloat162Li64ELi3ELi4ELb0EEvPKT_PKfPKiPfiiiiiiiiiiiiiiii,comdat
	.globl	_ZL9mul_mat_fI15__hip_bfloat162Li64ELi3ELi4ELb0EEvPKT_PKfPKiPfiiiiiiiiiiiiiiii ; -- Begin function _ZL9mul_mat_fI15__hip_bfloat162Li64ELi3ELi4ELb0EEvPKT_PKfPKiPfiiiiiiiiiiiiiiii
	.p2align	8
	.type	_ZL9mul_mat_fI15__hip_bfloat162Li64ELi3ELi4ELb0EEvPKT_PKfPKiPfiiiiiiiiiiiiiiii,@function
_ZL9mul_mat_fI15__hip_bfloat162Li64ELi3ELi4ELb0EEvPKT_PKfPKiPfiiiiiiiiiiiiiiii: ; @_ZL9mul_mat_fI15__hip_bfloat162Li64ELi3ELi4ELb0EEvPKT_PKfPKiPfiiiiiiiiiiiiiiii
; %bb.0:
	s_load_dword s5, s[0:1], 0x20
	s_load_dwordx4 s[16:19], s[0:1], 0x2c
	v_bfe_u32 v85, v0, 10, 10
	v_lshlrev_b32_e32 v86, 6, v85
	v_and_b32_e32 v84, 0x3ff, v0
	v_add_u32_e32 v88, v86, v84
	s_waitcnt lgkmcnt(0)
	s_ashr_i32 s19, s4, 31
	v_cmp_le_i32_e32 vcc, s5, v88
	v_and_b32_e32 v87, 15, v84
	s_and_saveexec_b64 s[6:7], vcc
	s_xor_b64 s[6:7], exec, s[6:7]
; %bb.1:
	v_and_b32_e32 v87, 15, v84
                                        ; implicit-def: $vgpr88
; %bb.2:
	s_or_saveexec_b64 s[24:25], s[6:7]
	s_load_dwordx8 s[8:15], s[0:1], 0x40
	s_load_dwordx2 s[6:7], s[0:1], 0x18
	s_lshl_b32 s2, s2, 6
	v_mov_b32_e32 v3, 0
	v_accvgpr_write_b32 a0, 0
	v_accvgpr_write_b32 a1, 0
	;; [unrolled: 1-line block ×16, first 2 shown]
	v_lshlrev_b32_e32 v0, 2, v84
	s_xor_b64 exec, exec, s[24:25]
	s_cbranch_execz .LBB134_6
; %bb.3:
	s_waitcnt lgkmcnt(0)
	s_abs_i32 s26, s8
	v_cvt_f32_u32_e32 v1, s26
	s_abs_i32 s27, s12
	v_cvt_f32_u32_e32 v2, s27
	s_sub_i32 s20, 0, s26
	v_rcp_iflag_f32_e32 v1, v1
	s_abs_i32 s28, s3
	v_rcp_iflag_f32_e32 v2, v2
	s_sub_i32 s21, 0, s27
	v_mul_f32_e32 v1, 0x4f7ffffe, v1
	v_cvt_u32_f32_e32 v1, v1
	v_mul_f32_e32 v2, 0x4f7ffffe, v2
	v_cvt_u32_f32_e32 v2, v2
	s_abs_i32 s29, s4
	v_mul_lo_u32 v4, s20, v1
	v_mul_hi_u32 v4, v1, v4
	v_add_u32_e32 v1, v1, v4
	v_mul_hi_u32 v1, s28, v1
	v_mul_lo_u32 v5, s21, v2
	v_mul_lo_u32 v4, v1, s26
	v_mul_hi_u32 v5, v2, v5
	v_sub_u32_e32 v4, s28, v4
	v_add_u32_e32 v2, v2, v5
	v_subrev_u32_e32 v6, s26, v4
	v_cmp_le_u32_e32 vcc, s26, v4
	v_mul_hi_u32 v2, s29, v2
	v_add_u32_e32 v5, 1, v1
	v_cndmask_b32_e32 v4, v4, v6, vcc
	v_cndmask_b32_e32 v1, v1, v5, vcc
	v_cmp_le_u32_e32 vcc, s26, v4
	v_mul_lo_u32 v4, v2, s27
	s_load_dwordx4 s[20:23], s[0:1], 0x0
	s_ashr_i32 s0, s3, 31
	s_ashr_i32 s1, s8, 31
	v_add_u32_e32 v5, 1, v1
	v_sub_u32_e32 v4, s29, v4
	s_xor_b32 s0, s0, s1
	v_cndmask_b32_e32 v1, v1, v5, vcc
	v_add_u32_e32 v5, 1, v2
	v_subrev_u32_e32 v6, s27, v4
	v_cmp_le_u32_e32 vcc, s27, v4
	v_xor_b32_e32 v1, s0, v1
	s_ashr_i32 s8, s12, 31
	v_cndmask_b32_e32 v2, v2, v5, vcc
	v_cndmask_b32_e32 v4, v4, v6, vcc
	v_subrev_u32_e32 v1, s0, v1
	v_add_u32_e32 v5, 1, v2
	v_cmp_le_u32_e32 vcc, s27, v4
	s_xor_b32 s0, s19, s8
	v_mul_lo_u32 v6, v1, s9
	v_cndmask_b32_e32 v2, v2, v5, vcc
	s_mul_hi_i32 s9, s14, s4
	s_mul_i32 s8, s14, s4
	v_xor_b32_e32 v2, s0, v2
	s_lshl_b64 s[26:27], s[8:9], 2
	v_subrev_u32_e32 v2, s0, v2
	s_mul_i32 s0, s16, s2
	s_mul_i32 s28, s10, s3
	s_waitcnt lgkmcnt(0)
	s_add_u32 s8, s22, s26
	v_mul_hi_i32 v5, v2, s13
	v_mul_lo_u32 v4, v2, s13
	s_addc_u32 s9, s23, s27
	s_ashr_i32 s1, s0, 31
	s_ashr_i32 s29, s28, 31
	v_ashrrev_i32_e32 v7, 31, v6
	v_lshlrev_b64 v[8:9], 2, v[4:5]
	s_lshl_b64 s[12:13], s[0:1], 2
	s_lshl_b64 s[28:29], s[28:29], 2
	v_lshl_add_u64 v[4:5], s[20:21], 0, v[8:9]
	v_lshlrev_b64 v[6:7], 2, v[6:7]
	s_add_u32 s0, s8, s28
	s_movk_i32 s8, 0x1080
	v_lshrrev_b32_e32 v10, 1, v84
	v_lshl_add_u64 v[4:5], v[4:5], 0, v[6:7]
	v_mad_u32_u24 v1, v85, s8, 0
	v_mul_u32_u24_e32 v2, 0x108, v87
	v_and_b32_e32 v10, 0x1f8, v10
	v_lshl_add_u64 v[6:7], v[6:7], 0, s[12:13]
	s_addc_u32 s1, s9, s29
	v_add3_u32 v90, v1, v2, v10
	s_ashr_i32 s9, s16, 31
	s_mov_b32 s8, s16
	s_ashr_i32 s75, s17, 31
	s_mov_b32 s74, s17
	v_lshlrev_b32_e32 v2, 8, v85
	v_lshl_add_u64 v[6:7], v[6:7], 0, v[8:9]
	v_lshl_add_u64 v[4:5], v[4:5], 0, s[12:13]
	s_add_i32 s10, s16, s16
	s_add_i32 s14, s17, s17
	s_lshl_b32 s30, s16, 2
	s_lshl_b32 s35, s16, 3
	;; [unrolled: 1-line block ×4, first 2 shown]
	s_lshl_b64 s[8:9], s[8:9], 2
	s_lshl_b64 s[12:13], s[74:75], 3
	v_lshl_add_u64 v[6:7], v[6:7], 0, v[2:3]
	v_lshlrev_b32_e32 v2, 9, v85
	v_add_u32_e32 v89, v1, v0
	s_add_u32 s22, s22, s28
	v_mov_b32_e32 v1, v3
	v_lshl_add_u64 v[8:9], s[26:27], 0, v[2:3]
	v_lshlrev_b32_e32 v2, 3, v84
	s_addc_u32 s23, s23, s29
	v_lshl_add_u64 v[6:7], v[6:7], 0, v[0:1]
	v_lshl_add_u64 v[8:9], v[8:9], 0, v[2:3]
	s_mul_i32 s19, s16, 3
	s_mul_i32 s31, s16, 5
	;; [unrolled: 1-line block ×41, first 2 shown]
	v_lshl_add_u64 v[6:7], s[20:21], 0, v[6:7]
	s_mul_i32 s73, s16, 48
	s_mul_i32 s74, s16, 49
	;; [unrolled: 1-line block ×6, first 2 shown]
	v_lshl_add_u64 v[8:9], s[22:23], 0, v[8:9]
	s_mul_i32 s77, s16, 54
	s_mul_i32 s78, s16, 55
	v_accvgpr_write_b32 a15, 0
	v_accvgpr_write_b32 a14, 0
	v_accvgpr_write_b32 a13, 0
	v_accvgpr_write_b32 a12, 0
	v_accvgpr_write_b32 a11, 0
	v_accvgpr_write_b32 a10, 0
	v_accvgpr_write_b32 a9, 0
	v_accvgpr_write_b32 a8, 0
	v_accvgpr_write_b32 a7, 0
	v_accvgpr_write_b32 a6, 0
	v_accvgpr_write_b32 a5, 0
	v_accvgpr_write_b32 a4, 0
	v_accvgpr_write_b32 a3, 0
	v_accvgpr_write_b32 a2, 0
	v_accvgpr_write_b32 a1, 0
	v_accvgpr_write_b32 a0, 0
	s_mul_i32 s79, s16, 56
	s_mul_i32 s80, s16, 57
	;; [unrolled: 1-line block ×8, first 2 shown]
	s_mov_b64 s[16:17], 0
	s_mov_b64 s[20:21], 0x400
	;; [unrolled: 1-line block ×3, first 2 shown]
.LBB134_4:                              ; =>This Inner Loop Header: Depth=1
	v_add_u32_e32 v82, s10, v88
	v_add_u32_e32 v66, s19, v88
	;; [unrolled: 1-line block ×3, first 2 shown]
	v_lshl_add_u64 v[62:63], v[6:7], 0, s[8:9]
	v_add_u32_e32 v76, s31, v88
	v_add_u32_e32 v78, s33, v88
	v_ashrrev_i32_e32 v83, 31, v82
	v_ashrrev_i32_e32 v67, 31, v66
	;; [unrolled: 1-line block ×3, first 2 shown]
	v_add_u32_e32 v72, s34, v88
	v_add_u32_e32 v74, s35, v88
	global_load_dword v1, v[62:63], off
	v_lshl_add_u64 v[62:63], v[82:83], 2, v[4:5]
	v_lshl_add_u64 v[66:67], v[66:67], 2, v[4:5]
	;; [unrolled: 1-line block ×3, first 2 shown]
	v_ashrrev_i32_e32 v77, 31, v76
	v_ashrrev_i32_e32 v79, 31, v78
	v_add_u32_e32 v68, s36, v88
	v_add_u32_e32 v70, s37, v88
	global_load_dword v2, v[62:63], off
	global_load_dword v80, v[66:67], off
	;; [unrolled: 1-line block ×3, first 2 shown]
	v_lshl_add_u64 v[76:77], v[76:77], 2, v[4:5]
	v_lshl_add_u64 v[82:83], v[78:79], 2, v[4:5]
	v_ashrrev_i32_e32 v73, 31, v72
	v_ashrrev_i32_e32 v75, 31, v74
	v_add_u32_e32 v60, s38, v88
	v_add_u32_e32 v64, s39, v88
	global_load_dword v78, v[76:77], off
	global_load_dword v79, v[82:83], off
	v_lshl_add_u64 v[72:73], v[72:73], 2, v[4:5]
	v_lshl_add_u64 v[82:83], v[74:75], 2, v[4:5]
	v_ashrrev_i32_e32 v69, 31, v68
	v_ashrrev_i32_e32 v71, 31, v70
	v_add_u32_e32 v54, s40, v88
	v_add_u32_e32 v58, s41, v88
	global_load_dword v74, v[72:73], off
	global_load_dword v75, v[82:83], off
	;; [unrolled: 8-line block ×3, first 2 shown]
	v_lshl_add_u64 v[60:61], v[60:61], 2, v[4:5]
	v_lshl_add_u64 v[82:83], v[64:65], 2, v[4:5]
	v_ashrrev_i32_e32 v55, 31, v54
	v_ashrrev_i32_e32 v59, 31, v58
	v_add_u32_e32 v40, s44, v88
	v_add_u32_e32 v46, s45, v88
	;; [unrolled: 1-line block ×6, first 2 shown]
	global_load_dword v64, v[60:61], off
	global_load_dword v65, v[82:83], off
	v_lshl_add_u64 v[54:55], v[54:55], 2, v[4:5]
	v_lshl_add_u64 v[82:83], v[58:59], 2, v[4:5]
	v_ashrrev_i32_e32 v45, 31, v44
	v_ashrrev_i32_e32 v57, 31, v56
	v_add_u32_e32 v36, s47, v88
	v_add_u32_e32 v16, s51, v88
	;; [unrolled: 1-line block ×4, first 2 shown]
	global_load_dword v58, v[54:55], off
	global_load_dword v59, v[82:83], off
	v_lshl_add_u64 v[44:45], v[44:45], 2, v[4:5]
	v_lshl_add_u64 v[82:83], v[56:57], 2, v[4:5]
	v_ashrrev_i32_e32 v41, 31, v40
	v_ashrrev_i32_e32 v47, 31, v46
	;; [unrolled: 1-line block ×6, first 2 shown]
	v_add_u32_e32 v14, s54, v88
	v_add_u32_e32 v22, s55, v88
	global_load_dword v57, v[44:45], off
	global_load_dword v56, v[82:83], off
	v_lshl_add_u64 v[40:41], v[40:41], 2, v[4:5]
	v_lshl_add_u64 v[82:83], v[46:47], 2, v[4:5]
	v_ashrrev_i32_e32 v37, 31, v36
	v_lshl_add_u64 v[32:33], v[32:33], 2, v[4:5]
	v_lshl_add_u64 v[24:25], v[24:25], 2, v[4:5]
	;; [unrolled: 1-line block ×3, first 2 shown]
	v_ashrrev_i32_e32 v17, 31, v16
	v_lshl_add_u64 v[12:13], v[12:13], 2, v[4:5]
	v_ashrrev_i32_e32 v11, 31, v10
	v_ashrrev_i32_e32 v19, 31, v18
	v_add_u32_e32 v20, s56, v88
	v_add_u32_e32 v30, s57, v88
	global_load_dword v46, v[40:41], off
	global_load_dword v47, v[82:83], off
	v_lshl_add_u64 v[82:83], v[36:37], 2, v[4:5]
	global_load_dword v36, v[32:33], off
	global_load_dword v37, v[82:83], off
	s_nop 0
	global_load_dword v24, v[24:25], off
	s_nop 0
	global_load_dword v25, v[28:29], off
	v_lshl_add_u64 v[16:17], v[16:17], 2, v[4:5]
	global_load_dword v28, v[12:13], off
	global_load_dword v29, v[16:17], off
	v_lshl_add_u64 v[10:11], v[10:11], 2, v[4:5]
	v_lshl_add_u64 v[12:13], v[18:19], 2, v[4:5]
	v_ashrrev_i32_e32 v15, 31, v14
	v_ashrrev_i32_e32 v23, 31, v22
	v_add_u32_e32 v26, s58, v88
	v_add_u32_e32 v38, s59, v88
	global_load_dword v82, v[10:11], off
	global_load_dword v83, v[12:13], off
	v_lshl_add_u64 v[10:11], v[14:15], 2, v[4:5]
	v_lshl_add_u64 v[12:13], v[22:23], 2, v[4:5]
	v_ashrrev_i32_e32 v21, 31, v20
	v_ashrrev_i32_e32 v31, 31, v30
	v_add_u32_e32 v34, s60, v88
	v_add_u32_e32 v48, s61, v88
	;; [unrolled: 8-line block ×10, first 2 shown]
	global_load_dword v50, v[10:11], off
	global_load_dword v51, v[12:13], off
	v_lshl_add_u64 v[10:11], v[44:45], 2, v[4:5]
	v_lshl_add_u64 v[12:13], v[40:41], 2, v[4:5]
	v_ashrrev_i32_e32 v33, 31, v32
	v_ashrrev_i32_e32 v93, 31, v92
	v_add_u32_e32 v94, s76, v88
	global_load_dword v40, v[10:11], off
	global_load_dword v41, v[12:13], off
	v_lshl_add_u64 v[12:13], v[32:33], 2, v[4:5]
	v_lshl_add_u64 v[14:15], v[92:93], 2, v[4:5]
	v_ashrrev_i32_e32 v17, 31, v16
	v_ashrrev_i32_e32 v19, 31, v18
	v_add_u32_e32 v96, s26, v88
	v_add_u32_e32 v98, s27, v88
	global_load_dword v33, v[12:13], off
	global_load_dword v32, v[14:15], off
	v_lshl_add_u64 v[14:15], v[16:17], 2, v[4:5]
	v_lshl_add_u64 v[16:17], v[18:19], 2, v[4:5]
	v_ashrrev_i32_e32 v95, 31, v94
	v_add_u32_e32 v100, s77, v88
	v_add_u32_e32 v52, s78, v88
	global_load_dword v60, v[14:15], off
	global_load_dword v61, v[16:17], off
	v_ashrrev_i32_e32 v97, 31, v96
	v_lshl_add_u64 v[16:17], v[94:95], 2, v[4:5]
	v_ashrrev_i32_e32 v99, 31, v98
	v_add_u32_e32 v62, s79, v88
	v_add_u32_e32 v66, s80, v88
	v_lshl_add_u64 v[18:19], v[96:97], 2, v[4:5]
	global_load_dword v72, v[16:17], off
	global_load_dword v73, v[18:19], off
	v_lshl_add_u64 v[16:17], v[98:99], 2, v[4:5]
	v_ashrrev_i32_e32 v101, 31, v100
	v_ashrrev_i32_e32 v53, 31, v52
	v_add_u32_e32 v68, s81, v88
	global_load_dword v76, v[16:17], off
	global_load_dword v77, v[6:7], off
	v_lshl_add_u64 v[16:17], v[100:101], 2, v[4:5]
	v_lshl_add_u64 v[44:45], v[52:53], 2, v[4:5]
	v_ashrrev_i32_e32 v63, 31, v62
	v_ashrrev_i32_e32 v67, 31, v66
	v_add_u32_e32 v54, s82, v88
	global_load_dword v91, v[16:17], off
	global_load_dword v92, v[44:45], off
	s_nop 0
	global_load_dwordx2 v[16:17], v[8:9], off
	v_lshl_add_u64 v[44:45], v[62:63], 2, v[4:5]
	v_lshl_add_u64 v[52:53], v[66:67], 2, v[4:5]
	v_ashrrev_i32_e32 v69, 31, v68
	global_load_dword v62, v[44:45], off
	global_load_dword v63, v[52:53], off
	v_ashrrev_i32_e32 v55, 31, v54
	v_lshl_add_u64 v[52:53], v[68:69], 2, v[4:5]
	v_lshl_add_u64 v[44:45], v[8:9], 0, s[12:13]
	;; [unrolled: 1-line block ×3, first 2 shown]
	global_load_dword v66, v[52:53], off
	global_load_dword v67, v[54:55], off
	v_add_u32_e32 v52, s14, v88
	v_add_u32_e32 v10, s83, v88
	;; [unrolled: 1-line block ×5, first 2 shown]
	global_load_dwordx2 v[44:45], v[44:45], off
	v_ashrrev_i32_e32 v53, 31, v52
	v_ashrrev_i32_e32 v11, 31, v10
	;; [unrolled: 1-line block ×5, first 2 shown]
	v_lshl_add_u64 v[52:53], v[52:53], 3, s[0:1]
	v_lshl_add_u64 v[10:11], v[10:11], 2, v[4:5]
	;; [unrolled: 1-line block ×5, first 2 shown]
	global_load_dwordx2 v[52:53], v[52:53], off
	s_nop 0
	global_load_dword v68, v[10:11], off
	global_load_dword v69, v[12:13], off
	;; [unrolled: 1-line block ×4, first 2 shown]
	s_waitcnt vmcnt(62)
	ds_write_b32 v89, v1 offset:264
	v_accvgpr_read_b32 v97, a9
	v_accvgpr_read_b32 v96, a8
	;; [unrolled: 1-line block ×4, first 2 shown]
	v_accvgpr_mov_b32 a6, a12
	v_accvgpr_read_b32 v100, a4
	v_accvgpr_read_b32 v99, a11
	;; [unrolled: 1-line block ×3, first 2 shown]
	v_accvgpr_mov_b32 a7, a13
	v_accvgpr_mov_b32 a8, a14
	;; [unrolled: 1-line block ×3, first 2 shown]
	v_accvgpr_read_b32 v101, a5
	v_accvgpr_write_b32 a10, v96
	v_accvgpr_mov_b32 a17, a3
	v_accvgpr_mov_b32 a16, a2
	v_accvgpr_write_b32 a2, v100
	v_accvgpr_write_b32 a11, v97
	;; [unrolled: 1-line block ×7, first 2 shown]
	v_accvgpr_mov_b32 a15, a1
	v_accvgpr_mov_b32 a14, a0
	v_add_u32_e32 v88, 0x100, v88
	v_cmp_le_i32_e32 vcc, s5, v88
	v_lshl_add_u64 v[6:7], v[6:7], 0, s[20:21]
	s_or_b64 s[16:17], vcc, s[16:17]
	v_lshl_add_u64 v[8:9], v[8:9], 0, s[22:23]
	s_waitcnt vmcnt(13)
	ds_write_b32 v89, v77
	ds_write_b32 v89, v2 offset:528
	ds_write_b32 v89, v80 offset:792
	ds_write_b32 v89, v81 offset:1056
	ds_write_b32 v89, v78 offset:1320
	ds_write_b32 v89, v79 offset:1584
	ds_write_b32 v89, v74 offset:1848
	ds_write_b32 v89, v75 offset:2112
	ds_write_b32 v89, v70 offset:2376
	ds_write_b32 v89, v71 offset:2640
	ds_write_b32 v89, v64 offset:2904
	ds_write_b32 v89, v65 offset:3168
	ds_write_b32 v89, v58 offset:3432
	ds_write_b32 v89, v59 offset:3696
	ds_write_b32 v89, v57 offset:3960
	s_waitcnt vmcnt(10)
	v_cvt_pk_bf16_f32 v77, v16, v17
	s_waitcnt vmcnt(5)
	v_cvt_pk_bf16_f32 v1, v44, v45
	;; [unrolled: 2-line block ×3, first 2 shown]
	ds_read_b64 v[10:11], v90
	ds_read_b64 v[12:13], v90 offset:32
	ds_read_b64 v[14:15], v90 offset:64
	;; [unrolled: 1-line block ×7, first 2 shown]
	ds_write_b32 v89, v56
	ds_write_b32 v89, v46 offset:264
	ds_write_b32 v89, v47 offset:528
	ds_write_b32 v89, v36 offset:792
	ds_write_b32 v89, v37 offset:1056
	ds_write_b32 v89, v24 offset:1320
	ds_write_b32 v89, v25 offset:1584
	ds_write_b32 v89, v28 offset:1848
	ds_write_b32 v89, v29 offset:2112
	ds_write_b32 v89, v82 offset:2376
	ds_write_b32 v89, v83 offset:2640
	ds_write_b32 v89, v22 offset:2904
	ds_write_b32 v89, v23 offset:3168
	ds_write_b32 v89, v20 offset:3432
	ds_write_b32 v89, v21 offset:3696
	ds_write_b32 v89, v27 offset:3960
	ds_read_b64 v[20:21], v90
	ds_read_b64 v[22:23], v90 offset:32
	ds_read_b64 v[24:25], v90 offset:64
	ds_read_b64 v[28:29], v90 offset:96
	ds_read_b64 v[36:37], v90 offset:128
	ds_read_b64 v[46:47], v90 offset:160
	ds_read_b64 v[56:57], v90 offset:192
	ds_read_b64 v[58:59], v90 offset:224
	ds_write_b32 v89, v26
	ds_write_b32 v89, v30 offset:264
	ds_write_b32 v89, v31 offset:528
	;; [unrolled: 1-line block ×15, first 2 shown]
	ds_read_b64 v[26:27], v90
	ds_read_b64 v[30:31], v90 offset:32
	ds_read_b64 v[34:35], v90 offset:64
	;; [unrolled: 1-line block ×7, first 2 shown]
	ds_write_b32 v89, v32
	ds_write_b32 v89, v60 offset:264
	ds_write_b32 v89, v61 offset:528
	ds_write_b32 v89, v72 offset:792
	ds_write_b32 v89, v73 offset:1056
	ds_write_b32 v89, v76 offset:1320
	ds_write_b32 v89, v91 offset:1584
	ds_write_b32 v89, v92 offset:1848
	ds_write_b32 v89, v62 offset:2112
	ds_write_b32 v89, v63 offset:2376
	ds_write_b32 v89, v66 offset:2640
	ds_write_b32 v89, v67 offset:2904
	s_waitcnt vmcnt(3)
	ds_write_b32 v89, v68 offset:3168
	s_waitcnt vmcnt(2)
	ds_write_b32 v89, v69 offset:3432
	;; [unrolled: 2-line block ×4, first 2 shown]
	ds_read_b64 v[32:33], v90
	ds_read_b64 v[60:61], v90 offset:32
	ds_read_b64 v[62:63], v90 offset:64
	ds_read_b64 v[64:65], v90 offset:96
	ds_read_b64 v[66:67], v90 offset:128
	ds_read_b64 v[68:69], v90 offset:160
	ds_read_b64 v[70:71], v90 offset:192
	ds_read_b64 v[72:73], v90 offset:224
	ds_write_b32 v89, v77
	ds_write_b32 v89, v1 offset:264
	ds_write_b32 v89, v2 offset:528
	;; [unrolled: 1-line block ×15, first 2 shown]
	ds_read_b64 v[74:75], v90
	s_waitcnt lgkmcnt(0)
	v_mfma_f32_16x16x16_bf16 a[6:9], v[10:11], v[74:75], a[6:9]
	ds_read_b64 v[10:11], v90 offset:32
	v_mfma_f32_16x16x16_bf16 a[10:13], v[20:21], v[74:75], a[10:13]
	v_mfma_f32_16x16x16_bf16 a[2:5], v[26:27], v[74:75], a[2:5]
	;; [unrolled: 1-line block ×3, first 2 shown]
	s_waitcnt lgkmcnt(0)
	v_mfma_f32_16x16x16_bf16 a[6:9], v[12:13], v[10:11], a[6:9]
	v_mfma_f32_16x16x16_bf16 a[10:13], v[22:23], v[10:11], a[10:13]
	v_mfma_f32_16x16x16_bf16 a[0:3], v[30:31], v[10:11], a[2:5]
	v_mfma_f32_16x16x16_bf16 a[14:17], v[60:61], v[10:11], a[14:17]
	ds_read_b64 v[10:11], v90 offset:64
	s_waitcnt lgkmcnt(0)
	v_mfma_f32_16x16x16_bf16 a[4:7], v[14:15], v[10:11], a[6:9]
	v_mfma_f32_16x16x16_bf16 a[8:11], v[24:25], v[10:11], a[10:13]
	v_mfma_f32_16x16x16_bf16 a[0:3], v[34:35], v[10:11], a[0:3]
	v_mfma_f32_16x16x16_bf16 a[12:15], v[62:63], v[10:11], a[14:17]
	ds_read_b64 v[10:11], v90 offset:96
	;; [unrolled: 6-line block ×6, first 2 shown]
	s_waitcnt lgkmcnt(0)
	v_mfma_f32_16x16x16_bf16 a[12:15], v[54:55], v[10:11], a[4:7]
	v_mfma_f32_16x16x16_bf16 a[8:11], v[58:59], v[10:11], a[8:11]
	;; [unrolled: 1-line block ×4, first 2 shown]
	s_andn2_b64 exec, exec, s[16:17]
	s_cbranch_execnz .LBB134_4
; %bb.5:
	s_or_b64 exec, exec, s[16:17]
.LBB134_6:
	s_or_b64 exec, exec, s[24:25]
	v_lshl_add_u32 v1, v86, 2, 0
	v_mul_u32_u24_e32 v2, 0x408, v87
	v_and_b32_e32 v3, 0x3f0, v84
	v_add3_u32 v1, v1, v2, v3
	v_accvgpr_read_b32 v2, a13
	v_accvgpr_read_b32 v3, a12
	s_waitcnt lgkmcnt(0)
	s_barrier
	ds_write2_b32 v1, v3, v2 offset1:1
	v_accvgpr_read_b32 v2, a15
	v_accvgpr_read_b32 v3, a14
	ds_write2_b32 v1, v3, v2 offset0:2 offset1:3
	v_accvgpr_read_b32 v2, a9
	v_accvgpr_read_b32 v3, a8
	ds_write2_b32 v1, v3, v2 offset0:16 offset1:17
	;; [unrolled: 3-line block ×6, first 2 shown]
	v_accvgpr_read_b32 v2, a3
	v_accvgpr_read_b32 v3, a2
	v_cmp_gt_u32_e32 vcc, 3, v85
	ds_write2_b32 v1, v3, v2 offset0:50 offset1:51
	s_waitcnt lgkmcnt(0)
	s_barrier
	s_and_saveexec_b64 s[0:1], vcc
	s_cbranch_execz .LBB134_8
; %bb.7:
	v_mul_u32_u24_e32 v1, 0x408, v85
	v_add3_u32 v2, 0, v0, v1
	ds_read2st64_b32 v[0:1], v2 offset1:1
	s_mul_hi_i32 s1, s15, s4
	s_mul_i32 s0, s15, s4
	s_lshl_b64 s[0:1], s[0:1], 2
	ds_read2st64_b32 v[2:3], v2 offset0:2 offset1:3
	s_mul_i32 s4, s11, s3
	s_add_u32 s3, s6, s0
	s_addc_u32 s6, s7, s1
	s_ashr_i32 s5, s4, 31
	s_lshl_b64 s[0:1], s[4:5], 2
	s_waitcnt lgkmcnt(1)
	v_add_f32_e32 v0, 0, v0
	s_add_u32 s0, s3, s0
	v_mul_lo_u32 v4, s18, v85
	v_add_f32_e32 v0, v0, v1
	s_addc_u32 s1, s6, s1
	v_add3_u32 v4, s2, v84, v4
	v_mov_b32_e32 v5, 0
	s_waitcnt lgkmcnt(0)
	v_add_f32_e32 v0, v0, v2
	v_add_f32_e32 v2, v0, v3
	v_lshl_add_u64 v[0:1], v[4:5], 2, s[0:1]
	global_store_dword v[0:1], v2, off
.LBB134_8:
	s_endpgm
	.section	.rodata,"a",@progbits
	.p2align	6, 0x0
	.amdhsa_kernel _ZL9mul_mat_fI15__hip_bfloat162Li64ELi3ELi4ELb0EEvPKT_PKfPKiPfiiiiiiiiiiiiiiii
		.amdhsa_group_segment_fixed_size 0
		.amdhsa_private_segment_fixed_size 0
		.amdhsa_kernarg_size 96
		.amdhsa_user_sgpr_count 2
		.amdhsa_user_sgpr_dispatch_ptr 0
		.amdhsa_user_sgpr_queue_ptr 0
		.amdhsa_user_sgpr_kernarg_segment_ptr 1
		.amdhsa_user_sgpr_dispatch_id 0
		.amdhsa_user_sgpr_kernarg_preload_length 0
		.amdhsa_user_sgpr_kernarg_preload_offset 0
		.amdhsa_user_sgpr_private_segment_size 0
		.amdhsa_uses_dynamic_stack 0
		.amdhsa_enable_private_segment 0
		.amdhsa_system_sgpr_workgroup_id_x 1
		.amdhsa_system_sgpr_workgroup_id_y 1
		.amdhsa_system_sgpr_workgroup_id_z 1
		.amdhsa_system_sgpr_workgroup_info 0
		.amdhsa_system_vgpr_workitem_id 1
		.amdhsa_next_free_vgpr 124
		.amdhsa_next_free_sgpr 87
		.amdhsa_accum_offset 104
		.amdhsa_reserve_vcc 1
		.amdhsa_float_round_mode_32 0
		.amdhsa_float_round_mode_16_64 0
		.amdhsa_float_denorm_mode_32 3
		.amdhsa_float_denorm_mode_16_64 3
		.amdhsa_dx10_clamp 1
		.amdhsa_ieee_mode 1
		.amdhsa_fp16_overflow 0
		.amdhsa_tg_split 0
		.amdhsa_exception_fp_ieee_invalid_op 0
		.amdhsa_exception_fp_denorm_src 0
		.amdhsa_exception_fp_ieee_div_zero 0
		.amdhsa_exception_fp_ieee_overflow 0
		.amdhsa_exception_fp_ieee_underflow 0
		.amdhsa_exception_fp_ieee_inexact 0
		.amdhsa_exception_int_div_zero 0
	.end_amdhsa_kernel
	.section	.text._ZL9mul_mat_fI15__hip_bfloat162Li64ELi3ELi4ELb0EEvPKT_PKfPKiPfiiiiiiiiiiiiiiii,"axG",@progbits,_ZL9mul_mat_fI15__hip_bfloat162Li64ELi3ELi4ELb0EEvPKT_PKfPKiPfiiiiiiiiiiiiiiii,comdat
.Lfunc_end134:
	.size	_ZL9mul_mat_fI15__hip_bfloat162Li64ELi3ELi4ELb0EEvPKT_PKfPKiPfiiiiiiiiiiiiiiii, .Lfunc_end134-_ZL9mul_mat_fI15__hip_bfloat162Li64ELi3ELi4ELb0EEvPKT_PKfPKiPfiiiiiiiiiiiiiiii
                                        ; -- End function
	.set _ZL9mul_mat_fI15__hip_bfloat162Li64ELi3ELi4ELb0EEvPKT_PKfPKiPfiiiiiiiiiiiiiiii.num_vgpr, 104
	.set _ZL9mul_mat_fI15__hip_bfloat162Li64ELi3ELi4ELb0EEvPKT_PKfPKiPfiiiiiiiiiiiiiiii.num_agpr, 20
	.set _ZL9mul_mat_fI15__hip_bfloat162Li64ELi3ELi4ELb0EEvPKT_PKfPKiPfiiiiiiiiiiiiiiii.numbered_sgpr, 87
	.set _ZL9mul_mat_fI15__hip_bfloat162Li64ELi3ELi4ELb0EEvPKT_PKfPKiPfiiiiiiiiiiiiiiii.num_named_barrier, 0
	.set _ZL9mul_mat_fI15__hip_bfloat162Li64ELi3ELi4ELb0EEvPKT_PKfPKiPfiiiiiiiiiiiiiiii.private_seg_size, 0
	.set _ZL9mul_mat_fI15__hip_bfloat162Li64ELi3ELi4ELb0EEvPKT_PKfPKiPfiiiiiiiiiiiiiiii.uses_vcc, 1
	.set _ZL9mul_mat_fI15__hip_bfloat162Li64ELi3ELi4ELb0EEvPKT_PKfPKiPfiiiiiiiiiiiiiiii.uses_flat_scratch, 0
	.set _ZL9mul_mat_fI15__hip_bfloat162Li64ELi3ELi4ELb0EEvPKT_PKfPKiPfiiiiiiiiiiiiiiii.has_dyn_sized_stack, 0
	.set _ZL9mul_mat_fI15__hip_bfloat162Li64ELi3ELi4ELb0EEvPKT_PKfPKiPfiiiiiiiiiiiiiiii.has_recursion, 0
	.set _ZL9mul_mat_fI15__hip_bfloat162Li64ELi3ELi4ELb0EEvPKT_PKfPKiPfiiiiiiiiiiiiiiii.has_indirect_call, 0
	.section	.AMDGPU.csdata,"",@progbits
; Kernel info:
; codeLenInByte = 4652
; TotalNumSgprs: 93
; NumVgprs: 104
; NumAgprs: 20
; TotalNumVgprs: 124
; ScratchSize: 0
; MemoryBound: 0
; FloatMode: 240
; IeeeMode: 1
; LDSByteSize: 0 bytes/workgroup (compile time only)
; SGPRBlocks: 11
; VGPRBlocks: 15
; NumSGPRsForWavesPerEU: 93
; NumVGPRsForWavesPerEU: 124
; AccumOffset: 104
; Occupancy: 4
; WaveLimiterHint : 0
; COMPUTE_PGM_RSRC2:SCRATCH_EN: 0
; COMPUTE_PGM_RSRC2:USER_SGPR: 2
; COMPUTE_PGM_RSRC2:TRAP_HANDLER: 0
; COMPUTE_PGM_RSRC2:TGID_X_EN: 1
; COMPUTE_PGM_RSRC2:TGID_Y_EN: 1
; COMPUTE_PGM_RSRC2:TGID_Z_EN: 1
; COMPUTE_PGM_RSRC2:TIDIG_COMP_CNT: 1
; COMPUTE_PGM_RSRC3_GFX90A:ACCUM_OFFSET: 25
; COMPUTE_PGM_RSRC3_GFX90A:TG_SPLIT: 0
	.section	.text._ZL13mul_mat_f_idsI15__hip_bfloat162Li64ELi3ELi5EEvPKT_PKfPKiS7_S7_Pfiiiiiiiiiiiiii15HIP_vector_typeIjLj3EESA_,"axG",@progbits,_ZL13mul_mat_f_idsI15__hip_bfloat162Li64ELi3ELi5EEvPKT_PKfPKiS7_S7_Pfiiiiiiiiiiiiii15HIP_vector_typeIjLj3EESA_,comdat
	.globl	_ZL13mul_mat_f_idsI15__hip_bfloat162Li64ELi3ELi5EEvPKT_PKfPKiS7_S7_Pfiiiiiiiiiiiiii15HIP_vector_typeIjLj3EESA_ ; -- Begin function _ZL13mul_mat_f_idsI15__hip_bfloat162Li64ELi3ELi5EEvPKT_PKfPKiS7_S7_Pfiiiiiiiiiiiiii15HIP_vector_typeIjLj3EESA_
	.p2align	8
	.type	_ZL13mul_mat_f_idsI15__hip_bfloat162Li64ELi3ELi5EEvPKT_PKfPKiS7_S7_Pfiiiiiiiiiiiiii15HIP_vector_typeIjLj3EESA_,@function
_ZL13mul_mat_f_idsI15__hip_bfloat162Li64ELi3ELi5EEvPKT_PKfPKiS7_S7_Pfiiiiiiiiiiiiii15HIP_vector_typeIjLj3EESA_: ; @_ZL13mul_mat_f_idsI15__hip_bfloat162Li64ELi3ELi5EEvPKT_PKfPKiS7_S7_Pfiiiiiiiiiiiiii15HIP_vector_typeIjLj3EESA_
; %bb.0:
	s_load_dwordx2 s[6:7], s[0:1], 0x20
	s_mov_b32 s34, s3
	s_ashr_i32 s35, s3, 31
	s_lshl_b64 s[8:9], s[34:35], 2
	s_waitcnt lgkmcnt(0)
	s_add_u32 s6, s6, s8
	s_addc_u32 s7, s7, s9
	s_load_dwordx2 s[26:27], s[6:7], 0x0
	s_waitcnt lgkmcnt(0)
	s_sub_i32 s33, s27, s26
	s_add_i32 s3, s33, 2
	s_mul_hi_i32 s3, s3, 0x55555556
	s_lshr_b32 s5, s3, 31
	s_add_i32 s3, s3, s5
	s_cmp_ge_i32 s4, s3
	s_cbranch_scc1 .LBB135_20
; %bb.1:
	v_bfe_u32 v85, v0, 10, 10
	v_lshlrev_b32_e32 v86, 6, v85
	v_and_b32_e32 v84, 0x3ff, v0
	s_load_dwordx4 s[12:15], s[0:1], 0x30
	s_load_dwordx2 s[20:21], s[0:1], 0x40
	s_load_dwordx4 s[8:11], s[0:1], 0x4c
	s_load_dwordx4 s[16:19], s[0:1], 0x68
	s_load_dwordx2 s[24:25], s[0:1], 0x78
	v_add_u32_e32 v88, v86, v84
	s_ashr_i32 s27, s26, 31
	s_waitcnt lgkmcnt(0)
	v_cmp_le_i32_e32 vcc, s12, v88
	v_and_b32_e32 v87, 15, v84
	s_and_saveexec_b64 s[6:7], vcc
	s_xor_b64 s[6:7], exec, s[6:7]
; %bb.2:
	v_and_b32_e32 v87, 15, v84
                                        ; implicit-def: $vgpr88
; %bb.3:
	s_or_saveexec_b64 s[30:31], s[6:7]
	s_load_dwordx2 s[6:7], s[0:1], 0x18
                                        ; implicit-def: $vgpr101 : SGPR spill to VGPR lane
	v_mov_b32_e32 v15, 0
	s_lshl_b32 s11, s2, 6
	s_mul_i32 s2, s4, 3
	v_mov_b32_e32 v14, v15
	s_waitcnt lgkmcnt(0)
	v_writelane_b32 v101, s6, 0
	v_mov_b32_e32 v13, v15
	v_mov_b32_e32 v12, v15
	v_writelane_b32 v101, s7, 1
	s_load_dwordx2 s[6:7], s[0:1], 0x28
	v_mov_b32_e32 v7, v15
	v_mov_b32_e32 v6, v15
	;; [unrolled: 1-line block ×4, first 2 shown]
	s_waitcnt lgkmcnt(0)
	v_writelane_b32 v101, s6, 2
	v_mov_b32_e32 v3, v15
	v_mov_b32_e32 v2, v15
	;; [unrolled: 1-line block ×8, first 2 shown]
	v_writelane_b32 v101, s7, 3
	s_xor_b64 exec, exec, s[30:31]
	s_cbranch_execz .LBB135_16
; %bb.4:
	s_load_dwordx4 s[4:7], s[0:1], 0x0
	s_load_dwordx2 s[22:23], s[0:1], 0x10
	s_mul_i32 s0, s8, s34
	s_ashr_i32 s1, s0, 31
	v_writelane_b32 v101, s24, 4
	s_lshl_b64 s[44:45], s[0:1], 2
	s_waitcnt lgkmcnt(0)
	s_add_u32 s0, s4, s44
	v_writelane_b32 v101, s25, 5
	s_mul_i32 s24, s15, s11
	s_addc_u32 s1, s5, s45
	s_ashr_i32 s25, s24, 31
	s_lshl_b64 s[46:47], s[24:25], 2
	s_add_u32 s0, s0, s46
	s_addc_u32 s1, s1, s47
	s_lshl_b64 s[24:25], s[26:27], 2
	s_add_u32 s8, s22, s24
	s_addc_u32 s24, s23, s25
	s_movk_i32 s3, 0x1080
	s_cmp_lt_i32 s2, s33
	v_mad_u32_u24 v1, v85, s3, 0
	s_cselect_b64 s[34:35], -1, 0
	s_ashr_i32 s3, s2, 31
	s_lshl_b64 s[22:23], s[2:3], 2
	s_add_u32 s36, s8, s22
	s_addc_u32 s37, s24, s23
	s_add_i32 s3, s2, 1
	s_cmp_lt_i32 s3, s33
	s_cselect_b64 s[38:39], -1, 0
	s_add_i32 s3, s2, 2
	s_cmp_lt_i32 s3, s33
	s_cselect_b64 s[40:41], -1, 0
	s_ashr_i32 s23, s15, 31
	s_mov_b32 s22, s15
	s_add_i32 s3, s15, s15
	s_lshl_b32 s48, s15, 2
	s_lshl_b32 s52, s15, 3
	s_lshl_b32 s60, s15, 4
	s_lshl_b32 s76, s15, 5
	s_lshl_b64 s[42:43], s[22:23], 2
	v_lshrrev_b32_e32 v3, 1, v84
	s_add_u32 s22, s44, s46
	v_mov_b32_e32 v17, 0
	v_lshlrev_b32_e32 v0, 2, v84
	v_mul_u32_u24_e32 v2, 0x108, v87
	v_and_b32_e32 v3, 0x1f8, v3
	s_addc_u32 s23, s45, s47
	v_lshlrev_b32_e32 v16, 8, v85
	v_add_u32_e32 v89, v1, v0
	v_add3_u32 v90, v1, v2, v3
	v_lshl_add_u64 v[2:3], s[22:23], 0, v[16:17]
	v_mov_b32_e32 v1, v17
	v_lshl_add_u64 v[0:1], v[2:3], 0, v[0:1]
	s_mul_i32 s8, s15, 3
	s_mul_i32 s49, s15, 5
	;; [unrolled: 1-line block ×43, first 2 shown]
	v_lshl_add_u64 v[18:19], s[4:5], 0, v[0:1]
	v_mov_b32_e32 v8, 0
	v_mov_b32_e32 v9, v17
	;; [unrolled: 1-line block ×16, first 2 shown]
	s_mul_i32 s90, s15, 50
	s_mul_i32 s91, s15, 51
	;; [unrolled: 1-line block ×14, first 2 shown]
	s_mov_b32 s23, 0x5040100
	s_mov_b64 s[4:5], 0
	s_branch .LBB135_6
.LBB135_5:                              ;   in Loop: Header=BB135_6 Depth=1
	v_perm_b32 v16, v16, v91, s23
	v_perm_b32 v91, v93, v94, s23
	ds_write2_b32 v89, v16, v91 offset1:66
	v_perm_b32 v16, v95, v92, s23
	ds_write2_b32 v89, v16, v17 offset0:132 offset1:198
	v_add_u32_e32 v16, 0x400, v89
	ds_write2_b32 v16, v17, v17 offset0:8 offset1:74
	ds_write2_b32 v16, v17, v17 offset0:140 offset1:206
	v_add_u32_e32 v16, 0x800, v89
	ds_write2_b32 v16, v17, v17 offset0:16 offset1:82
	;; [unrolled: 3-line block ×3, first 2 shown]
	ds_write2_b32 v16, v17, v17 offset0:156 offset1:222
	ds_read2_b64 v[92:95], v90 offset1:4
	s_waitcnt lgkmcnt(0)
	v_mfma_f32_16x16x16_bf16 v[0:3], v[52:53], v[92:93], v[0:3]
	v_add_u32_e32 v88, 0x140, v88
	s_mov_b64 vcc, 0x500
	v_lshl_add_u64 v[18:19], v[18:19], 0, vcc
	v_mfma_f32_16x16x16_bf16 v[8:11], v[36:37], v[92:93], v[8:11]
	v_cmp_le_i32_e32 vcc, s12, v88
	s_or_b64 s[4:5], vcc, s[4:5]
	v_mfma_f32_16x16x16_bf16 v[4:7], v[68:69], v[92:93], v[4:7]
	v_mfma_f32_16x16x16_bf16 v[12:15], v[82:83], v[92:93], v[12:15]
	v_mfma_f32_16x16x16_bf16 v[0:3], v[50:51], v[94:95], v[0:3]
	ds_read2_b64 v[50:53], v90 offset0:8 offset1:12
	v_mfma_f32_16x16x16_bf16 v[8:11], v[32:33], v[94:95], v[8:11]
	v_mfma_f32_16x16x16_bf16 v[4:7], v[66:67], v[94:95], v[4:7]
	v_mfma_f32_16x16x16_bf16 v[12:15], v[80:81], v[94:95], v[12:15]
	s_waitcnt lgkmcnt(0)
	v_mfma_f32_16x16x16_bf16 v[8:11], v[30:31], v[50:51], v[8:11]
	v_mfma_f32_16x16x16_bf16 v[0:3], v[46:47], v[50:51], v[0:3]
	v_mfma_f32_16x16x16_bf16 v[4:7], v[64:65], v[50:51], v[4:7]
	v_mfma_f32_16x16x16_bf16 v[12:15], v[76:77], v[50:51], v[12:15]
	v_mfma_f32_16x16x16_bf16 v[8:11], v[28:29], v[52:53], v[8:11]
	ds_read2_b64 v[28:31], v90 offset0:16 offset1:20
	v_mfma_f32_16x16x16_bf16 v[0:3], v[44:45], v[52:53], v[0:3]
	v_mfma_f32_16x16x16_bf16 v[4:7], v[62:63], v[52:53], v[4:7]
	v_mfma_f32_16x16x16_bf16 v[12:15], v[72:73], v[52:53], v[12:15]
	s_waitcnt lgkmcnt(0)
	v_mfma_f32_16x16x16_bf16 v[8:11], v[26:27], v[28:29], v[8:11]
	v_mfma_f32_16x16x16_bf16 v[0:3], v[42:43], v[28:29], v[0:3]
	;; [unrolled: 10-line block ×3, first 2 shown]
	v_mfma_f32_16x16x16_bf16 v[4:7], v[54:55], v[24:25], v[4:7]
	v_mfma_f32_16x16x16_bf16 v[12:15], v[70:71], v[24:25], v[12:15]
	v_mfma_f32_16x16x16_bf16 v[8:11], v[20:21], v[26:27], v[8:11]
	v_mfma_f32_16x16x16_bf16 v[0:3], v[34:35], v[26:27], v[0:3]
	v_mfma_f32_16x16x16_bf16 v[4:7], v[48:49], v[26:27], v[4:7]
	v_mfma_f32_16x16x16_bf16 v[12:15], v[58:59], v[26:27], v[12:15]
	s_andn2_b64 exec, exec, s[4:5]
	s_cbranch_execz .LBB135_15
.LBB135_6:                              ; =>This Inner Loop Header: Depth=1
	v_lshl_add_u64 v[20:21], v[18:19], 0, s[42:43]
	global_load_dword v16, v[18:19], off
	global_load_dword v46, v[20:21], off
	v_add_u32_e32 v20, s3, v88
	v_ashrrev_i32_e32 v21, 31, v20
	v_add_u32_e32 v22, s8, v88
	v_add_u32_e32 v24, s48, v88
	v_add_u32_e32 v26, s49, v88
	v_add_u32_e32 v28, s50, v88
	v_add_u32_e32 v30, s51, v88
	v_lshl_add_u64 v[20:21], v[20:21], 2, s[0:1]
	v_ashrrev_i32_e32 v23, 31, v22
	v_ashrrev_i32_e32 v25, 31, v24
	;; [unrolled: 1-line block ×5, first 2 shown]
	v_lshl_add_u64 v[22:23], v[22:23], 2, s[0:1]
	v_lshl_add_u64 v[24:25], v[24:25], 2, s[0:1]
	;; [unrolled: 1-line block ×5, first 2 shown]
	global_load_dword v47, v[20:21], off
	global_load_dword v48, v[22:23], off
	;; [unrolled: 1-line block ×6, first 2 shown]
	v_add_u32_e32 v20, s52, v88
	v_add_u32_e32 v38, s61, v88
	;; [unrolled: 1-line block ×10, first 2 shown]
	v_ashrrev_i32_e32 v21, 31, v20
	v_ashrrev_i32_e32 v39, 31, v38
	;; [unrolled: 1-line block ×10, first 2 shown]
	v_lshl_add_u64 v[20:21], v[20:21], 2, s[0:1]
	v_lshl_add_u64 v[38:39], v[38:39], 2, s[0:1]
	v_add_u32_e32 v40, s62, v88
	v_add_u32_e32 v42, s63, v88
	v_add_u32_e32 v44, s64, v88
	v_lshl_add_u64 v[22:23], v[22:23], 2, s[0:1]
	v_lshl_add_u64 v[24:25], v[24:25], 2, s[0:1]
	v_lshl_add_u64 v[26:27], v[26:27], 2, s[0:1]
	v_lshl_add_u64 v[28:29], v[28:29], 2, s[0:1]
	v_lshl_add_u64 v[30:31], v[30:31], 2, s[0:1]
	v_lshl_add_u64 v[32:33], v[32:33], 2, s[0:1]
	v_lshl_add_u64 v[34:35], v[34:35], 2, s[0:1]
	v_lshl_add_u64 v[36:37], v[36:37], 2, s[0:1]
	global_load_dword v53, v[20:21], off
	global_load_dword v54, v[22:23], off
	;; [unrolled: 1-line block ×9, first 2 shown]
	s_nop 0
	global_load_dword v38, v[38:39], off
	v_add_u32_e32 v20, s65, v88
	v_ashrrev_i32_e32 v41, 31, v40
	v_ashrrev_i32_e32 v43, 31, v42
	v_ashrrev_i32_e32 v45, 31, v44
	v_ashrrev_i32_e32 v21, 31, v20
	v_add_u32_e32 v22, s66, v88
	v_add_u32_e32 v24, s67, v88
	;; [unrolled: 1-line block ×4, first 2 shown]
	v_lshl_add_u64 v[40:41], v[40:41], 2, s[0:1]
	v_lshl_add_u64 v[42:43], v[42:43], 2, s[0:1]
	;; [unrolled: 1-line block ×4, first 2 shown]
	v_ashrrev_i32_e32 v23, 31, v22
	v_ashrrev_i32_e32 v25, 31, v24
	;; [unrolled: 1-line block ×4, first 2 shown]
	v_lshl_add_u64 v[22:23], v[22:23], 2, s[0:1]
	v_lshl_add_u64 v[24:25], v[24:25], 2, s[0:1]
	;; [unrolled: 1-line block ×4, first 2 shown]
	v_add_u32_e32 v30, s75, v88
	v_add_u32_e32 v32, s76, v88
	;; [unrolled: 1-line block ×3, first 2 shown]
	v_ashrrev_i32_e32 v31, 31, v30
	v_ashrrev_i32_e32 v33, 31, v32
	;; [unrolled: 1-line block ×3, first 2 shown]
	v_lshl_add_u64 v[30:31], v[30:31], 2, s[0:1]
	s_waitcnt vmcnt(17)
	ds_write_b32 v89, v16
	s_waitcnt vmcnt(16)
	ds_write_b32 v89, v46 offset:264
	s_waitcnt vmcnt(15)
	ds_write_b32 v89, v47 offset:528
	;; [unrolled: 2-line block ×7, first 2 shown]
	global_load_dword v16, v[40:41], off
	global_load_dword v39, v[42:43], off
	s_nop 0
	global_load_dword v40, v[44:45], off
	global_load_dword v41, v[20:21], off
	;; [unrolled: 1-line block ×4, first 2 shown]
	s_nop 0
	global_load_dword v44, v[26:27], off
	global_load_dword v45, v[28:29], off
	v_add_u32_e32 v20, s70, v88
	v_ashrrev_i32_e32 v21, 31, v20
	v_add_u32_e32 v22, s71, v88
	v_add_u32_e32 v24, s72, v88
	;; [unrolled: 1-line block ×4, first 2 shown]
	v_lshl_add_u64 v[20:21], v[20:21], 2, s[0:1]
	v_ashrrev_i32_e32 v23, 31, v22
	v_ashrrev_i32_e32 v25, 31, v24
	;; [unrolled: 1-line block ×4, first 2 shown]
	v_lshl_add_u64 v[22:23], v[22:23], 2, s[0:1]
	v_lshl_add_u64 v[24:25], v[24:25], 2, s[0:1]
	v_lshl_add_u64 v[26:27], v[26:27], 2, s[0:1]
	v_lshl_add_u64 v[28:29], v[28:29], 2, s[0:1]
	v_lshl_add_u64 v[32:33], v[32:33], 2, s[0:1]
	v_lshl_add_u64 v[34:35], v[34:35], 2, s[0:1]
	global_load_dword v46, v[20:21], off
	global_load_dword v47, v[22:23], off
	global_load_dword v48, v[24:25], off
	global_load_dword v49, v[26:27], off
	global_load_dword v50, v[28:29], off
	global_load_dword v51, v[30:31], off
	global_load_dword v62, v[32:33], off
	global_load_dword v63, v[34:35], off
	v_add_u32_e32 v20, s78, v88
	v_ashrrev_i32_e32 v21, 31, v20
	v_add_u32_e32 v22, s79, v88
	v_add_u32_e32 v24, s80, v88
	v_add_u32_e32 v26, s81, v88
	v_add_u32_e32 v28, s82, v88
	v_add_u32_e32 v30, s83, v88
	v_add_u32_e32 v32, s84, v88
	v_add_u32_e32 v34, s85, v88
	v_lshl_add_u64 v[20:21], v[20:21], 2, s[0:1]
	v_ashrrev_i32_e32 v23, 31, v22
	v_ashrrev_i32_e32 v25, 31, v24
	v_ashrrev_i32_e32 v27, 31, v26
	v_ashrrev_i32_e32 v29, 31, v28
	v_ashrrev_i32_e32 v31, 31, v30
	v_ashrrev_i32_e32 v33, 31, v32
	v_ashrrev_i32_e32 v35, 31, v34
	v_lshl_add_u64 v[22:23], v[22:23], 2, s[0:1]
	v_lshl_add_u64 v[24:25], v[24:25], 2, s[0:1]
	v_lshl_add_u64 v[26:27], v[26:27], 2, s[0:1]
	v_lshl_add_u64 v[28:29], v[28:29], 2, s[0:1]
	v_lshl_add_u64 v[30:31], v[30:31], 2, s[0:1]
	v_lshl_add_u64 v[32:33], v[32:33], 2, s[0:1]
	v_lshl_add_u64 v[34:35], v[34:35], 2, s[0:1]
	global_load_dword v64, v[20:21], off
	global_load_dword v65, v[22:23], off
	global_load_dword v66, v[24:25], off
	global_load_dword v67, v[26:27], off
	global_load_dword v68, v[28:29], off
	global_load_dword v69, v[30:31], off
	global_load_dword v70, v[32:33], off
	global_load_dword v71, v[34:35], off
	v_add_u32_e32 v20, s44, v88
	v_ashrrev_i32_e32 v21, 31, v20
	v_add_u32_e32 v22, s45, v88
	v_add_u32_e32 v24, s46, v88
	v_add_u32_e32 v26, s47, v88
	v_add_u32_e32 v28, s86, v88
	v_add_u32_e32 v30, s87, v88
	v_add_u32_e32 v32, s88, v88
	v_add_u32_e32 v34, s89, v88
	v_lshl_add_u64 v[20:21], v[20:21], 2, s[0:1]
	v_ashrrev_i32_e32 v23, 31, v22
	v_ashrrev_i32_e32 v25, 31, v24
	v_ashrrev_i32_e32 v27, 31, v26
	v_ashrrev_i32_e32 v29, 31, v28
	v_ashrrev_i32_e32 v31, 31, v30
	v_ashrrev_i32_e32 v33, 31, v32
	v_ashrrev_i32_e32 v35, 31, v34
	v_lshl_add_u64 v[22:23], v[22:23], 2, s[0:1]
	;; [unrolled: 32-line block ×3, first 2 shown]
	v_lshl_add_u64 v[24:25], v[24:25], 2, s[0:1]
	v_lshl_add_u64 v[26:27], v[26:27], 2, s[0:1]
	;; [unrolled: 1-line block ×6, first 2 shown]
	global_load_dword v80, v[20:21], off
	global_load_dword v81, v[22:23], off
	;; [unrolled: 1-line block ×8, first 2 shown]
	v_add_u32_e32 v20, s98, v88
	v_ashrrev_i32_e32 v21, 31, v20
	v_add_u32_e32 v22, s99, v88
	v_add_u32_e32 v24, s24, v88
	;; [unrolled: 1-line block ×5, first 2 shown]
	v_lshl_add_u64 v[20:21], v[20:21], 2, s[0:1]
	v_ashrrev_i32_e32 v23, 31, v22
	v_ashrrev_i32_e32 v25, 31, v24
	;; [unrolled: 1-line block ×5, first 2 shown]
	v_lshl_add_u64 v[22:23], v[22:23], 2, s[0:1]
	v_lshl_add_u64 v[24:25], v[24:25], 2, s[0:1]
	v_lshl_add_u64 v[26:27], v[26:27], 2, s[0:1]
	v_lshl_add_u64 v[28:29], v[28:29], 2, s[0:1]
	v_lshl_add_u64 v[30:31], v[30:31], 2, s[0:1]
	global_load_dword v95, v[20:21], off
	global_load_dword v96, v[22:23], off
	;; [unrolled: 1-line block ×6, first 2 shown]
	s_waitcnt vmcnt(55)
	ds_write_b32 v89, v53 offset:2112
	s_waitcnt vmcnt(54)
	ds_write_b32 v89, v54 offset:2376
	s_waitcnt vmcnt(53)
	ds_write_b32 v89, v55 offset:2640
	s_waitcnt vmcnt(52)
	ds_write_b32 v89, v56 offset:2904
	s_waitcnt vmcnt(51)
	ds_write_b32 v89, v57 offset:3168
	s_waitcnt vmcnt(50)
	ds_write_b32 v89, v58 offset:3432
	s_waitcnt vmcnt(49)
	ds_write_b32 v89, v59 offset:3696
	s_waitcnt vmcnt(48)
	ds_write_b32 v89, v60 offset:3960
	ds_read_b64 v[36:37], v90
	ds_read_b64 v[32:33], v90 offset:32
	ds_read_b64 v[30:31], v90 offset:64
	ds_read_b64 v[28:29], v90 offset:96
	ds_read_b64 v[26:27], v90 offset:128
	ds_read_b64 v[24:25], v90 offset:160
	ds_read_b64 v[22:23], v90 offset:192
	ds_read_b64 v[20:21], v90 offset:224
	s_waitcnt vmcnt(47)
	ds_write_b32 v89, v61
	s_waitcnt vmcnt(46)
	ds_write_b32 v89, v38 offset:264
	s_waitcnt vmcnt(45)
	ds_write_b32 v89, v16 offset:528
	s_waitcnt vmcnt(44)
	ds_write_b32 v89, v39 offset:792
	s_waitcnt vmcnt(43)
	ds_write_b32 v89, v40 offset:1056
	s_waitcnt vmcnt(42)
	ds_write_b32 v89, v41 offset:1320
	s_waitcnt vmcnt(41)
	ds_write_b32 v89, v42 offset:1584
	s_waitcnt vmcnt(40)
	ds_write_b32 v89, v43 offset:1848
	s_waitcnt vmcnt(39)
	ds_write_b32 v89, v44 offset:2112
	s_waitcnt vmcnt(38)
	ds_write_b32 v89, v45 offset:2376
	s_waitcnt vmcnt(37)
	ds_write_b32 v89, v46 offset:2640
	s_waitcnt vmcnt(36)
	ds_write_b32 v89, v47 offset:2904
	s_waitcnt vmcnt(35)
	ds_write_b32 v89, v48 offset:3168
	s_waitcnt vmcnt(34)
	ds_write_b32 v89, v49 offset:3432
	s_waitcnt vmcnt(33)
	ds_write_b32 v89, v50 offset:3696
	s_waitcnt vmcnt(32)
	ds_write_b32 v89, v51 offset:3960
	ds_read_b64 v[52:53], v90
	ds_read_b64 v[50:51], v90 offset:32
	ds_read_b64 v[46:47], v90 offset:64
	ds_read_b64 v[44:45], v90 offset:96
	ds_read_b64 v[42:43], v90 offset:128
	ds_read_b64 v[40:41], v90 offset:160
	ds_read_b64 v[38:39], v90 offset:192
	ds_read_b64 v[34:35], v90 offset:224
	s_waitcnt vmcnt(31)
	ds_write_b32 v89, v62
	s_waitcnt vmcnt(30)
	ds_write_b32 v89, v63 offset:264
	s_waitcnt vmcnt(29)
	ds_write_b32 v89, v64 offset:528
	s_waitcnt vmcnt(28)
	ds_write_b32 v89, v65 offset:792
	s_waitcnt vmcnt(27)
	ds_write_b32 v89, v66 offset:1056
	s_waitcnt vmcnt(26)
	ds_write_b32 v89, v67 offset:1320
	s_waitcnt vmcnt(25)
	ds_write_b32 v89, v68 offset:1584
	s_waitcnt vmcnt(24)
	ds_write_b32 v89, v69 offset:1848
	;; [unrolled: 40-line block ×3, first 2 shown]
	s_waitcnt vmcnt(7)
	ds_write_b32 v89, v93 offset:2112
	s_waitcnt vmcnt(6)
	ds_write_b32 v89, v94 offset:2376
	;; [unrolled: 2-line block ×8, first 2 shown]
	ds_read_b64 v[82:83], v90
	ds_read_b64 v[80:81], v90 offset:32
	ds_read_b64 v[76:77], v90 offset:64
	ds_read_b64 v[72:73], v90 offset:96
	ds_read_b64 v[78:79], v90 offset:128
	ds_read_b64 v[74:75], v90 offset:160
	ds_read_b64 v[70:71], v90 offset:192
	ds_read_b64 v[58:59], v90 offset:224
	s_andn2_b64 vcc, exec, s[34:35]
	v_mov_b32_e32 v91, 0
	v_mov_b32_e32 v16, 0
	s_cbranch_vccnz .LBB135_9
; %bb.7:                                ;   in Loop: Header=BB135_6 Depth=1
	s_load_dword vcc_lo, s[36:37], 0x0
	v_mov_b32_e32 v16, 0
	v_mov_b32_e32 v91, 0
	s_waitcnt lgkmcnt(0)
	s_mul_hi_u32 vcc_hi, vcc_lo, s16
	s_add_i32 vcc_hi, vcc_lo, vcc_hi
	s_lshr_b32 s28, vcc_hi, s17
	s_cmp_ge_i32 s28, s13
	s_cbranch_scc1 .LBB135_9
; %bb.8:                                ;   in Loop: Header=BB135_6 Depth=1
	s_mul_i32 vcc_hi, s28, s18
	s_sub_i32 s29, vcc_lo, vcc_hi
	s_mul_i32 s28, s28, s20
	s_mul_i32 s29, s29, s9
	v_add_u32_e32 v16, s28, v88
	v_lshl_add_u32 v92, v16, 1, s29
	v_ashrrev_i32_e32 v93, 31, v92
	v_lshl_add_u64 v[92:93], v[92:93], 2, s[6:7]
	global_load_dwordx2 v[92:93], v[92:93], off
	s_waitcnt vmcnt(0)
	v_cvt_pk_bf16_f32 v91, v92, s0
	v_cvt_pk_bf16_f32 v16, v93, s0
.LBB135_9:                              ;   in Loop: Header=BB135_6 Depth=1
	v_mov_b32_e32 v92, 0
	s_andn2_b64 vcc, exec, s[38:39]
	v_mov_b32_e32 v94, 0
	v_mov_b32_e32 v93, 0
	s_cbranch_vccnz .LBB135_12
; %bb.10:                               ;   in Loop: Header=BB135_6 Depth=1
	s_load_dword vcc_lo, s[36:37], 0x4
	v_mov_b32_e32 v93, 0
	v_mov_b32_e32 v94, 0
	s_waitcnt lgkmcnt(0)
	s_mul_hi_u32 s28, vcc_lo, s16
	s_add_i32 s28, vcc_lo, s28
	s_lshr_b32 vcc_hi, s28, s17
	s_cmp_ge_i32 vcc_hi, s13
	s_cbranch_scc1 .LBB135_12
; %bb.11:                               ;   in Loop: Header=BB135_6 Depth=1
	s_mul_i32 s28, vcc_hi, s18
	s_sub_i32 s28, vcc_lo, s28
	s_mul_i32 vcc_hi, vcc_hi, s20
	s_mul_i32 s28, s28, s9
	v_add_u32_e32 v93, vcc_hi, v88
	v_lshl_add_u32 v94, v93, 1, s28
	v_ashrrev_i32_e32 v95, 31, v94
	v_lshl_add_u64 v[94:95], v[94:95], 2, s[6:7]
	global_load_dwordx2 v[94:95], v[94:95], off
	s_waitcnt vmcnt(0)
	v_cvt_pk_bf16_f32 v94, v94, s0
	v_cvt_pk_bf16_f32 v93, v95, s0
.LBB135_12:                             ;   in Loop: Header=BB135_6 Depth=1
	s_andn2_b64 vcc, exec, s[40:41]
	v_mov_b32_e32 v95, 0
	s_cbranch_vccnz .LBB135_5
; %bb.13:                               ;   in Loop: Header=BB135_6 Depth=1
	s_load_dword vcc_lo, s[36:37], 0x8
	v_mov_b32_e32 v95, 0
	v_mov_b32_e32 v92, 0
	s_waitcnt lgkmcnt(0)
	s_mul_hi_u32 s28, vcc_lo, s16
	s_add_i32 s28, vcc_lo, s28
	s_lshr_b32 vcc_hi, s28, s17
	s_cmp_ge_i32 vcc_hi, s13
	s_cbranch_scc1 .LBB135_5
; %bb.14:                               ;   in Loop: Header=BB135_6 Depth=1
	s_mul_i32 s28, vcc_hi, s18
	s_sub_i32 s28, vcc_lo, s28
	s_mul_i32 vcc_hi, vcc_hi, s20
	s_mul_i32 s28, s28, s9
	v_add_u32_e32 v92, vcc_hi, v88
	v_lshl_add_u32 v96, v92, 1, s28
	v_ashrrev_i32_e32 v97, 31, v96
	v_lshl_add_u64 v[96:97], v[96:97], 2, s[6:7]
	global_load_dwordx2 v[96:97], v[96:97], off
	s_waitcnt vmcnt(0)
	v_cvt_pk_bf16_f32 v92, v96, s0
	v_cvt_pk_bf16_f32 v95, v97, s0
	s_branch .LBB135_5
.LBB135_15:
	s_or_b64 exec, exec, s[4:5]
	v_readlane_b32 s24, v101, 4
	v_readlane_b32 s25, v101, 5
.LBB135_16:
	s_or_b64 exec, exec, s[30:31]
	v_lshl_add_u32 v16, v86, 2, 0
	v_mul_u32_u24_e32 v17, 0x508, v87
	v_and_b32_e32 v18, 0x3f0, v84
	v_add3_u32 v16, v16, v17, v18
	v_cmp_gt_u32_e32 vcc, 3, v85
	s_barrier
	ds_write2_b32 v16, v8, v9 offset1:1
	ds_write2_b32 v16, v10, v11 offset0:2 offset1:3
	ds_write2_b32 v16, v0, v1 offset0:16 offset1:17
	;; [unrolled: 1-line block ×7, first 2 shown]
	s_waitcnt lgkmcnt(0)
	s_barrier
	s_and_saveexec_b64 s[0:1], vcc
	s_cbranch_execz .LBB135_20
; %bb.17:
	s_cmp_gt_i32 s14, 0
	v_add_u32_e32 v0, s2, v85
	s_cselect_b64 s[0:1], -1, 0
	v_cmp_gt_i32_e32 vcc, s33, v0
	s_and_b64 s[0:1], s[0:1], vcc
	s_and_b64 exec, exec, s[0:1]
	s_cbranch_execz .LBB135_20
; %bb.18:
	s_lshl_b64 s[0:1], s[26:27], 2
	v_readlane_b32 s2, v101, 0
	v_readlane_b32 s3, v101, 1
	s_add_u32 s0, s2, s0
	s_addc_u32 s1, s3, s1
	v_ashrrev_i32_e32 v1, 31, v0
	v_lshl_add_u64 v[0:1], v[0:1], 2, s[0:1]
	global_load_dword v0, v[0:1], off
	s_waitcnt vmcnt(0)
	v_mul_hi_u32 v1, v0, s19
	v_add_u32_e32 v1, v0, v1
	v_lshrrev_b32_e32 v1, s24, v1
	v_cmp_gt_i32_e32 vcc, s13, v1
	s_and_b64 exec, exec, vcc
	s_cbranch_execz .LBB135_20
; %bb.19:
	v_lshlrev_b32_e32 v2, 2, v84
	v_mul_u32_u24_e32 v3, 0x508, v85
	v_add3_u32 v6, 0, v2, v3
	ds_read2st64_b32 v[2:3], v6 offset1:1
	ds_read2st64_b32 v[4:5], v6 offset0:2 offset1:3
	ds_read_b32 v6, v6 offset:1024
	v_add_u32_e32 v7, s11, v84
	v_readlane_b32 s0, v101, 2
	s_waitcnt lgkmcnt(2)
	v_add_f32_e32 v2, 0, v2
	v_add_f32_e32 v2, v2, v3
	v_mul_lo_u32 v3, v1, s25
	v_sub_u32_e32 v0, v0, v3
	s_waitcnt lgkmcnt(1)
	v_add_f32_e32 v2, v2, v4
	v_mul_lo_u32 v0, v0, s10
	v_mul_lo_u32 v1, v1, s21
	v_add_f32_e32 v2, v2, v5
	v_add3_u32 v0, v7, v1, v0
	v_mov_b32_e32 v1, 0
	v_readlane_b32 s1, v101, 3
	s_waitcnt lgkmcnt(0)
	v_add_f32_e32 v2, v2, v6
	v_lshl_add_u64 v[0:1], v[0:1], 2, s[0:1]
	global_store_dword v[0:1], v2, off
.LBB135_20:
	s_endpgm
	.section	.rodata,"a",@progbits
	.p2align	6, 0x0
	.amdhsa_kernel _ZL13mul_mat_f_idsI15__hip_bfloat162Li64ELi3ELi5EEvPKT_PKfPKiS7_S7_Pfiiiiiiiiiiiiii15HIP_vector_typeIjLj3EESA_
		.amdhsa_group_segment_fixed_size 0
		.amdhsa_private_segment_fixed_size 0
		.amdhsa_kernarg_size 128
		.amdhsa_user_sgpr_count 2
		.amdhsa_user_sgpr_dispatch_ptr 0
		.amdhsa_user_sgpr_queue_ptr 0
		.amdhsa_user_sgpr_kernarg_segment_ptr 1
		.amdhsa_user_sgpr_dispatch_id 0
		.amdhsa_user_sgpr_kernarg_preload_length 0
		.amdhsa_user_sgpr_kernarg_preload_offset 0
		.amdhsa_user_sgpr_private_segment_size 0
		.amdhsa_uses_dynamic_stack 0
		.amdhsa_enable_private_segment 0
		.amdhsa_system_sgpr_workgroup_id_x 1
		.amdhsa_system_sgpr_workgroup_id_y 1
		.amdhsa_system_sgpr_workgroup_id_z 1
		.amdhsa_system_sgpr_workgroup_info 0
		.amdhsa_system_vgpr_workitem_id 1
		.amdhsa_next_free_vgpr 102
		.amdhsa_next_free_sgpr 100
		.amdhsa_accum_offset 104
		.amdhsa_reserve_vcc 1
		.amdhsa_float_round_mode_32 0
		.amdhsa_float_round_mode_16_64 0
		.amdhsa_float_denorm_mode_32 3
		.amdhsa_float_denorm_mode_16_64 3
		.amdhsa_dx10_clamp 1
		.amdhsa_ieee_mode 1
		.amdhsa_fp16_overflow 0
		.amdhsa_tg_split 0
		.amdhsa_exception_fp_ieee_invalid_op 0
		.amdhsa_exception_fp_denorm_src 0
		.amdhsa_exception_fp_ieee_div_zero 0
		.amdhsa_exception_fp_ieee_overflow 0
		.amdhsa_exception_fp_ieee_underflow 0
		.amdhsa_exception_fp_ieee_inexact 0
		.amdhsa_exception_int_div_zero 0
	.end_amdhsa_kernel
	.section	.text._ZL13mul_mat_f_idsI15__hip_bfloat162Li64ELi3ELi5EEvPKT_PKfPKiS7_S7_Pfiiiiiiiiiiiiii15HIP_vector_typeIjLj3EESA_,"axG",@progbits,_ZL13mul_mat_f_idsI15__hip_bfloat162Li64ELi3ELi5EEvPKT_PKfPKiS7_S7_Pfiiiiiiiiiiiiii15HIP_vector_typeIjLj3EESA_,comdat
.Lfunc_end135:
	.size	_ZL13mul_mat_f_idsI15__hip_bfloat162Li64ELi3ELi5EEvPKT_PKfPKiS7_S7_Pfiiiiiiiiiiiiii15HIP_vector_typeIjLj3EESA_, .Lfunc_end135-_ZL13mul_mat_f_idsI15__hip_bfloat162Li64ELi3ELi5EEvPKT_PKfPKiS7_S7_Pfiiiiiiiiiiiiii15HIP_vector_typeIjLj3EESA_
                                        ; -- End function
	.set _ZL13mul_mat_f_idsI15__hip_bfloat162Li64ELi3ELi5EEvPKT_PKfPKiS7_S7_Pfiiiiiiiiiiiiii15HIP_vector_typeIjLj3EESA_.num_vgpr, 102
	.set _ZL13mul_mat_f_idsI15__hip_bfloat162Li64ELi3ELi5EEvPKT_PKfPKiS7_S7_Pfiiiiiiiiiiiiii15HIP_vector_typeIjLj3EESA_.num_agpr, 0
	.set _ZL13mul_mat_f_idsI15__hip_bfloat162Li64ELi3ELi5EEvPKT_PKfPKiS7_S7_Pfiiiiiiiiiiiiii15HIP_vector_typeIjLj3EESA_.numbered_sgpr, 100
	.set _ZL13mul_mat_f_idsI15__hip_bfloat162Li64ELi3ELi5EEvPKT_PKfPKiS7_S7_Pfiiiiiiiiiiiiii15HIP_vector_typeIjLj3EESA_.num_named_barrier, 0
	.set _ZL13mul_mat_f_idsI15__hip_bfloat162Li64ELi3ELi5EEvPKT_PKfPKiS7_S7_Pfiiiiiiiiiiiiii15HIP_vector_typeIjLj3EESA_.private_seg_size, 0
	.set _ZL13mul_mat_f_idsI15__hip_bfloat162Li64ELi3ELi5EEvPKT_PKfPKiS7_S7_Pfiiiiiiiiiiiiii15HIP_vector_typeIjLj3EESA_.uses_vcc, 1
	.set _ZL13mul_mat_f_idsI15__hip_bfloat162Li64ELi3ELi5EEvPKT_PKfPKiS7_S7_Pfiiiiiiiiiiiiii15HIP_vector_typeIjLj3EESA_.uses_flat_scratch, 0
	.set _ZL13mul_mat_f_idsI15__hip_bfloat162Li64ELi3ELi5EEvPKT_PKfPKiS7_S7_Pfiiiiiiiiiiiiii15HIP_vector_typeIjLj3EESA_.has_dyn_sized_stack, 0
	.set _ZL13mul_mat_f_idsI15__hip_bfloat162Li64ELi3ELi5EEvPKT_PKfPKiS7_S7_Pfiiiiiiiiiiiiii15HIP_vector_typeIjLj3EESA_.has_recursion, 0
	.set _ZL13mul_mat_f_idsI15__hip_bfloat162Li64ELi3ELi5EEvPKT_PKfPKiS7_S7_Pfiiiiiiiiiiiiii15HIP_vector_typeIjLj3EESA_.has_indirect_call, 0
	.section	.AMDGPU.csdata,"",@progbits
; Kernel info:
; codeLenInByte = 4664
; TotalNumSgprs: 106
; NumVgprs: 102
; NumAgprs: 0
; TotalNumVgprs: 102
; ScratchSize: 0
; MemoryBound: 0
; FloatMode: 240
; IeeeMode: 1
; LDSByteSize: 0 bytes/workgroup (compile time only)
; SGPRBlocks: 13
; VGPRBlocks: 12
; NumSGPRsForWavesPerEU: 106
; NumVGPRsForWavesPerEU: 102
; AccumOffset: 104
; Occupancy: 4
; WaveLimiterHint : 1
; COMPUTE_PGM_RSRC2:SCRATCH_EN: 0
; COMPUTE_PGM_RSRC2:USER_SGPR: 2
; COMPUTE_PGM_RSRC2:TRAP_HANDLER: 0
; COMPUTE_PGM_RSRC2:TGID_X_EN: 1
; COMPUTE_PGM_RSRC2:TGID_Y_EN: 1
; COMPUTE_PGM_RSRC2:TGID_Z_EN: 1
; COMPUTE_PGM_RSRC2:TIDIG_COMP_CNT: 1
; COMPUTE_PGM_RSRC3_GFX90A:ACCUM_OFFSET: 25
; COMPUTE_PGM_RSRC3_GFX90A:TG_SPLIT: 0
	.section	.text._ZL9mul_mat_fI15__hip_bfloat162Li64ELi3ELi5ELb1EEvPKT_PKfPKiPfiiiiiiiiiiiiiiii,"axG",@progbits,_ZL9mul_mat_fI15__hip_bfloat162Li64ELi3ELi5ELb1EEvPKT_PKfPKiPfiiiiiiiiiiiiiiii,comdat
	.globl	_ZL9mul_mat_fI15__hip_bfloat162Li64ELi3ELi5ELb1EEvPKT_PKfPKiPfiiiiiiiiiiiiiiii ; -- Begin function _ZL9mul_mat_fI15__hip_bfloat162Li64ELi3ELi5ELb1EEvPKT_PKfPKiPfiiiiiiiiiiiiiiii
	.p2align	8
	.type	_ZL9mul_mat_fI15__hip_bfloat162Li64ELi3ELi5ELb1EEvPKT_PKfPKiPfiiiiiiiiiiiiiiii,@function
_ZL9mul_mat_fI15__hip_bfloat162Li64ELi3ELi5ELb1EEvPKT_PKfPKiPfiiiiiiiiiiiiiiii: ; @_ZL9mul_mat_fI15__hip_bfloat162Li64ELi3ELi5ELb1EEvPKT_PKfPKiPfiiiiiiiiiiiiiiii
; %bb.0:
	s_load_dwordx8 s[12:19], s[0:1], 0x20
	v_and_b32_e32 v16, 0x3ff, v0
	v_bfe_u32 v17, v0, 10, 10
	s_waitcnt lgkmcnt(0)
	s_add_i32 s5, s13, 2
	s_mul_hi_i32 s5, s5, 0x55555556
	s_lshr_b32 s6, s5, 31
	s_add_i32 s5, s5, s6
	v_cvt_f32_u32_e32 v1, s5
	s_load_dwordx4 s[20:23], s[0:1], 0x44
	s_load_dword s6, s[0:1], 0x64
	s_add_u32 s30, s0, 0x60
	s_addc_u32 s31, s1, 0
	v_rcp_iflag_f32_e32 v1, v1
	s_sub_i32 s7, 0, s5
	s_waitcnt lgkmcnt(0)
	s_abs_i32 s33, s23
	v_mul_f32_e32 v1, 0x4f7ffffe, v1
	v_cvt_u32_f32_e32 v1, v1
	v_mul_lo_u32 v2, s7, v1
	v_mul_hi_u32 v2, v1, v2
	v_add_u32_e32 v1, v1, v2
	v_mul_hi_u32 v1, s6, v1
	v_mul_lo_u32 v2, v1, s5
	v_sub_u32_e32 v2, s6, v2
	v_add_u32_e32 v3, 1, v1
	v_subrev_u32_e32 v4, s5, v2
	v_cmp_le_u32_e32 vcc, s5, v2
	s_nop 1
	v_cndmask_b32_e32 v1, v1, v3, vcc
	v_cndmask_b32_e32 v2, v2, v4, vcc
	v_add_u32_e32 v3, 1, v1
	v_cmp_le_u32_e32 vcc, s5, v2
	v_cvt_f32_u32_e32 v4, s33
	s_sub_i32 s5, 0, s33
	v_cndmask_b32_e32 v2, v1, v3, vcc
	v_cvt_f32_u32_e32 v1, v2
	v_rcp_iflag_f32_e32 v3, v4
	v_sub_u32_e32 v5, 0, v2
	v_cmp_eq_u32_e32 vcc, 0, v16
	v_rcp_iflag_f32_e32 v4, v1
	v_mul_f32_e32 v1, 0x4f7ffffe, v3
	v_cvt_u32_f32_e32 v1, v1
	v_mul_f32_e32 v3, 0x4f7ffffe, v4
	v_cvt_u32_f32_e32 v3, v3
	v_mul_lo_u32 v4, s5, v1
	v_mul_hi_u32 v4, v1, v4
	v_mul_lo_u32 v5, v5, v3
	v_mul_hi_u32 v5, v3, v5
	v_add_u32_e32 v3, v3, v5
	v_mul_hi_u32 v3, s3, v3
	s_and_saveexec_b64 s[6:7], vcc
; %bb.1:
	v_mov_b32_e32 v5, 0x100
	v_lshl_add_u32 v5, v17, 2, v5
	v_mov_b32_e32 v6, -1
	ds_write_b32 v5, v6
; %bb.2:
	s_or_b64 exec, exec, s[6:7]
	v_add_u32_e32 v1, v1, v4
	v_mul_lo_u32 v4, v3, v2
	v_sub_u32_e32 v4, s3, v4
	v_add_u32_e32 v5, 1, v3
	v_sub_u32_e32 v6, v4, v2
	v_cmp_ge_u32_e32 vcc, v4, v2
	s_load_dwordx4 s[24:27], s[0:1], 0x54
	s_waitcnt lgkmcnt(0)
	s_abs_i32 s27, s4
	v_cndmask_b32_e32 v3, v3, v5, vcc
	v_cndmask_b32_e32 v4, v4, v6, vcc
	v_add_u32_e32 v5, 1, v3
	v_cmp_ge_u32_e32 vcc, v4, v2
	v_mov_b32_e32 v6, 0
	s_nop 0
	v_cndmask_b32_e32 v3, v3, v5, vcc
	v_mul_lo_u32 v2, v3, v2
	v_mul_lo_u32 v94, v3, 3
	v_sub_u32_e32 v18, s3, v2
	v_add_u32_e32 v2, v17, v94
	v_cmp_gt_i32_e64 s[8:9], s13, v2
	s_and_saveexec_b64 s[10:11], s[8:9]
	s_cbranch_execz .LBB136_10
; %bb.3:
	v_cmp_gt_i32_e32 vcc, s14, v16
	v_mov_b32_e32 v6, 0
	s_and_saveexec_b64 s[28:29], vcc
	s_cbranch_execz .LBB136_9
; %bb.4:
	s_load_dwordx2 s[6:7], s[0:1], 0x10
	v_mul_hi_i32 v3, v94, s19
	v_mul_lo_u32 v2, v94, s19
	v_mul_lo_u32 v4, v17, s19
	v_lshlrev_b64 v[2:3], 2, v[2:3]
	s_waitcnt lgkmcnt(0)
	v_lshl_add_u64 v[2:3], s[6:7], 0, v[2:3]
	v_ashrrev_i32_e32 v5, 31, v4
	v_lshl_add_u64 v[2:3], v[4:5], 2, v[2:3]
	v_mov_b32_e32 v4, 0x100
	v_lshl_add_u32 v7, v17, 2, v4
	v_mul_lo_u32 v4, v16, s18
	s_lshl_b32 s3, s18, 6
	v_mov_b32_e32 v6, 0
	s_mov_b64 s[18:19], 0
	v_mov_b32_e32 v8, v16
	s_branch .LBB136_6
.LBB136_5:                              ;   in Loop: Header=BB136_6 Depth=1
	s_or_b64 exec, exec, s[34:35]
	v_add_u32_e32 v8, 64, v8
	v_cmp_le_i32_e64 s[6:7], s14, v8
	s_xor_b64 s[34:35], vcc, -1
	s_or_b64 s[6:7], s[34:35], s[6:7]
	s_and_b64 s[6:7], exec, s[6:7]
	s_or_b64 s[18:19], s[6:7], s[18:19]
	v_add_u32_e32 v4, s3, v4
	s_andn2_b64 exec, exec, s[18:19]
	s_cbranch_execz .LBB136_8
.LBB136_6:                              ; =>This Inner Loop Header: Depth=1
	v_ashrrev_i32_e32 v5, 31, v4
	v_lshl_add_u64 v[10:11], v[4:5], 2, v[2:3]
	global_load_dword v5, v[10:11], off
	s_waitcnt vmcnt(0)
	v_cmp_ne_u32_e32 vcc, v5, v18
	v_cmp_eq_u32_e64 s[6:7], v5, v18
	s_and_saveexec_b64 s[34:35], s[6:7]
	s_cbranch_execz .LBB136_5
; %bb.7:                                ;   in Loop: Header=BB136_6 Depth=1
	v_mov_b32_e32 v6, 1
	ds_write_b32 v7, v8
	s_branch .LBB136_5
.LBB136_8:
	s_or_b64 exec, exec, s[18:19]
.LBB136_9:
	s_or_b64 exec, exec, s[28:29]
.LBB136_10:
	s_or_b64 exec, exec, s[10:11]
	s_load_dwordx2 s[18:19], s[30:31], 0xc
	s_load_dwordx2 s[28:29], s[0:1], 0x8
	;; [unrolled: 1-line block ×3, first 2 shown]
	v_mul_hi_u32 v19, s27, v1
	v_or_b32_dpp v1, v6, v6 row_shl:1 row_mask:0xf bank_mask:0xf bound_ctrl:1
	s_waitcnt lgkmcnt(0)
	s_lshr_b32 s6, s18, 16
	s_and_b32 s5, s18, 0xffff
	v_or_b32_dpp v1, v1, v1 row_shl:2 row_mask:0xf bank_mask:0xf bound_ctrl:1
	s_mul_i32 s7, s6, s5
	s_and_b32 s3, s19, 0xffff
	v_or_b32_dpp v1, v1, v1 row_shl:4 row_mask:0xf bank_mask:0xf bound_ctrl:1
	s_bfe_i32 s7, s7, 0x180000
	s_mul_i32 s3, s7, s3
	v_or_b32_dpp v1, v1, v1 row_shl:8 row_mask:0xf bank_mask:0xf bound_ctrl:1
	s_add_i32 s7, s3, 63
	s_bitcmp1_b32 exec_hi, 0
	v_mov_b32_dpp v2, v1 wave_shl:1 row_mask:0xf bank_mask:0xf bound_ctrl:1
	s_nop 1
	v_or_b32_dpp v1, v2, v1 row_mirror row_mask:0xf bank_mask:0xf bound_ctrl:1
	s_nop 0
	v_readlane_b32 s3, v1, 32
	s_cselect_b32 s3, s3, 0
	v_readlane_b32 s14, v1, 0
	s_or_b32 s3, s3, s14
	s_andn2_b32 s7, s7, 63
	s_cmp_lg_u32 s7, 64
	v_mov_b32_e32 v1, s3
	s_cbranch_scc0 .LBB136_17
; %bb.11:
	v_bfe_u32 v0, v0, 20, 10
	v_mbcnt_lo_u32_b32 v1, -1, 0
	v_mad_u32_u24 v0, v0, s6, v17
	v_mbcnt_hi_u32_b32 v2, -1, v1
	v_mad_u64_u32 v[0:1], s[6:7], v0, s5, v[16:17]
	v_lshrrev_b32_e32 v1, 6, v0
	v_or_b32_e32 v1, v2, v1
	v_cmp_eq_u32_e32 vcc, 0, v1
	s_and_saveexec_b64 s[6:7], vcc
; %bb.12:
	v_mov_b32_e32 v1, 0
	v_mov_b32_e32 v3, s3
	ds_write_b32 v1, v3
; %bb.13:
	s_or_b64 exec, exec, s[6:7]
	v_cmp_eq_u32_e32 vcc, 0, v2
	v_cmp_lt_u32_e64 s[6:7], 63, v0
	s_and_b64 s[18:19], s[6:7], vcc
	s_waitcnt lgkmcnt(0)
	s_barrier
	s_and_saveexec_b64 s[6:7], s[18:19]
	s_cbranch_execz .LBB136_16
; %bb.14:
	v_mbcnt_lo_u32_b32 v0, exec_lo, 0
	v_mbcnt_hi_u32_b32 v0, exec_hi, v0
	v_cmp_eq_u32_e32 vcc, 0, v0
	s_and_b64 exec, exec, vcc
; %bb.15:
	v_mov_b32_e32 v0, 0
	v_mov_b32_e32 v1, s3
	ds_or_b32 v0, v1
.LBB136_16:
	s_or_b64 exec, exec, s[6:7]
	v_mov_b32_e32 v0, 0
	s_waitcnt lgkmcnt(0)
	s_barrier
	ds_read_b32 v1, v0
	s_waitcnt lgkmcnt(0)
	s_barrier
.LBB136_17:
	s_load_dwordx2 s[0:1], s[0:1], 0x0
	v_cmp_ne_u32_e32 vcc, 0, v1
	s_ashr_i32 s3, s4, 31
	s_ashr_i32 s14, s23, 31
	s_cbranch_vccz .LBB136_39
; %bb.18:
	v_lshlrev_b32_e32 v95, 6, v17
	v_add_u32_e32 v97, v95, v16
	v_cmp_le_i32_e32 vcc, s12, v97
	v_and_b32_e32 v96, 15, v16
	s_and_saveexec_b64 s[6:7], vcc
	s_xor_b64 s[6:7], exec, s[6:7]
; %bb.19:
	v_and_b32_e32 v96, 15, v16
                                        ; implicit-def: $vgpr97
                                        ; implicit-def: $vgpr19
                                        ; implicit-def: $vgpr18
; %bb.20:
	s_or_saveexec_b64 s[18:19], s[6:7]
	v_mov_b32_e32 v11, 0
	s_lshl_b32 s5, s2, 6
	v_mov_b32_e32 v10, v11
	v_mov_b32_e32 v9, v11
	;; [unrolled: 1-line block ×15, first 2 shown]
	s_xor_b64 exec, exec, s[18:19]
	s_cbranch_execz .LBB136_36
; %bb.21:
	v_mul_lo_u32 v0, v19, s33
	v_sub_u32_e32 v0, s27, v0
	v_add_u32_e32 v1, 1, v19
	v_subrev_u32_e32 v2, s33, v0
	v_cmp_le_u32_e32 vcc, s33, v0
	s_xor_b32 s2, s3, s14
	s_movk_i32 s6, 0x1080
	v_cndmask_b32_e32 v1, v19, v1, vcc
	v_cndmask_b32_e32 v0, v0, v2, vcc
	v_add_u32_e32 v2, 1, v1
	v_cmp_le_u32_e32 vcc, s33, v0
	v_mov_b32_e32 v98, 0x100
	v_mad_u32_u24 v6, v17, s6, v98
	v_cndmask_b32_e32 v0, v1, v2, vcc
	v_xor_b32_e32 v0, s2, v0
	v_subrev_u32_e32 v0, s2, v0
	v_mul_hi_i32 v1, v0, s24
	v_mul_lo_u32 v0, v0, s24
	v_mul_lo_u32 v2, v18, s20
	v_ashrrev_i32_e32 v3, 31, v2
	s_mul_i32 s2, s15, s5
	v_lshlrev_b64 v[0:1], 2, v[0:1]
	s_waitcnt lgkmcnt(0)
	v_lshl_add_u64 v[4:5], s[0:1], 0, v[0:1]
	v_lshlrev_b64 v[2:3], 2, v[2:3]
	s_ashr_i32 s3, s2, 31
	s_mul_hi_i32 s7, s25, s4
	s_mul_i32 s6, s25, s4
	v_lshl_add_u64 v[4:5], v[4:5], 0, v[2:3]
	s_lshl_b64 s[2:3], s[2:3], 2
	s_lshl_b64 s[6:7], s[6:7], 2
	v_lshl_add_u64 v[18:19], v[4:5], 0, s[2:3]
	v_mul_hi_i32 v5, s16, v94
	v_mul_lo_u32 v4, s16, v94
	s_add_u32 s6, s28, s6
	v_lshlrev_b64 v[4:5], 3, v[4:5]
	s_addc_u32 s7, s29, s7
	v_lshl_add_u64 v[0:1], v[0:1], 0, s[2:3]
	v_lshl_add_u64 v[20:21], s[6:7], 0, v[4:5]
	v_lshrrev_b32_e32 v5, 1, v16
	v_lshl_add_u64 v[0:1], v[0:1], 0, v[2:3]
	v_mul_u32_u24_e32 v4, 0x108, v96
	v_and_b32_e32 v5, 0x1f8, v5
	v_add_u32_e32 v26, 1, v94
	v_add_u32_e32 v27, 2, v94
	s_ashr_i32 s7, s15, 31
	s_mov_b32 s6, s15
	v_lshl_add_u64 v[0:1], s[0:1], 0, v[0:1]
	v_lshlrev_b32_e32 v2, 1, v16
	v_lshlrev_b32_e32 v22, 2, v97
	v_mov_b32_e32 v23, 0
	v_lshl_add_u32 v99, v16, 2, v6
	v_add3_u32 v100, v6, v4, v5
	s_lshl_b32 s20, s16, 2
	s_add_i32 s23, s15, s15
	s_mul_i32 s27, s15, 3
	s_lshl_b32 s30, s15, 2
	s_mul_i32 s31, s15, 5
	s_mul_i32 s33, s15, 6
	s_mul_i32 s34, s15, 7
	s_lshl_b32 s35, s15, 3
	s_mul_i32 s36, s15, 9
	s_mul_i32 s37, s15, 10
	;; [unrolled: 1-line block ×7, first 2 shown]
	s_lshl_b32 s43, s15, 4
	s_mul_i32 s44, s15, 17
	s_mul_i32 s45, s15, 18
	;; [unrolled: 1-line block ×15, first 2 shown]
	s_lshl_b32 s59, s15, 5
	s_mul_i32 s60, s15, 33
	s_mul_i32 s61, s15, 34
	;; [unrolled: 1-line block ×22, first 2 shown]
	v_cmp_gt_i32_e64 s[2:3], s13, v94
	s_mul_i32 s82, s15, 55
	s_mul_i32 s83, s15, 56
	v_lshl_add_u32 v101, v17, 7, v2
	s_lshl_b64 s[24:25], s[6:7], 2
	v_lshl_add_u64 v[24:25], v[0:1], 0, v[22:23]
	v_mov_b32_e32 v12, 0
	v_mov_b32_e32 v13, v23
	v_mov_b32_e32 v14, v23
	v_mov_b32_e32 v15, v23
	v_mov_b32_e32 v4, 0
	v_mov_b32_e32 v5, v23
	v_mov_b32_e32 v6, v23
	v_mov_b32_e32 v7, v23
	v_mov_b32_e32 v0, 0
	v_mov_b32_e32 v1, v23
	v_mov_b32_e32 v2, v23
	v_mov_b32_e32 v3, v23
	v_mov_b32_e32 v8, 0
	v_mov_b32_e32 v9, v23
	v_mov_b32_e32 v10, v23
	v_mov_b32_e32 v11, v23
	s_mul_i32 s84, s15, 57
	s_mul_i32 s85, s15, 58
	;; [unrolled: 1-line block ×7, first 2 shown]
	s_lshl_b32 s16, s16, 1
	v_cmp_gt_i32_e64 s[0:1], s13, v26
	v_cmp_gt_i32_e64 s[6:7], s13, v27
	s_mov_b64 s[14:15], 0
	s_mov_b64 s[28:29], 0x500
	s_branch .LBB136_24
.LBB136_22:                             ;   in Loop: Header=BB136_24 Depth=1
	v_mul_lo_u32 v22, v22, s21
	v_add_u32_e32 v22, s20, v22
	v_add_u32_e32 v90, v22, v101
	v_ashrrev_i32_e32 v91, 31, v90
	v_lshl_add_u64 v[90:91], v[90:91], 2, v[20:21]
	global_load_dwordx2 v[90:91], v[90:91], off
.LBB136_23:                             ;   in Loop: Header=BB136_24 Depth=1
	s_waitcnt vmcnt(0)
	v_cvt_pk_bf16_f32 v22, v90, v91
	ds_write2_b32 v99, v22, v23 offset0:148 offset1:214
	v_add_u32_e32 v22, 0x400, v99
	ds_write2_b32 v22, v23, v23 offset0:24 offset1:90
	ds_write2_b32 v22, v23, v23 offset0:156 offset1:222
	v_add_u32_e32 v22, 0x800, v99
	ds_write2_b32 v22, v23, v23 offset0:32 offset1:98
	;; [unrolled: 3-line block ×3, first 2 shown]
	ds_write2_b32 v22, v23, v23 offset0:172 offset1:238
	ds_read2_b64 v[90:93], v100 offset0:8 offset1:12
	v_add_u32_e32 v97, 0x140, v97
	s_waitcnt lgkmcnt(0)
	v_mfma_f32_16x16x16_bf16 v[0:3], v[58:59], v[90:91], v[0:3]
	v_cmp_le_i32_e32 vcc, s12, v97
	v_add_u32_e32 v101, 0x280, v101
	v_lshl_add_u64 v[24:25], v[24:25], 0, s[28:29]
	v_mfma_f32_16x16x16_bf16 v[8:11], v[42:43], v[90:91], v[8:11]
	s_or_b64 s[14:15], vcc, s[14:15]
	v_mfma_f32_16x16x16_bf16 v[4:7], v[74:75], v[90:91], v[4:7]
	v_mfma_f32_16x16x16_bf16 v[12:15], v[88:89], v[90:91], v[12:15]
	v_mfma_f32_16x16x16_bf16 v[0:3], v[56:57], v[92:93], v[0:3]
	ds_read2_b64 v[56:59], v100 offset0:16 offset1:20
	v_mfma_f32_16x16x16_bf16 v[8:11], v[38:39], v[92:93], v[8:11]
	v_mfma_f32_16x16x16_bf16 v[4:7], v[72:73], v[92:93], v[4:7]
	v_mfma_f32_16x16x16_bf16 v[12:15], v[86:87], v[92:93], v[12:15]
	s_waitcnt lgkmcnt(0)
	v_mfma_f32_16x16x16_bf16 v[8:11], v[36:37], v[56:57], v[8:11]
	v_mfma_f32_16x16x16_bf16 v[0:3], v[52:53], v[56:57], v[0:3]
	v_mfma_f32_16x16x16_bf16 v[4:7], v[70:71], v[56:57], v[4:7]
	v_mfma_f32_16x16x16_bf16 v[12:15], v[84:85], v[56:57], v[12:15]
	v_mfma_f32_16x16x16_bf16 v[8:11], v[34:35], v[58:59], v[8:11]
	ds_read2_b64 v[34:37], v100 offset0:24 offset1:28
	v_mfma_f32_16x16x16_bf16 v[0:3], v[50:51], v[58:59], v[0:3]
	v_mfma_f32_16x16x16_bf16 v[4:7], v[68:69], v[58:59], v[4:7]
	v_mfma_f32_16x16x16_bf16 v[12:15], v[82:83], v[58:59], v[12:15]
	s_waitcnt lgkmcnt(0)
	v_mfma_f32_16x16x16_bf16 v[8:11], v[32:33], v[34:35], v[8:11]
	v_mfma_f32_16x16x16_bf16 v[0:3], v[48:49], v[34:35], v[0:3]
	;; [unrolled: 10-line block ×3, first 2 shown]
	v_mfma_f32_16x16x16_bf16 v[4:7], v[60:61], v[30:31], v[4:7]
	v_mfma_f32_16x16x16_bf16 v[12:15], v[76:77], v[30:31], v[12:15]
	;; [unrolled: 1-line block ×6, first 2 shown]
	s_andn2_b64 exec, exec, s[14:15]
	s_cbranch_execz .LBB136_35
.LBB136_24:                             ; =>This Inner Loop Header: Depth=1
	v_lshl_add_u64 v[26:27], v[24:25], 0, s[24:25]
	global_load_dword v22, v[24:25], off
	global_load_dword v52, v[26:27], off
	v_add_u32_e32 v26, s23, v97
	v_ashrrev_i32_e32 v27, 31, v26
	v_add_u32_e32 v28, s27, v97
	v_add_u32_e32 v30, s30, v97
	v_add_u32_e32 v32, s31, v97
	v_add_u32_e32 v34, s33, v97
	v_add_u32_e32 v36, s34, v97
	v_lshl_add_u64 v[26:27], v[26:27], 2, v[18:19]
	v_ashrrev_i32_e32 v29, 31, v28
	v_ashrrev_i32_e32 v31, 31, v30
	;; [unrolled: 1-line block ×5, first 2 shown]
	v_lshl_add_u64 v[28:29], v[28:29], 2, v[18:19]
	v_lshl_add_u64 v[30:31], v[30:31], 2, v[18:19]
	;; [unrolled: 1-line block ×5, first 2 shown]
	global_load_dword v53, v[26:27], off
	global_load_dword v54, v[28:29], off
	;; [unrolled: 1-line block ×6, first 2 shown]
	v_add_u32_e32 v26, s35, v97
	v_add_u32_e32 v44, s44, v97
	;; [unrolled: 1-line block ×10, first 2 shown]
	v_ashrrev_i32_e32 v27, 31, v26
	v_ashrrev_i32_e32 v45, 31, v44
	;; [unrolled: 1-line block ×10, first 2 shown]
	v_lshl_add_u64 v[26:27], v[26:27], 2, v[18:19]
	v_lshl_add_u64 v[44:45], v[44:45], 2, v[18:19]
	v_add_u32_e32 v46, s45, v97
	v_add_u32_e32 v48, s46, v97
	;; [unrolled: 1-line block ×3, first 2 shown]
	v_lshl_add_u64 v[28:29], v[28:29], 2, v[18:19]
	v_lshl_add_u64 v[30:31], v[30:31], 2, v[18:19]
	;; [unrolled: 1-line block ×8, first 2 shown]
	global_load_dword v59, v[26:27], off
	global_load_dword v60, v[28:29], off
	;; [unrolled: 1-line block ×9, first 2 shown]
	s_nop 0
	global_load_dword v44, v[44:45], off
	v_add_u32_e32 v26, s48, v97
	v_ashrrev_i32_e32 v47, 31, v46
	v_ashrrev_i32_e32 v49, 31, v48
	;; [unrolled: 1-line block ×4, first 2 shown]
	v_add_u32_e32 v28, s49, v97
	v_add_u32_e32 v30, s50, v97
	;; [unrolled: 1-line block ×4, first 2 shown]
	v_lshl_add_u64 v[46:47], v[46:47], 2, v[18:19]
	v_lshl_add_u64 v[48:49], v[48:49], 2, v[18:19]
	;; [unrolled: 1-line block ×4, first 2 shown]
	v_ashrrev_i32_e32 v29, 31, v28
	v_ashrrev_i32_e32 v31, 31, v30
	;; [unrolled: 1-line block ×4, first 2 shown]
	v_lshl_add_u64 v[28:29], v[28:29], 2, v[18:19]
	v_lshl_add_u64 v[30:31], v[30:31], 2, v[18:19]
	;; [unrolled: 1-line block ×4, first 2 shown]
	v_add_u32_e32 v36, s58, v97
	v_add_u32_e32 v38, s59, v97
	;; [unrolled: 1-line block ×3, first 2 shown]
	v_ashrrev_i32_e32 v37, 31, v36
	v_ashrrev_i32_e32 v39, 31, v38
	;; [unrolled: 1-line block ×3, first 2 shown]
	v_lshl_add_u64 v[36:37], v[36:37], 2, v[18:19]
	s_waitcnt vmcnt(17)
	ds_write_b32 v99, v22 offset:64
	s_waitcnt vmcnt(16)
	ds_write_b32 v99, v52 offset:328
	;; [unrolled: 2-line block ×8, first 2 shown]
	global_load_dword v22, v[46:47], off
	global_load_dword v45, v[48:49], off
	s_nop 0
	global_load_dword v46, v[50:51], off
	global_load_dword v47, v[26:27], off
	;; [unrolled: 1-line block ×4, first 2 shown]
	s_nop 0
	global_load_dword v50, v[32:33], off
	global_load_dword v51, v[34:35], off
	v_add_u32_e32 v26, s53, v97
	v_ashrrev_i32_e32 v27, 31, v26
	v_add_u32_e32 v28, s54, v97
	v_add_u32_e32 v30, s55, v97
	;; [unrolled: 1-line block ×4, first 2 shown]
	v_lshl_add_u64 v[26:27], v[26:27], 2, v[18:19]
	v_ashrrev_i32_e32 v29, 31, v28
	v_ashrrev_i32_e32 v31, 31, v30
	;; [unrolled: 1-line block ×4, first 2 shown]
	v_lshl_add_u64 v[28:29], v[28:29], 2, v[18:19]
	v_lshl_add_u64 v[30:31], v[30:31], 2, v[18:19]
	v_lshl_add_u64 v[32:33], v[32:33], 2, v[18:19]
	v_lshl_add_u64 v[34:35], v[34:35], 2, v[18:19]
	v_lshl_add_u64 v[38:39], v[38:39], 2, v[18:19]
	v_lshl_add_u64 v[40:41], v[40:41], 2, v[18:19]
	global_load_dword v52, v[26:27], off
	global_load_dword v53, v[28:29], off
	global_load_dword v54, v[30:31], off
	global_load_dword v55, v[32:33], off
	global_load_dword v56, v[34:35], off
	global_load_dword v57, v[36:37], off
	global_load_dword v68, v[38:39], off
	global_load_dword v69, v[40:41], off
	v_add_u32_e32 v26, s61, v97
	v_ashrrev_i32_e32 v27, 31, v26
	v_add_u32_e32 v28, s62, v97
	v_add_u32_e32 v30, s63, v97
	v_add_u32_e32 v32, s64, v97
	v_add_u32_e32 v34, s65, v97
	v_add_u32_e32 v36, s66, v97
	v_add_u32_e32 v38, s67, v97
	v_add_u32_e32 v40, s68, v97
	v_lshl_add_u64 v[26:27], v[26:27], 2, v[18:19]
	v_ashrrev_i32_e32 v29, 31, v28
	v_ashrrev_i32_e32 v31, 31, v30
	v_ashrrev_i32_e32 v33, 31, v32
	v_ashrrev_i32_e32 v35, 31, v34
	v_ashrrev_i32_e32 v37, 31, v36
	v_ashrrev_i32_e32 v39, 31, v38
	v_ashrrev_i32_e32 v41, 31, v40
	v_lshl_add_u64 v[28:29], v[28:29], 2, v[18:19]
	v_lshl_add_u64 v[30:31], v[30:31], 2, v[18:19]
	v_lshl_add_u64 v[32:33], v[32:33], 2, v[18:19]
	v_lshl_add_u64 v[34:35], v[34:35], 2, v[18:19]
	v_lshl_add_u64 v[36:37], v[36:37], 2, v[18:19]
	v_lshl_add_u64 v[38:39], v[38:39], 2, v[18:19]
	v_lshl_add_u64 v[40:41], v[40:41], 2, v[18:19]
	global_load_dword v70, v[26:27], off
	global_load_dword v71, v[28:29], off
	global_load_dword v72, v[30:31], off
	global_load_dword v73, v[32:33], off
	global_load_dword v74, v[34:35], off
	global_load_dword v75, v[36:37], off
	global_load_dword v76, v[38:39], off
	global_load_dword v77, v[40:41], off
	v_add_u32_e32 v26, s69, v97
	v_ashrrev_i32_e32 v27, 31, v26
	v_add_u32_e32 v28, s70, v97
	v_add_u32_e32 v30, s71, v97
	v_add_u32_e32 v32, s72, v97
	v_add_u32_e32 v34, s73, v97
	v_add_u32_e32 v36, s74, v97
	v_add_u32_e32 v38, s75, v97
	v_add_u32_e32 v40, s76, v97
	v_lshl_add_u64 v[26:27], v[26:27], 2, v[18:19]
	v_ashrrev_i32_e32 v29, 31, v28
	v_ashrrev_i32_e32 v31, 31, v30
	v_ashrrev_i32_e32 v33, 31, v32
	v_ashrrev_i32_e32 v35, 31, v34
	v_ashrrev_i32_e32 v37, 31, v36
	v_ashrrev_i32_e32 v39, 31, v38
	v_ashrrev_i32_e32 v41, 31, v40
	v_lshl_add_u64 v[28:29], v[28:29], 2, v[18:19]
	;; [unrolled: 32-line block ×3, first 2 shown]
	v_lshl_add_u64 v[30:31], v[30:31], 2, v[18:19]
	v_lshl_add_u64 v[32:33], v[32:33], 2, v[18:19]
	;; [unrolled: 1-line block ×6, first 2 shown]
	global_load_dword v86, v[26:27], off
	global_load_dword v87, v[28:29], off
	;; [unrolled: 1-line block ×8, first 2 shown]
	v_add_u32_e32 v26, s85, v97
	v_ashrrev_i32_e32 v27, 31, v26
	v_add_u32_e32 v28, s86, v97
	v_add_u32_e32 v30, s87, v97
	;; [unrolled: 1-line block ×5, first 2 shown]
	v_lshl_add_u64 v[26:27], v[26:27], 2, v[18:19]
	v_ashrrev_i32_e32 v29, 31, v28
	v_ashrrev_i32_e32 v31, 31, v30
	;; [unrolled: 1-line block ×5, first 2 shown]
	v_lshl_add_u64 v[28:29], v[28:29], 2, v[18:19]
	v_lshl_add_u64 v[30:31], v[30:31], 2, v[18:19]
	;; [unrolled: 1-line block ×5, first 2 shown]
	global_load_dword v102, v[26:27], off
	global_load_dword v103, v[28:29], off
	;; [unrolled: 1-line block ×6, first 2 shown]
	s_waitcnt vmcnt(55)
	ds_write_b32 v99, v59 offset:2176
	s_waitcnt vmcnt(54)
	ds_write_b32 v99, v60 offset:2440
	s_waitcnt vmcnt(53)
	ds_write_b32 v99, v61 offset:2704
	s_waitcnt vmcnt(52)
	ds_write_b32 v99, v62 offset:2968
	s_waitcnt vmcnt(51)
	ds_write_b32 v99, v63 offset:3232
	s_waitcnt vmcnt(50)
	ds_write_b32 v99, v64 offset:3496
	s_waitcnt vmcnt(49)
	ds_write_b32 v99, v65 offset:3760
	s_waitcnt vmcnt(48)
	ds_write_b32 v99, v66 offset:4024
	ds_read_b64 v[42:43], v100 offset:64
	ds_read_b64 v[38:39], v100 offset:96
	ds_read_b64 v[36:37], v100 offset:128
	ds_read_b64 v[34:35], v100 offset:160
	ds_read_b64 v[32:33], v100 offset:192
	ds_read_b64 v[30:31], v100 offset:224
	ds_read_b64 v[28:29], v100 offset:256
	ds_read_b64 v[26:27], v100 offset:288
	s_waitcnt vmcnt(47)
	ds_write_b32 v99, v67 offset:64
	s_waitcnt vmcnt(46)
	ds_write_b32 v99, v44 offset:328
	s_waitcnt vmcnt(45)
	ds_write_b32 v99, v22 offset:592
	s_waitcnt vmcnt(44)
	ds_write_b32 v99, v45 offset:856
	s_waitcnt vmcnt(43)
	ds_write_b32 v99, v46 offset:1120
	s_waitcnt vmcnt(42)
	ds_write_b32 v99, v47 offset:1384
	s_waitcnt vmcnt(41)
	ds_write_b32 v99, v48 offset:1648
	s_waitcnt vmcnt(40)
	ds_write_b32 v99, v49 offset:1912
	s_waitcnt vmcnt(39)
	ds_write_b32 v99, v50 offset:2176
	s_waitcnt vmcnt(38)
	ds_write_b32 v99, v51 offset:2440
	s_waitcnt vmcnt(37)
	ds_write_b32 v99, v52 offset:2704
	s_waitcnt vmcnt(36)
	ds_write_b32 v99, v53 offset:2968
	s_waitcnt vmcnt(35)
	ds_write_b32 v99, v54 offset:3232
	s_waitcnt vmcnt(34)
	ds_write_b32 v99, v55 offset:3496
	s_waitcnt vmcnt(33)
	ds_write_b32 v99, v56 offset:3760
	s_waitcnt vmcnt(32)
	ds_write_b32 v99, v57 offset:4024
	ds_read_b64 v[58:59], v100 offset:64
	ds_read_b64 v[56:57], v100 offset:96
	ds_read_b64 v[52:53], v100 offset:128
	ds_read_b64 v[50:51], v100 offset:160
	ds_read_b64 v[48:49], v100 offset:192
	ds_read_b64 v[46:47], v100 offset:224
	ds_read_b64 v[44:45], v100 offset:256
	ds_read_b64 v[40:41], v100 offset:288
	s_waitcnt vmcnt(31)
	ds_write_b32 v99, v68 offset:64
	s_waitcnt vmcnt(30)
	ds_write_b32 v99, v69 offset:328
	s_waitcnt vmcnt(29)
	ds_write_b32 v99, v70 offset:592
	s_waitcnt vmcnt(28)
	ds_write_b32 v99, v71 offset:856
	s_waitcnt vmcnt(27)
	ds_write_b32 v99, v72 offset:1120
	s_waitcnt vmcnt(26)
	ds_write_b32 v99, v73 offset:1384
	s_waitcnt vmcnt(25)
	ds_write_b32 v99, v74 offset:1648
	s_waitcnt vmcnt(24)
	ds_write_b32 v99, v75 offset:1912
	;; [unrolled: 40-line block ×3, first 2 shown]
	s_waitcnt vmcnt(7)
	ds_write_b32 v99, v92 offset:2176
	s_waitcnt vmcnt(6)
	ds_write_b32 v99, v93 offset:2440
	s_waitcnt vmcnt(5)
	ds_write_b32 v99, v102 offset:2704
	s_waitcnt vmcnt(4)
	ds_write_b32 v99, v103 offset:2968
	s_waitcnt vmcnt(3)
	ds_write_b32 v99, v104 offset:3232
	s_waitcnt vmcnt(2)
	ds_write_b32 v99, v105 offset:3496
	s_waitcnt vmcnt(1)
	ds_write_b32 v99, v106 offset:3760
	s_waitcnt vmcnt(0)
	ds_write_b32 v99, v107 offset:4024
	ds_read_b64 v[88:89], v100 offset:64
	ds_read_b64 v[86:87], v100 offset:96
	;; [unrolled: 1-line block ×8, first 2 shown]
	s_andn2_b64 vcc, exec, s[2:3]
	v_mov_b32_e32 v90, 0
	v_mov_b32_e32 v91, 0
	s_cbranch_vccnz .LBB136_28
; %bb.25:                               ;   in Loop: Header=BB136_24 Depth=1
	ds_read_b32 v22, v98
	s_waitcnt lgkmcnt(0)
	v_cmp_gt_i32_e32 vcc, 0, v22
	s_cbranch_vccnz .LBB136_27
; %bb.26:                               ;   in Loop: Header=BB136_24 Depth=1
	v_mul_lo_u32 v22, v22, s21
	v_add_u32_e32 v90, v101, v22
	v_ashrrev_i32_e32 v91, 31, v90
	v_lshl_add_u64 v[90:91], v[90:91], 2, v[20:21]
	global_load_dwordx2 v[90:91], v[90:91], off
	s_branch .LBB136_28
.LBB136_27:                             ;   in Loop: Header=BB136_24 Depth=1
	v_mov_b32_e32 v90, 0
	v_mov_b32_e32 v91, 0
.LBB136_28:                             ;   in Loop: Header=BB136_24 Depth=1
	s_waitcnt vmcnt(0)
	v_cvt_pk_bf16_f32 v22, v90, v91
	v_mov_b32_e32 v90, 0
	s_andn2_b64 vcc, exec, s[0:1]
	v_mov_b32_e32 v92, 0
	v_mov_b32_e32 v93, 0
	ds_write_b32 v99, v22 offset:64
	s_cbranch_vccnz .LBB136_32
; %bb.29:                               ;   in Loop: Header=BB136_24 Depth=1
	ds_read_b32 v22, v98 offset:4
	s_waitcnt lgkmcnt(0)
	v_cmp_gt_i32_e32 vcc, 0, v22
	s_cbranch_vccnz .LBB136_31
; %bb.30:                               ;   in Loop: Header=BB136_24 Depth=1
	v_mul_lo_u32 v22, v22, s21
	v_add_u32_e32 v22, s16, v22
	v_add_u32_e32 v92, v22, v101
	v_ashrrev_i32_e32 v93, 31, v92
	v_lshl_add_u64 v[92:93], v[92:93], 2, v[20:21]
	global_load_dwordx2 v[92:93], v[92:93], off
	s_branch .LBB136_32
.LBB136_31:                             ;   in Loop: Header=BB136_24 Depth=1
	v_mov_b32_e32 v92, 0
	v_mov_b32_e32 v93, 0
.LBB136_32:                             ;   in Loop: Header=BB136_24 Depth=1
	s_waitcnt vmcnt(0)
	v_cvt_pk_bf16_f32 v22, v92, v93
	s_andn2_b64 vcc, exec, s[6:7]
	v_mov_b32_e32 v91, 0
	ds_write_b32 v99, v22 offset:328
	s_cbranch_vccnz .LBB136_23
; %bb.33:                               ;   in Loop: Header=BB136_24 Depth=1
	ds_read_b32 v22, v98 offset:8
	s_waitcnt lgkmcnt(0)
	v_cmp_gt_i32_e32 vcc, 0, v22
	s_cbranch_vccz .LBB136_22
; %bb.34:                               ;   in Loop: Header=BB136_24 Depth=1
	v_mov_b32_e32 v90, 0
	v_mov_b32_e32 v91, 0
	s_branch .LBB136_23
.LBB136_35:
	s_or_b64 exec, exec, s[14:15]
.LBB136_36:
	s_or_b64 exec, exec, s[18:19]
	v_mov_b32_e32 v18, 0x100
	v_lshl_add_u32 v18, v95, 2, v18
	v_mul_u32_u24_e32 v19, 0x508, v96
	v_and_b32_e32 v20, 0x3f0, v16
	v_add3_u32 v19, v18, v19, v20
	v_cmp_gt_u32_e32 vcc, 3, v17
	s_waitcnt lgkmcnt(0)
	s_barrier
	ds_write2_b32 v19, v8, v9 offset0:16 offset1:17
	ds_write2_b32 v19, v10, v11 offset0:18 offset1:19
	;; [unrolled: 1-line block ×8, first 2 shown]
	s_waitcnt lgkmcnt(0)
	s_barrier
	s_and_saveexec_b64 s[0:1], vcc
	s_cbranch_execz .LBB136_39
; %bb.37:
	s_movk_i32 s0, 0xff04
	v_mad_i32_i24 v0, v17, s0, v18
	ds_read_b32 v0, v0
	s_waitcnt lgkmcnt(0)
	v_cmp_lt_i32_e32 vcc, -1, v0
	s_and_b64 s[0:1], vcc, s[8:9]
	s_and_b64 exec, exec, s[0:1]
	s_cbranch_execz .LBB136_39
; %bb.38:
	v_lshlrev_b32_e32 v4, 2, v16
	s_movk_i32 s2, 0x100
	v_mul_u32_u24_e32 v5, 0x508, v17
	v_add3_u32 v8, s2, v4, v5
	ds_read2_b32 v[4:5], v8 offset0:16 offset1:80
	ds_read2_b32 v[6:7], v8 offset0:144 offset1:208
	s_mul_hi_i32 s1, s26, s4
	s_mul_i32 s0, s26, s4
	ds_read_b32 v8, v8 offset:1088
	s_lshl_b64 s[0:1], s[0:1], 2
	s_waitcnt lgkmcnt(2)
	v_add_f32_e32 v4, 0, v4
	v_mul_hi_i32 v3, v94, s17
	v_mul_lo_u32 v2, v94, s17
	s_add_u32 s0, s10, s0
	v_add_f32_e32 v4, v4, v5
	v_add_u32_e32 v1, s5, v16
	s_addc_u32 s1, s11, s1
	v_lshlrev_b64 v[2:3], 2, v[2:3]
	s_waitcnt lgkmcnt(1)
	v_add_f32_e32 v4, v4, v6
	v_mul_lo_u32 v0, v0, s22
	v_mul_lo_u32 v5, v17, s17
	v_lshl_add_u64 v[2:3], s[0:1], 0, v[2:3]
	v_add_f32_e32 v4, v4, v7
	v_add3_u32 v0, v1, v5, v0
	v_mov_b32_e32 v1, 0
	s_waitcnt lgkmcnt(0)
	v_add_f32_e32 v4, v4, v8
	v_lshl_add_u64 v[0:1], v[0:1], 2, v[2:3]
	global_store_dword v[0:1], v4, off
.LBB136_39:
	s_endpgm
	.section	.rodata,"a",@progbits
	.p2align	6, 0x0
	.amdhsa_kernel _ZL9mul_mat_fI15__hip_bfloat162Li64ELi3ELi5ELb1EEvPKT_PKfPKiPfiiiiiiiiiiiiiiii
		.amdhsa_group_segment_fixed_size 256
		.amdhsa_private_segment_fixed_size 0
		.amdhsa_kernarg_size 352
		.amdhsa_user_sgpr_count 2
		.amdhsa_user_sgpr_dispatch_ptr 0
		.amdhsa_user_sgpr_queue_ptr 0
		.amdhsa_user_sgpr_kernarg_segment_ptr 1
		.amdhsa_user_sgpr_dispatch_id 0
		.amdhsa_user_sgpr_kernarg_preload_length 0
		.amdhsa_user_sgpr_kernarg_preload_offset 0
		.amdhsa_user_sgpr_private_segment_size 0
		.amdhsa_uses_dynamic_stack 0
		.amdhsa_enable_private_segment 0
		.amdhsa_system_sgpr_workgroup_id_x 1
		.amdhsa_system_sgpr_workgroup_id_y 1
		.amdhsa_system_sgpr_workgroup_id_z 1
		.amdhsa_system_sgpr_workgroup_info 0
		.amdhsa_system_vgpr_workitem_id 2
		.amdhsa_next_free_vgpr 108
		.amdhsa_next_free_sgpr 91
		.amdhsa_accum_offset 108
		.amdhsa_reserve_vcc 1
		.amdhsa_float_round_mode_32 0
		.amdhsa_float_round_mode_16_64 0
		.amdhsa_float_denorm_mode_32 3
		.amdhsa_float_denorm_mode_16_64 3
		.amdhsa_dx10_clamp 1
		.amdhsa_ieee_mode 1
		.amdhsa_fp16_overflow 0
		.amdhsa_tg_split 0
		.amdhsa_exception_fp_ieee_invalid_op 0
		.amdhsa_exception_fp_denorm_src 0
		.amdhsa_exception_fp_ieee_div_zero 0
		.amdhsa_exception_fp_ieee_overflow 0
		.amdhsa_exception_fp_ieee_underflow 0
		.amdhsa_exception_fp_ieee_inexact 0
		.amdhsa_exception_int_div_zero 0
	.end_amdhsa_kernel
	.section	.text._ZL9mul_mat_fI15__hip_bfloat162Li64ELi3ELi5ELb1EEvPKT_PKfPKiPfiiiiiiiiiiiiiiii,"axG",@progbits,_ZL9mul_mat_fI15__hip_bfloat162Li64ELi3ELi5ELb1EEvPKT_PKfPKiPfiiiiiiiiiiiiiiii,comdat
.Lfunc_end136:
	.size	_ZL9mul_mat_fI15__hip_bfloat162Li64ELi3ELi5ELb1EEvPKT_PKfPKiPfiiiiiiiiiiiiiiii, .Lfunc_end136-_ZL9mul_mat_fI15__hip_bfloat162Li64ELi3ELi5ELb1EEvPKT_PKfPKiPfiiiiiiiiiiiiiiii
                                        ; -- End function
	.set _ZL9mul_mat_fI15__hip_bfloat162Li64ELi3ELi5ELb1EEvPKT_PKfPKiPfiiiiiiiiiiiiiiii.num_vgpr, 108
	.set _ZL9mul_mat_fI15__hip_bfloat162Li64ELi3ELi5ELb1EEvPKT_PKfPKiPfiiiiiiiiiiiiiiii.num_agpr, 0
	.set _ZL9mul_mat_fI15__hip_bfloat162Li64ELi3ELi5ELb1EEvPKT_PKfPKiPfiiiiiiiiiiiiiiii.numbered_sgpr, 91
	.set _ZL9mul_mat_fI15__hip_bfloat162Li64ELi3ELi5ELb1EEvPKT_PKfPKiPfiiiiiiiiiiiiiiii.num_named_barrier, 0
	.set _ZL9mul_mat_fI15__hip_bfloat162Li64ELi3ELi5ELb1EEvPKT_PKfPKiPfiiiiiiiiiiiiiiii.private_seg_size, 0
	.set _ZL9mul_mat_fI15__hip_bfloat162Li64ELi3ELi5ELb1EEvPKT_PKfPKiPfiiiiiiiiiiiiiiii.uses_vcc, 1
	.set _ZL9mul_mat_fI15__hip_bfloat162Li64ELi3ELi5ELb1EEvPKT_PKfPKiPfiiiiiiiiiiiiiiii.uses_flat_scratch, 0
	.set _ZL9mul_mat_fI15__hip_bfloat162Li64ELi3ELi5ELb1EEvPKT_PKfPKiPfiiiiiiiiiiiiiiii.has_dyn_sized_stack, 0
	.set _ZL9mul_mat_fI15__hip_bfloat162Li64ELi3ELi5ELb1EEvPKT_PKfPKiPfiiiiiiiiiiiiiiii.has_recursion, 0
	.set _ZL9mul_mat_fI15__hip_bfloat162Li64ELi3ELi5ELb1EEvPKT_PKfPKiPfiiiiiiiiiiiiiiii.has_indirect_call, 0
	.section	.AMDGPU.csdata,"",@progbits
; Kernel info:
; codeLenInByte = 5472
; TotalNumSgprs: 97
; NumVgprs: 108
; NumAgprs: 0
; TotalNumVgprs: 108
; ScratchSize: 0
; MemoryBound: 0
; FloatMode: 240
; IeeeMode: 1
; LDSByteSize: 256 bytes/workgroup (compile time only)
; SGPRBlocks: 12
; VGPRBlocks: 13
; NumSGPRsForWavesPerEU: 97
; NumVGPRsForWavesPerEU: 108
; AccumOffset: 108
; Occupancy: 4
; WaveLimiterHint : 0
; COMPUTE_PGM_RSRC2:SCRATCH_EN: 0
; COMPUTE_PGM_RSRC2:USER_SGPR: 2
; COMPUTE_PGM_RSRC2:TRAP_HANDLER: 0
; COMPUTE_PGM_RSRC2:TGID_X_EN: 1
; COMPUTE_PGM_RSRC2:TGID_Y_EN: 1
; COMPUTE_PGM_RSRC2:TGID_Z_EN: 1
; COMPUTE_PGM_RSRC2:TIDIG_COMP_CNT: 2
; COMPUTE_PGM_RSRC3_GFX90A:ACCUM_OFFSET: 26
; COMPUTE_PGM_RSRC3_GFX90A:TG_SPLIT: 0
	.section	.text._ZL9mul_mat_fI15__hip_bfloat162Li64ELi3ELi5ELb0EEvPKT_PKfPKiPfiiiiiiiiiiiiiiii,"axG",@progbits,_ZL9mul_mat_fI15__hip_bfloat162Li64ELi3ELi5ELb0EEvPKT_PKfPKiPfiiiiiiiiiiiiiiii,comdat
	.globl	_ZL9mul_mat_fI15__hip_bfloat162Li64ELi3ELi5ELb0EEvPKT_PKfPKiPfiiiiiiiiiiiiiiii ; -- Begin function _ZL9mul_mat_fI15__hip_bfloat162Li64ELi3ELi5ELb0EEvPKT_PKfPKiPfiiiiiiiiiiiiiiii
	.p2align	8
	.type	_ZL9mul_mat_fI15__hip_bfloat162Li64ELi3ELi5ELb0EEvPKT_PKfPKiPfiiiiiiiiiiiiiiii,@function
_ZL9mul_mat_fI15__hip_bfloat162Li64ELi3ELi5ELb0EEvPKT_PKfPKiPfiiiiiiiiiiiiiiii: ; @_ZL9mul_mat_fI15__hip_bfloat162Li64ELi3ELi5ELb0EEvPKT_PKfPKiPfiiiiiiiiiiiiiiii
; %bb.0:
	s_load_dword s5, s[0:1], 0x20
	s_load_dwordx4 s[16:19], s[0:1], 0x2c
	v_bfe_u32 v84, v0, 10, 10
	v_lshlrev_b32_e32 v86, 6, v84
	v_and_b32_e32 v85, 0x3ff, v0
	v_add_u32_e32 v88, v86, v85
	s_waitcnt lgkmcnt(0)
	s_ashr_i32 s19, s4, 31
	v_cmp_le_i32_e32 vcc, s5, v88
	v_and_b32_e32 v87, 15, v85
	s_and_saveexec_b64 s[6:7], vcc
	s_xor_b64 s[6:7], exec, s[6:7]
; %bb.1:
	v_and_b32_e32 v87, 15, v85
                                        ; implicit-def: $vgpr88
; %bb.2:
	s_or_saveexec_b64 s[24:25], s[6:7]
	s_load_dwordx8 s[8:15], s[0:1], 0x40
	s_load_dwordx2 s[6:7], s[0:1], 0x18
	v_mov_b32_e32 v11, 0
	s_lshl_b32 s2, s2, 6
	v_lshlrev_b32_e32 v16, 2, v85
	v_mov_b32_e32 v10, v11
	v_mov_b32_e32 v9, v11
	;; [unrolled: 1-line block ×15, first 2 shown]
	s_xor_b64 exec, exec, s[24:25]
	s_cbranch_execz .LBB137_6
; %bb.3:
	s_waitcnt lgkmcnt(0)
	s_abs_i32 s26, s8
	v_cvt_f32_u32_e32 v0, s26
	s_abs_i32 s27, s12
	v_cvt_f32_u32_e32 v1, s27
	s_sub_i32 s20, 0, s26
	v_rcp_iflag_f32_e32 v0, v0
	s_abs_i32 s28, s3
	v_rcp_iflag_f32_e32 v1, v1
	s_sub_i32 s21, 0, s27
	v_mul_f32_e32 v0, 0x4f7ffffe, v0
	v_cvt_u32_f32_e32 v0, v0
	v_mul_f32_e32 v1, 0x4f7ffffe, v1
	v_cvt_u32_f32_e32 v1, v1
	s_abs_i32 s29, s4
	v_mul_lo_u32 v2, s20, v0
	v_mul_hi_u32 v2, v0, v2
	v_add_u32_e32 v0, v0, v2
	v_mul_hi_u32 v0, s28, v0
	v_mul_lo_u32 v3, s21, v1
	v_mul_lo_u32 v2, v0, s26
	v_mul_hi_u32 v3, v1, v3
	v_sub_u32_e32 v2, s28, v2
	v_add_u32_e32 v1, v1, v3
	v_add_u32_e32 v3, 1, v0
	v_subrev_u32_e32 v4, s26, v2
	v_cmp_le_u32_e32 vcc, s26, v2
	s_load_dwordx4 s[20:23], s[0:1], 0x0
	s_ashr_i32 s0, s3, 31
	v_cndmask_b32_e32 v0, v0, v3, vcc
	v_cndmask_b32_e32 v2, v2, v4, vcc
	s_ashr_i32 s1, s8, 31
	v_add_u32_e32 v3, 1, v0
	v_cmp_le_u32_e32 vcc, s26, v2
	s_xor_b32 s0, s0, s1
	v_mul_hi_u32 v1, s29, v1
	v_cndmask_b32_e32 v0, v0, v3, vcc
	v_xor_b32_e32 v0, s0, v0
	v_subrev_u32_e32 v2, s0, v0
	v_mul_lo_u32 v0, v1, s27
	v_sub_u32_e32 v0, s29, v0
	v_add_u32_e32 v3, 1, v1
	v_subrev_u32_e32 v4, s27, v0
	v_cmp_le_u32_e32 vcc, s27, v0
	s_ashr_i32 s8, s12, 31
	s_xor_b32 s0, s19, s8
	v_cndmask_b32_e32 v1, v1, v3, vcc
	v_cndmask_b32_e32 v0, v0, v4, vcc
	v_add_u32_e32 v3, 1, v1
	v_cmp_le_u32_e32 vcc, s27, v0
	v_mul_lo_u32 v2, v2, s9
	s_mul_hi_i32 s9, s14, s4
	v_cndmask_b32_e32 v0, v1, v3, vcc
	v_xor_b32_e32 v0, s0, v0
	s_mul_i32 s8, s14, s4
	v_subrev_u32_e32 v0, s0, v0
	s_lshl_b64 s[26:27], s[8:9], 2
	v_mul_hi_i32 v1, v0, s13
	v_mul_lo_u32 v0, v0, s13
	s_mul_i32 s0, s16, s2
	s_waitcnt lgkmcnt(0)
	s_add_u32 s8, s22, s26
	v_ashrrev_i32_e32 v3, 31, v2
	v_lshlrev_b64 v[0:1], 2, v[0:1]
	s_mul_i32 s12, s10, s3
	s_addc_u32 s9, s23, s27
	s_ashr_i32 s1, s0, 31
	v_lshl_add_u64 v[4:5], s[20:21], 0, v[0:1]
	v_lshlrev_b64 v[2:3], 2, v[2:3]
	s_lshl_b64 s[74:75], s[0:1], 2
	s_ashr_i32 s13, s12, 31
	v_lshl_add_u64 v[4:5], v[4:5], 0, v[2:3]
	s_lshl_b64 s[28:29], s[12:13], 2
	v_lshl_add_u64 v[2:3], v[2:3], 0, s[74:75]
	s_add_u32 s0, s8, s28
	s_movk_i32 s8, 0x1080
	v_mov_b32_e32 v21, 0
	v_lshlrev_b32_e32 v20, 8, v84
	v_lshl_add_u64 v[0:1], v[2:3], 0, v[0:1]
	v_lshl_add_u64 v[18:19], v[4:5], 0, s[74:75]
	s_addc_u32 s1, s9, s29
	v_mad_u32_u24 v4, v84, s8, 0
	s_ashr_i32 s9, s16, 31
	s_mov_b32 s8, s16
	s_ashr_i32 s13, s17, 31
	s_mov_b32 s12, s17
	v_lshl_add_u64 v[0:1], v[0:1], 0, v[20:21]
	v_mov_b32_e32 v17, v21
	s_add_i32 s10, s16, s16
	s_add_i32 s14, s17, s17
	s_lshl_b32 s30, s16, 2
	s_lshl_b32 s35, s16, 3
	;; [unrolled: 1-line block ×4, first 2 shown]
	s_lshl_b64 s[8:9], s[8:9], 2
	s_lshl_b64 s[12:13], s[12:13], 3
	v_lshl_add_u64 v[0:1], v[0:1], 0, v[16:17]
	v_lshlrev_b32_e32 v20, 9, v84
	v_lshrrev_b32_e32 v6, 1, v85
	s_add_u32 s22, s22, s28
	v_lshl_add_u64 v[22:23], s[20:21], 0, v[0:1]
	v_lshl_add_u64 v[0:1], s[26:27], 0, v[20:21]
	v_lshlrev_b32_e32 v20, 3, v85
	v_mul_u32_u24_e32 v5, 0x108, v87
	v_and_b32_e32 v6, 0x1f8, v6
	s_addc_u32 s23, s23, s29
	v_lshl_add_u64 v[0:1], v[0:1], 0, v[20:21]
	v_add_u32_e32 v89, v4, v16
	v_add3_u32 v90, v4, v5, v6
	s_mul_i32 s19, s16, 3
	s_mul_i32 s31, s16, 5
	;; [unrolled: 1-line block ×47, first 2 shown]
	v_lshl_add_u64 v[24:25], s[22:23], 0, v[0:1]
	s_mul_i32 s77, s16, 54
	s_mul_i32 s78, s16, 55
	v_mov_b32_e32 v12, 0
	v_mov_b32_e32 v13, v21
	;; [unrolled: 1-line block ×16, first 2 shown]
	s_mul_i32 s79, s16, 56
	s_mul_i32 s80, s16, 57
	;; [unrolled: 1-line block ×8, first 2 shown]
	s_mov_b64 s[16:17], 0
	s_mov_b64 s[20:21], 0x500
	;; [unrolled: 1-line block ×3, first 2 shown]
.LBB137_4:                              ; =>This Inner Loop Header: Depth=1
	v_add_u32_e32 v82, s10, v88
	v_add_u32_e32 v74, s19, v88
	;; [unrolled: 1-line block ×8, first 2 shown]
	v_lshl_add_u64 v[80:81], v[22:23], 0, s[8:9]
	v_add_u32_e32 v78, s30, v88
	v_add_u32_e32 v68, s33, v88
	;; [unrolled: 1-line block ×7, first 2 shown]
	v_ashrrev_i32_e32 v83, 31, v82
	v_ashrrev_i32_e32 v75, 31, v74
	v_ashrrev_i32_e32 v63, 31, v62
	v_ashrrev_i32_e32 v49, 31, v48
	v_ashrrev_i32_e32 v41, 31, v40
	v_ashrrev_i32_e32 v33, 31, v32
	v_ashrrev_i32_e32 v31, 31, v30
	v_ashrrev_i32_e32 v35, 31, v34
	v_add_u32_e32 v28, s44, v88
	v_add_u32_e32 v44, s45, v88
	global_load_dword v91, v[80:81], off
	v_lshl_add_u64 v[80:81], v[82:83], 2, v[18:19]
	v_ashrrev_i32_e32 v79, 31, v78
	v_lshl_add_u64 v[74:75], v[74:75], 2, v[18:19]
	v_ashrrev_i32_e32 v69, 31, v68
	;; [unrolled: 2-line block ×5, first 2 shown]
	v_lshl_add_u64 v[32:33], v[32:33], 2, v[18:19]
	v_lshl_add_u64 v[30:31], v[30:31], 2, v[18:19]
	;; [unrolled: 1-line block ×3, first 2 shown]
	v_ashrrev_i32_e32 v27, 31, v26
	v_ashrrev_i32_e32 v39, 31, v38
	v_add_u32_e32 v36, s46, v88
	v_add_u32_e32 v52, s47, v88
	global_load_dword v82, v[80:81], off
	v_lshl_add_u64 v[92:93], v[78:79], 2, v[18:19]
	global_load_dword v78, v[74:75], off
	global_load_dword v79, v[92:93], off
	v_lshl_add_u64 v[68:69], v[68:69], 2, v[18:19]
	global_load_dword v62, v[62:63], off
	s_nop 0
	global_load_dword v63, v[68:69], off
	v_lshl_add_u64 v[56:57], v[56:57], 2, v[18:19]
	global_load_dword v48, v[48:49], off
	s_nop 0
	;; [unrolled: 4-line block ×4, first 2 shown]
	global_load_dword v32, v[42:43], off
	s_nop 0
	global_load_dword v30, v[30:31], off
	s_nop 0
	global_load_dword v31, v[34:35], off
	v_lshl_add_u64 v[26:27], v[26:27], 2, v[18:19]
	v_lshl_add_u64 v[34:35], v[38:39], 2, v[18:19]
	v_ashrrev_i32_e32 v29, 31, v28
	v_ashrrev_i32_e32 v45, 31, v44
	v_add_u32_e32 v46, s48, v88
	v_add_u32_e32 v58, s49, v88
	global_load_dword v27, v[26:27], off
	s_nop 0
	global_load_dword v26, v[34:35], off
	v_lshl_add_u64 v[28:29], v[28:29], 2, v[18:19]
	v_lshl_add_u64 v[34:35], v[44:45], 2, v[18:19]
	v_ashrrev_i32_e32 v37, 31, v36
	v_ashrrev_i32_e32 v53, 31, v52
	v_add_u32_e32 v54, s50, v88
	v_add_u32_e32 v64, s51, v88
	;; [unrolled: 9-line block ×6, first 2 shown]
	global_load_dword v39, v[42:43], off
	global_load_dword v41, v[44:45], off
	v_lshl_add_u64 v[42:43], v[66:67], 2, v[18:19]
	v_lshl_add_u64 v[44:45], v[76:77], 2, v[18:19]
	v_ashrrev_i32_e32 v73, 31, v72
	v_ashrrev_i32_e32 v81, 31, v80
	v_add_u32_e32 v56, s60, v88
	v_add_u32_e32 v50, s61, v88
	global_load_dword v42, v[42:43], off
	s_nop 0
	global_load_dword v43, v[44:45], off
	v_lshl_add_u64 v[44:45], v[72:73], 2, v[18:19]
	v_lshl_add_u64 v[46:47], v[80:81], 2, v[18:19]
	v_ashrrev_i32_e32 v75, 31, v74
	v_ashrrev_i32_e32 v69, 31, v68
	v_add_u32_e32 v92, s62, v88
	v_add_u32_e32 v94, s63, v88
	global_load_dword v44, v[44:45], off
	s_nop 0
	;; [unrolled: 9-line block ×3, first 2 shown]
	global_load_dword v46, v[52:53], off
	v_lshl_add_u64 v[52:53], v[56:57], 2, v[18:19]
	v_lshl_add_u64 v[54:55], v[50:51], 2, v[18:19]
	v_ashrrev_i32_e32 v93, 31, v92
	v_ashrrev_i32_e32 v95, 31, v94
	v_add_u32_e32 v100, s66, v88
	v_add_u32_e32 v58, s67, v88
	;; [unrolled: 1-line block ×3, first 2 shown]
	global_load_dword v50, v[52:53], off
	global_load_dword v51, v[54:55], off
	v_lshl_add_u64 v[52:53], v[92:93], 2, v[18:19]
	v_lshl_add_u64 v[54:55], v[94:95], 2, v[18:19]
	v_ashrrev_i32_e32 v97, 31, v96
	v_ashrrev_i32_e32 v99, 31, v98
	v_add_u32_e32 v60, s69, v88
	v_add_u32_e32 v66, s70, v88
	;; [unrolled: 1-line block ×3, first 2 shown]
	global_load_dword v52, v[52:53], off
	s_nop 0
	global_load_dword v53, v[54:55], off
	v_lshl_add_u64 v[54:55], v[96:97], 2, v[18:19]
	v_lshl_add_u64 v[56:57], v[98:99], 2, v[18:19]
	v_ashrrev_i32_e32 v101, 31, v100
	v_ashrrev_i32_e32 v59, 31, v58
	;; [unrolled: 1-line block ×3, first 2 shown]
	v_add_u32_e32 v68, s72, v88
	v_add_u32_e32 v72, s28, v88
	global_load_dword v54, v[54:55], off
	s_nop 0
	global_load_dword v55, v[56:57], off
	v_lshl_add_u64 v[56:57], v[100:101], 2, v[18:19]
	v_lshl_add_u64 v[58:59], v[58:59], 2, v[18:19]
	v_ashrrev_i32_e32 v61, 31, v60
	v_lshl_add_u64 v[64:65], v[64:65], 2, v[18:19]
	v_ashrrev_i32_e32 v67, 31, v66
	v_ashrrev_i32_e32 v71, 31, v70
	v_add_u32_e32 v74, s29, v88
	global_load_dword v56, v[56:57], off
	s_nop 0
	global_load_dword v57, v[58:59], off
	v_add_u32_e32 v58, s74, v88
	v_lshl_add_u64 v[60:61], v[60:61], 2, v[18:19]
	global_load_dword v80, v[64:65], off
	global_load_dword v81, v[60:61], off
	v_lshl_add_u64 v[64:65], v[66:67], 2, v[18:19]
	v_lshl_add_u64 v[66:67], v[70:71], 2, v[18:19]
	v_ashrrev_i32_e32 v69, 31, v68
	v_ashrrev_i32_e32 v73, 31, v72
	v_add_u32_e32 v76, s73, v88
	v_add_u32_e32 v60, s75, v88
	global_load_dword v83, v[64:65], off
	global_load_dword v92, v[66:67], off
	v_lshl_add_u64 v[66:67], v[68:69], 2, v[18:19]
	v_lshl_add_u64 v[68:69], v[72:73], 2, v[18:19]
	v_ashrrev_i32_e32 v75, 31, v74
	v_ashrrev_i32_e32 v59, 31, v58
	v_add_u32_e32 v64, s76, v88
	global_load_dword v72, v[66:67], off
	global_load_dword v73, v[68:69], off
	v_add_u32_e32 v66, s26, v88
	v_ashrrev_i32_e32 v77, 31, v76
	v_lshl_add_u64 v[68:69], v[74:75], 2, v[18:19]
	v_ashrrev_i32_e32 v61, 31, v60
	v_lshl_add_u64 v[58:59], v[58:59], 2, v[18:19]
	v_lshl_add_u64 v[70:71], v[76:77], 2, v[18:19]
	global_load_dword v74, v[68:69], off
	global_load_dword v75, v[70:71], off
	v_add_u32_e32 v68, s27, v88
	v_lshl_add_u64 v[60:61], v[60:61], 2, v[18:19]
	global_load_dword v76, v[58:59], off
	global_load_dword v77, v[60:61], off
	v_add_u32_e32 v58, s77, v88
	v_ashrrev_i32_e32 v65, 31, v64
	v_ashrrev_i32_e32 v67, 31, v66
	v_lshl_add_u64 v[60:61], v[64:65], 2, v[18:19]
	v_lshl_add_u64 v[64:65], v[66:67], 2, v[18:19]
	v_ashrrev_i32_e32 v69, 31, v68
	v_ashrrev_i32_e32 v59, 31, v58
	global_load_dword v93, v[60:61], off
	global_load_dword v94, v[64:65], off
	v_lshl_add_u64 v[64:65], v[68:69], 2, v[18:19]
	v_lshl_add_u64 v[58:59], v[58:59], 2, v[18:19]
	v_add_u32_e32 v60, s78, v88
	global_load_dword v95, v[64:65], off
	global_load_dword v96, v[58:59], off
	v_add_u32_e32 v58, s79, v88
	v_ashrrev_i32_e32 v61, 31, v60
	v_ashrrev_i32_e32 v59, 31, v58
	v_lshl_add_u64 v[60:61], v[60:61], 2, v[18:19]
	v_lshl_add_u64 v[58:59], v[58:59], 2, v[18:19]
	global_load_dword v97, v[60:61], off
	global_load_dword v98, v[58:59], off
	v_add_u32_e32 v58, s80, v88
	v_ashrrev_i32_e32 v59, 31, v58
	v_lshl_add_u64 v[58:59], v[58:59], 2, v[18:19]
	global_load_dword v99, v[58:59], off
	v_add_u32_e32 v58, s81, v88
	v_ashrrev_i32_e32 v59, 31, v58
	v_lshl_add_u64 v[58:59], v[58:59], 2, v[18:19]
	;; [unrolled: 4-line block ×7, first 2 shown]
	global_load_dword v105, v[58:59], off
	s_nop 0
	global_load_dword v58, v[22:23], off
	s_waitcnt vmcnt(62)
	ds_write_b32 v89, v91 offset:264
	v_lshl_add_u64 v[22:23], v[22:23], 0, s[20:21]
	s_waitcnt vmcnt(0)
	ds_write_b32 v89, v58
	global_load_dwordx2 v[58:59], v[24:25], off
	s_waitcnt vmcnt(0)
	v_cvt_pk_bf16_f32 v106, v58, v59
	v_lshl_add_u64 v[58:59], v[24:25], 0, s[12:13]
	global_load_dwordx2 v[58:59], v[58:59], off
	ds_write_b32 v89, v82 offset:528
	ds_write_b32 v89, v78 offset:792
	;; [unrolled: 1-line block ×8, first 2 shown]
	v_add_u32_e32 v48, s14, v88
	v_ashrrev_i32_e32 v49, 31, v48
	v_lshl_add_u64 v[48:49], v[48:49], 3, s[0:1]
	global_load_dwordx2 v[48:49], v[48:49], off
	ds_write_b32 v89, v17 offset:2640
	ds_write_b32 v89, v20 offset:2904
	;; [unrolled: 1-line block ×6, first 2 shown]
	v_add_u32_e32 v88, 0x140, v88
	v_cmp_le_i32_e32 vcc, s5, v88
	s_or_b64 s[16:17], vcc, s[16:17]
	v_lshl_add_u64 v[24:25], v[24:25], 0, s[22:23]
	s_waitcnt vmcnt(1)
	v_cvt_pk_bf16_f32 v91, v58, v59
	s_waitcnt vmcnt(0)
	v_cvt_pk_bf16_f32 v17, v48, v49
	ds_read_b64 v[30:31], v90
	ds_read_b64 v[48:49], v90 offset:32
	ds_read_b64 v[58:59], v90 offset:64
	ds_read_b64 v[60:61], v90 offset:96
	ds_read_b64 v[62:63], v90 offset:128
	ds_read_b64 v[64:65], v90 offset:160
	ds_read_b64 v[66:67], v90 offset:192
	ds_read_b64 v[68:69], v90 offset:224
	ds_write_b32 v89, v26
	ds_write_b32 v89, v28 offset:264
	ds_write_b32 v89, v29 offset:528
	ds_write_b32 v89, v33 offset:792
	ds_write_b32 v89, v34 offset:1056
	ds_write_b32 v89, v35 offset:1320
	ds_write_b32 v89, v36 offset:1584
	ds_write_b32 v89, v37 offset:1848
	ds_write_b32 v89, v38 offset:2112
	ds_write_b32 v89, v39 offset:2376
	ds_write_b32 v89, v41 offset:2640
	ds_write_b32 v89, v42 offset:2904
	ds_write_b32 v89, v43 offset:3168
	ds_write_b32 v89, v44 offset:3432
	ds_write_b32 v89, v45 offset:3696
	ds_write_b32 v89, v47 offset:3960
	ds_read_b64 v[26:27], v90
	ds_read_b64 v[28:29], v90 offset:32
	ds_read_b64 v[32:33], v90 offset:64
	ds_read_b64 v[34:35], v90 offset:96
	ds_read_b64 v[36:37], v90 offset:128
	ds_read_b64 v[38:39], v90 offset:160
	ds_read_b64 v[40:41], v90 offset:192
	ds_read_b64 v[42:43], v90 offset:224
	ds_write_b32 v89, v46
	ds_write_b32 v89, v50 offset:264
	ds_write_b32 v89, v51 offset:528
	ds_write_b32 v89, v52 offset:792
	ds_write_b32 v89, v53 offset:1056
	ds_write_b32 v89, v54 offset:1320
	ds_write_b32 v89, v55 offset:1584
	ds_write_b32 v89, v56 offset:1848
	ds_write_b32 v89, v57 offset:2112
	ds_write_b32 v89, v80 offset:2376
	ds_write_b32 v89, v81 offset:2640
	ds_write_b32 v89, v83 offset:2904
	ds_write_b32 v89, v92 offset:3168
	ds_write_b32 v89, v72 offset:3432
	ds_write_b32 v89, v73 offset:3696
	ds_write_b32 v89, v74 offset:3960
	;; [unrolled: 24-line block ×4, first 2 shown]
	ds_read_b64 v[98:99], v90
	s_waitcnt lgkmcnt(0)
	v_mfma_f32_16x16x16_bf16 v[4:7], v[26:27], v[98:99], v[4:7]
	ds_read_b64 v[26:27], v90 offset:32
	v_mfma_f32_16x16x16_bf16 v[8:11], v[30:31], v[98:99], v[8:11]
	v_mfma_f32_16x16x16_bf16 v[0:3], v[44:45], v[98:99], v[0:3]
	;; [unrolled: 1-line block ×3, first 2 shown]
	s_waitcnt lgkmcnt(0)
	v_mfma_f32_16x16x16_bf16 v[8:11], v[48:49], v[26:27], v[8:11]
	v_mfma_f32_16x16x16_bf16 v[4:7], v[28:29], v[26:27], v[4:7]
	v_mfma_f32_16x16x16_bf16 v[0:3], v[46:47], v[26:27], v[0:3]
	v_mfma_f32_16x16x16_bf16 v[12:15], v[76:77], v[26:27], v[12:15]
	ds_read_b64 v[26:27], v90 offset:64
	s_waitcnt lgkmcnt(0)
	v_mfma_f32_16x16x16_bf16 v[8:11], v[58:59], v[26:27], v[8:11]
	v_mfma_f32_16x16x16_bf16 v[4:7], v[32:33], v[26:27], v[4:7]
	v_mfma_f32_16x16x16_bf16 v[0:3], v[50:51], v[26:27], v[0:3]
	v_mfma_f32_16x16x16_bf16 v[12:15], v[78:79], v[26:27], v[12:15]
	ds_read_b64 v[26:27], v90 offset:96
	;; [unrolled: 6-line block ×6, first 2 shown]
	s_waitcnt lgkmcnt(0)
	v_mfma_f32_16x16x16_bf16 v[8:11], v[68:69], v[26:27], v[8:11]
	v_mfma_f32_16x16x16_bf16 v[4:7], v[42:43], v[26:27], v[4:7]
	v_mfma_f32_16x16x16_bf16 v[0:3], v[72:73], v[26:27], v[0:3]
	v_mfma_f32_16x16x16_bf16 v[12:15], v[96:97], v[26:27], v[12:15]
	s_andn2_b64 exec, exec, s[16:17]
	s_cbranch_execnz .LBB137_4
; %bb.5:
	s_or_b64 exec, exec, s[16:17]
.LBB137_6:
	s_or_b64 exec, exec, s[24:25]
	v_lshl_add_u32 v17, v86, 2, 0
	v_mul_u32_u24_e32 v18, 0x508, v87
	v_and_b32_e32 v19, 0x3f0, v85
	v_add3_u32 v17, v17, v18, v19
	v_cmp_gt_u32_e32 vcc, 3, v84
	s_waitcnt lgkmcnt(0)
	s_barrier
	ds_write2_b32 v17, v8, v9 offset1:1
	ds_write2_b32 v17, v10, v11 offset0:2 offset1:3
	ds_write2_b32 v17, v4, v5 offset0:16 offset1:17
	;; [unrolled: 1-line block ×7, first 2 shown]
	s_waitcnt lgkmcnt(0)
	s_barrier
	s_and_saveexec_b64 s[0:1], vcc
	s_cbranch_execz .LBB137_8
; %bb.7:
	v_mul_u32_u24_e32 v0, 0x508, v84
	v_add3_u32 v4, 0, v16, v0
	ds_read2st64_b32 v[0:1], v4 offset1:1
	ds_read2st64_b32 v[2:3], v4 offset0:2 offset1:3
	s_mul_hi_i32 s1, s15, s4
	s_mul_i32 s0, s15, s4
	ds_read_b32 v4, v4 offset:1024
	s_lshl_b64 s[0:1], s[0:1], 2
	s_waitcnt lgkmcnt(2)
	v_add_f32_e32 v0, 0, v0
	s_mul_i32 s4, s11, s3
	s_add_u32 s3, s6, s0
	v_add_f32_e32 v0, v0, v1
	s_addc_u32 s6, s7, s1
	s_ashr_i32 s5, s4, 31
	s_waitcnt lgkmcnt(1)
	v_add_f32_e32 v0, v0, v2
	s_lshl_b64 s[0:1], s[4:5], 2
	v_add_f32_e32 v0, v0, v3
	s_add_u32 s0, s3, s0
	s_waitcnt lgkmcnt(0)
	v_add_f32_e32 v2, v0, v4
	v_mul_lo_u32 v0, v84, s18
	s_addc_u32 s1, s6, s1
	v_add3_u32 v0, s2, v85, v0
	v_mov_b32_e32 v1, 0
	v_lshl_add_u64 v[0:1], v[0:1], 2, s[0:1]
	global_store_dword v[0:1], v2, off
.LBB137_8:
	s_endpgm
	.section	.rodata,"a",@progbits
	.p2align	6, 0x0
	.amdhsa_kernel _ZL9mul_mat_fI15__hip_bfloat162Li64ELi3ELi5ELb0EEvPKT_PKfPKiPfiiiiiiiiiiiiiiii
		.amdhsa_group_segment_fixed_size 0
		.amdhsa_private_segment_fixed_size 0
		.amdhsa_kernarg_size 96
		.amdhsa_user_sgpr_count 2
		.amdhsa_user_sgpr_dispatch_ptr 0
		.amdhsa_user_sgpr_queue_ptr 0
		.amdhsa_user_sgpr_kernarg_segment_ptr 1
		.amdhsa_user_sgpr_dispatch_id 0
		.amdhsa_user_sgpr_kernarg_preload_length 0
		.amdhsa_user_sgpr_kernarg_preload_offset 0
		.amdhsa_user_sgpr_private_segment_size 0
		.amdhsa_uses_dynamic_stack 0
		.amdhsa_enable_private_segment 0
		.amdhsa_system_sgpr_workgroup_id_x 1
		.amdhsa_system_sgpr_workgroup_id_y 1
		.amdhsa_system_sgpr_workgroup_id_z 1
		.amdhsa_system_sgpr_workgroup_info 0
		.amdhsa_system_vgpr_workitem_id 1
		.amdhsa_next_free_vgpr 107
		.amdhsa_next_free_sgpr 87
		.amdhsa_accum_offset 108
		.amdhsa_reserve_vcc 1
		.amdhsa_float_round_mode_32 0
		.amdhsa_float_round_mode_16_64 0
		.amdhsa_float_denorm_mode_32 3
		.amdhsa_float_denorm_mode_16_64 3
		.amdhsa_dx10_clamp 1
		.amdhsa_ieee_mode 1
		.amdhsa_fp16_overflow 0
		.amdhsa_tg_split 0
		.amdhsa_exception_fp_ieee_invalid_op 0
		.amdhsa_exception_fp_denorm_src 0
		.amdhsa_exception_fp_ieee_div_zero 0
		.amdhsa_exception_fp_ieee_overflow 0
		.amdhsa_exception_fp_ieee_underflow 0
		.amdhsa_exception_fp_ieee_inexact 0
		.amdhsa_exception_int_div_zero 0
	.end_amdhsa_kernel
	.section	.text._ZL9mul_mat_fI15__hip_bfloat162Li64ELi3ELi5ELb0EEvPKT_PKfPKiPfiiiiiiiiiiiiiiii,"axG",@progbits,_ZL9mul_mat_fI15__hip_bfloat162Li64ELi3ELi5ELb0EEvPKT_PKfPKiPfiiiiiiiiiiiiiiii,comdat
.Lfunc_end137:
	.size	_ZL9mul_mat_fI15__hip_bfloat162Li64ELi3ELi5ELb0EEvPKT_PKfPKiPfiiiiiiiiiiiiiiii, .Lfunc_end137-_ZL9mul_mat_fI15__hip_bfloat162Li64ELi3ELi5ELb0EEvPKT_PKfPKiPfiiiiiiiiiiiiiiii
                                        ; -- End function
	.set _ZL9mul_mat_fI15__hip_bfloat162Li64ELi3ELi5ELb0EEvPKT_PKfPKiPfiiiiiiiiiiiiiiii.num_vgpr, 107
	.set _ZL9mul_mat_fI15__hip_bfloat162Li64ELi3ELi5ELb0EEvPKT_PKfPKiPfiiiiiiiiiiiiiiii.num_agpr, 0
	.set _ZL9mul_mat_fI15__hip_bfloat162Li64ELi3ELi5ELb0EEvPKT_PKfPKiPfiiiiiiiiiiiiiiii.numbered_sgpr, 87
	.set _ZL9mul_mat_fI15__hip_bfloat162Li64ELi3ELi5ELb0EEvPKT_PKfPKiPfiiiiiiiiiiiiiiii.num_named_barrier, 0
	.set _ZL9mul_mat_fI15__hip_bfloat162Li64ELi3ELi5ELb0EEvPKT_PKfPKiPfiiiiiiiiiiiiiiii.private_seg_size, 0
	.set _ZL9mul_mat_fI15__hip_bfloat162Li64ELi3ELi5ELb0EEvPKT_PKfPKiPfiiiiiiiiiiiiiiii.uses_vcc, 1
	.set _ZL9mul_mat_fI15__hip_bfloat162Li64ELi3ELi5ELb0EEvPKT_PKfPKiPfiiiiiiiiiiiiiiii.uses_flat_scratch, 0
	.set _ZL9mul_mat_fI15__hip_bfloat162Li64ELi3ELi5ELb0EEvPKT_PKfPKiPfiiiiiiiiiiiiiiii.has_dyn_sized_stack, 0
	.set _ZL9mul_mat_fI15__hip_bfloat162Li64ELi3ELi5ELb0EEvPKT_PKfPKiPfiiiiiiiiiiiiiiii.has_recursion, 0
	.set _ZL9mul_mat_fI15__hip_bfloat162Li64ELi3ELi5ELb0EEvPKT_PKfPKiPfiiiiiiiiiiiiiiii.has_indirect_call, 0
	.section	.AMDGPU.csdata,"",@progbits
; Kernel info:
; codeLenInByte = 4292
; TotalNumSgprs: 93
; NumVgprs: 107
; NumAgprs: 0
; TotalNumVgprs: 107
; ScratchSize: 0
; MemoryBound: 0
; FloatMode: 240
; IeeeMode: 1
; LDSByteSize: 0 bytes/workgroup (compile time only)
; SGPRBlocks: 11
; VGPRBlocks: 13
; NumSGPRsForWavesPerEU: 93
; NumVGPRsForWavesPerEU: 107
; AccumOffset: 108
; Occupancy: 4
; WaveLimiterHint : 0
; COMPUTE_PGM_RSRC2:SCRATCH_EN: 0
; COMPUTE_PGM_RSRC2:USER_SGPR: 2
; COMPUTE_PGM_RSRC2:TRAP_HANDLER: 0
; COMPUTE_PGM_RSRC2:TGID_X_EN: 1
; COMPUTE_PGM_RSRC2:TGID_Y_EN: 1
; COMPUTE_PGM_RSRC2:TGID_Z_EN: 1
; COMPUTE_PGM_RSRC2:TIDIG_COMP_CNT: 1
; COMPUTE_PGM_RSRC3_GFX90A:ACCUM_OFFSET: 26
; COMPUTE_PGM_RSRC3_GFX90A:TG_SPLIT: 0
	.section	.text._ZL13mul_mat_f_idsI15__hip_bfloat162Li64ELi3ELi6EEvPKT_PKfPKiS7_S7_Pfiiiiiiiiiiiiii15HIP_vector_typeIjLj3EESA_,"axG",@progbits,_ZL13mul_mat_f_idsI15__hip_bfloat162Li64ELi3ELi6EEvPKT_PKfPKiS7_S7_Pfiiiiiiiiiiiiii15HIP_vector_typeIjLj3EESA_,comdat
	.globl	_ZL13mul_mat_f_idsI15__hip_bfloat162Li64ELi3ELi6EEvPKT_PKfPKiS7_S7_Pfiiiiiiiiiiiiii15HIP_vector_typeIjLj3EESA_ ; -- Begin function _ZL13mul_mat_f_idsI15__hip_bfloat162Li64ELi3ELi6EEvPKT_PKfPKiS7_S7_Pfiiiiiiiiiiiiii15HIP_vector_typeIjLj3EESA_
	.p2align	8
	.type	_ZL13mul_mat_f_idsI15__hip_bfloat162Li64ELi3ELi6EEvPKT_PKfPKiS7_S7_Pfiiiiiiiiiiiiii15HIP_vector_typeIjLj3EESA_,@function
_ZL13mul_mat_f_idsI15__hip_bfloat162Li64ELi3ELi6EEvPKT_PKfPKiS7_S7_Pfiiiiiiiiiiiiii15HIP_vector_typeIjLj3EESA_: ; @_ZL13mul_mat_f_idsI15__hip_bfloat162Li64ELi3ELi6EEvPKT_PKfPKiS7_S7_Pfiiiiiiiiiiiiii15HIP_vector_typeIjLj3EESA_
; %bb.0:
	s_load_dwordx2 s[6:7], s[0:1], 0x20
	s_mov_b32 s34, s3
	s_ashr_i32 s35, s3, 31
	s_lshl_b64 s[8:9], s[34:35], 2
	s_waitcnt lgkmcnt(0)
	s_add_u32 s6, s6, s8
	s_addc_u32 s7, s7, s9
	s_load_dwordx2 s[26:27], s[6:7], 0x0
	s_waitcnt lgkmcnt(0)
	s_sub_i32 s33, s27, s26
	s_add_i32 s3, s33, 2
	s_mul_hi_i32 s3, s3, 0x55555556
	s_lshr_b32 s5, s3, 31
	s_add_i32 s3, s3, s5
	s_cmp_ge_i32 s4, s3
	s_cbranch_scc1 .LBB138_20
; %bb.1:
	v_bfe_u32 v85, v0, 10, 10
	v_lshlrev_b32_e32 v86, 6, v85
	v_and_b32_e32 v84, 0x3ff, v0
	s_load_dwordx4 s[12:15], s[0:1], 0x30
	s_load_dwordx2 s[20:21], s[0:1], 0x40
	s_load_dwordx4 s[8:11], s[0:1], 0x4c
	s_load_dwordx4 s[16:19], s[0:1], 0x68
	s_load_dwordx2 s[24:25], s[0:1], 0x78
	v_add_u32_e32 v88, v86, v84
	s_ashr_i32 s27, s26, 31
	s_waitcnt lgkmcnt(0)
	v_cmp_le_i32_e32 vcc, s12, v88
	v_and_b32_e32 v87, 15, v84
	s_and_saveexec_b64 s[6:7], vcc
	s_xor_b64 s[6:7], exec, s[6:7]
; %bb.2:
	v_and_b32_e32 v87, 15, v84
                                        ; implicit-def: $vgpr88
; %bb.3:
	s_or_saveexec_b64 s[30:31], s[6:7]
	s_load_dwordx2 s[6:7], s[0:1], 0x18
                                        ; implicit-def: $vgpr101 : SGPR spill to VGPR lane
	v_mov_b32_e32 v15, 0
	s_lshl_b32 s11, s2, 6
	s_mul_i32 s2, s4, 3
	v_mov_b32_e32 v14, v15
	s_waitcnt lgkmcnt(0)
	v_writelane_b32 v101, s6, 0
	v_mov_b32_e32 v13, v15
	v_mov_b32_e32 v12, v15
	v_writelane_b32 v101, s7, 1
	s_load_dwordx2 s[6:7], s[0:1], 0x28
	v_mov_b32_e32 v7, v15
	v_mov_b32_e32 v6, v15
	v_mov_b32_e32 v5, v15
	v_mov_b32_e32 v4, v15
	s_waitcnt lgkmcnt(0)
	v_writelane_b32 v101, s6, 2
	v_mov_b32_e32 v3, v15
	v_mov_b32_e32 v2, v15
	;; [unrolled: 1-line block ×8, first 2 shown]
	v_writelane_b32 v101, s7, 3
	s_xor_b64 exec, exec, s[30:31]
	s_cbranch_execz .LBB138_16
; %bb.4:
	s_load_dwordx4 s[4:7], s[0:1], 0x0
	s_load_dwordx2 s[22:23], s[0:1], 0x10
	s_mul_i32 s0, s8, s34
	s_ashr_i32 s1, s0, 31
	v_writelane_b32 v101, s24, 4
	s_lshl_b64 s[44:45], s[0:1], 2
	s_waitcnt lgkmcnt(0)
	s_add_u32 s0, s4, s44
	v_writelane_b32 v101, s25, 5
	s_mul_i32 s24, s15, s11
	s_addc_u32 s1, s5, s45
	s_ashr_i32 s25, s24, 31
	s_lshl_b64 s[46:47], s[24:25], 2
	s_add_u32 s0, s0, s46
	s_addc_u32 s1, s1, s47
	s_lshl_b64 s[24:25], s[26:27], 2
	s_add_u32 s8, s22, s24
	s_addc_u32 s24, s23, s25
	s_movk_i32 s3, 0x1080
	s_cmp_lt_i32 s2, s33
	v_mad_u32_u24 v1, v85, s3, 0
	s_cselect_b64 s[34:35], -1, 0
	s_ashr_i32 s3, s2, 31
	s_lshl_b64 s[22:23], s[2:3], 2
	s_add_u32 s36, s8, s22
	s_addc_u32 s37, s24, s23
	s_add_i32 s3, s2, 1
	s_cmp_lt_i32 s3, s33
	s_cselect_b64 s[38:39], -1, 0
	s_add_i32 s3, s2, 2
	s_cmp_lt_i32 s3, s33
	s_cselect_b64 s[40:41], -1, 0
	s_ashr_i32 s23, s15, 31
	s_mov_b32 s22, s15
	s_add_i32 s3, s15, s15
	s_lshl_b32 s48, s15, 2
	s_lshl_b32 s52, s15, 3
	;; [unrolled: 1-line block ×4, first 2 shown]
	s_lshl_b64 s[42:43], s[22:23], 2
	v_lshrrev_b32_e32 v3, 1, v84
	s_add_u32 s22, s44, s46
	v_mov_b32_e32 v17, 0
	v_lshlrev_b32_e32 v0, 2, v84
	v_mul_u32_u24_e32 v2, 0x108, v87
	v_and_b32_e32 v3, 0x1f8, v3
	s_addc_u32 s23, s45, s47
	v_lshlrev_b32_e32 v16, 8, v85
	v_add_u32_e32 v89, v1, v0
	v_add3_u32 v90, v1, v2, v3
	v_lshl_add_u64 v[2:3], s[22:23], 0, v[16:17]
	v_mov_b32_e32 v1, v17
	v_lshl_add_u64 v[0:1], v[2:3], 0, v[0:1]
	s_mul_i32 s8, s15, 3
	s_mul_i32 s49, s15, 5
	;; [unrolled: 1-line block ×43, first 2 shown]
	v_lshl_add_u64 v[18:19], s[4:5], 0, v[0:1]
	v_mov_b32_e32 v8, 0
	v_mov_b32_e32 v9, v17
	v_mov_b32_e32 v10, v17
	v_mov_b32_e32 v11, v17
	v_mov_b32_e32 v0, 0
	v_mov_b32_e32 v1, v17
	v_mov_b32_e32 v2, v17
	v_mov_b32_e32 v3, v17
	v_mov_b32_e32 v4, 0
	v_mov_b32_e32 v5, v17
	v_mov_b32_e32 v6, v17
	v_mov_b32_e32 v7, v17
	v_mov_b32_e32 v12, 0
	v_mov_b32_e32 v13, v17
	v_mov_b32_e32 v14, v17
	v_mov_b32_e32 v15, v17
	s_mul_i32 s90, s15, 50
	s_mul_i32 s91, s15, 51
	;; [unrolled: 1-line block ×14, first 2 shown]
	s_mov_b32 s23, 0x5040100
	s_mov_b64 s[4:5], 0
	s_branch .LBB138_6
.LBB138_5:                              ;   in Loop: Header=BB138_6 Depth=1
	v_perm_b32 v16, v16, v91, s23
	v_perm_b32 v91, v93, v94, s23
	ds_write2_b32 v89, v16, v91 offset1:66
	v_perm_b32 v16, v95, v92, s23
	ds_write2_b32 v89, v16, v17 offset0:132 offset1:198
	v_add_u32_e32 v16, 0x400, v89
	ds_write2_b32 v16, v17, v17 offset0:8 offset1:74
	ds_write2_b32 v16, v17, v17 offset0:140 offset1:206
	v_add_u32_e32 v16, 0x800, v89
	ds_write2_b32 v16, v17, v17 offset0:16 offset1:82
	ds_write2_b32 v16, v17, v17 offset0:148 offset1:214
	v_add_u32_e32 v16, 0xc00, v89
	ds_write2_b32 v16, v17, v17 offset0:24 offset1:90
	ds_write2_b32 v16, v17, v17 offset0:156 offset1:222
	ds_read2_b64 v[92:95], v90 offset1:4
	s_waitcnt lgkmcnt(0)
	v_mfma_f32_16x16x16_bf16 v[0:3], v[52:53], v[92:93], v[0:3]
	v_add_u32_e32 v88, 0x180, v88
	s_mov_b64 vcc, 0x600
	v_lshl_add_u64 v[18:19], v[18:19], 0, vcc
	v_mfma_f32_16x16x16_bf16 v[8:11], v[36:37], v[92:93], v[8:11]
	v_cmp_le_i32_e32 vcc, s12, v88
	s_or_b64 s[4:5], vcc, s[4:5]
	v_mfma_f32_16x16x16_bf16 v[4:7], v[68:69], v[92:93], v[4:7]
	v_mfma_f32_16x16x16_bf16 v[12:15], v[82:83], v[92:93], v[12:15]
	v_mfma_f32_16x16x16_bf16 v[0:3], v[50:51], v[94:95], v[0:3]
	ds_read2_b64 v[50:53], v90 offset0:8 offset1:12
	v_mfma_f32_16x16x16_bf16 v[8:11], v[32:33], v[94:95], v[8:11]
	v_mfma_f32_16x16x16_bf16 v[4:7], v[66:67], v[94:95], v[4:7]
	v_mfma_f32_16x16x16_bf16 v[12:15], v[80:81], v[94:95], v[12:15]
	s_waitcnt lgkmcnt(0)
	v_mfma_f32_16x16x16_bf16 v[8:11], v[30:31], v[50:51], v[8:11]
	v_mfma_f32_16x16x16_bf16 v[0:3], v[46:47], v[50:51], v[0:3]
	v_mfma_f32_16x16x16_bf16 v[4:7], v[64:65], v[50:51], v[4:7]
	v_mfma_f32_16x16x16_bf16 v[12:15], v[76:77], v[50:51], v[12:15]
	v_mfma_f32_16x16x16_bf16 v[8:11], v[28:29], v[52:53], v[8:11]
	ds_read2_b64 v[28:31], v90 offset0:16 offset1:20
	v_mfma_f32_16x16x16_bf16 v[0:3], v[44:45], v[52:53], v[0:3]
	v_mfma_f32_16x16x16_bf16 v[4:7], v[62:63], v[52:53], v[4:7]
	v_mfma_f32_16x16x16_bf16 v[12:15], v[72:73], v[52:53], v[12:15]
	s_waitcnt lgkmcnt(0)
	v_mfma_f32_16x16x16_bf16 v[8:11], v[26:27], v[28:29], v[8:11]
	v_mfma_f32_16x16x16_bf16 v[0:3], v[42:43], v[28:29], v[0:3]
	;; [unrolled: 10-line block ×3, first 2 shown]
	v_mfma_f32_16x16x16_bf16 v[4:7], v[54:55], v[24:25], v[4:7]
	v_mfma_f32_16x16x16_bf16 v[12:15], v[70:71], v[24:25], v[12:15]
	;; [unrolled: 1-line block ×6, first 2 shown]
	s_andn2_b64 exec, exec, s[4:5]
	s_cbranch_execz .LBB138_15
.LBB138_6:                              ; =>This Inner Loop Header: Depth=1
	v_lshl_add_u64 v[20:21], v[18:19], 0, s[42:43]
	global_load_dword v16, v[18:19], off
	global_load_dword v46, v[20:21], off
	v_add_u32_e32 v20, s3, v88
	v_ashrrev_i32_e32 v21, 31, v20
	v_add_u32_e32 v22, s8, v88
	v_add_u32_e32 v24, s48, v88
	;; [unrolled: 1-line block ×5, first 2 shown]
	v_lshl_add_u64 v[20:21], v[20:21], 2, s[0:1]
	v_ashrrev_i32_e32 v23, 31, v22
	v_ashrrev_i32_e32 v25, 31, v24
	v_ashrrev_i32_e32 v27, 31, v26
	v_ashrrev_i32_e32 v29, 31, v28
	v_ashrrev_i32_e32 v31, 31, v30
	v_lshl_add_u64 v[22:23], v[22:23], 2, s[0:1]
	v_lshl_add_u64 v[24:25], v[24:25], 2, s[0:1]
	;; [unrolled: 1-line block ×5, first 2 shown]
	global_load_dword v47, v[20:21], off
	global_load_dword v48, v[22:23], off
	;; [unrolled: 1-line block ×6, first 2 shown]
	v_add_u32_e32 v20, s52, v88
	v_add_u32_e32 v38, s61, v88
	;; [unrolled: 1-line block ×10, first 2 shown]
	v_ashrrev_i32_e32 v21, 31, v20
	v_ashrrev_i32_e32 v39, 31, v38
	;; [unrolled: 1-line block ×10, first 2 shown]
	v_lshl_add_u64 v[20:21], v[20:21], 2, s[0:1]
	v_lshl_add_u64 v[38:39], v[38:39], 2, s[0:1]
	v_add_u32_e32 v40, s62, v88
	v_add_u32_e32 v42, s63, v88
	;; [unrolled: 1-line block ×3, first 2 shown]
	v_lshl_add_u64 v[22:23], v[22:23], 2, s[0:1]
	v_lshl_add_u64 v[24:25], v[24:25], 2, s[0:1]
	;; [unrolled: 1-line block ×8, first 2 shown]
	global_load_dword v53, v[20:21], off
	global_load_dword v54, v[22:23], off
	;; [unrolled: 1-line block ×9, first 2 shown]
	s_nop 0
	global_load_dword v38, v[38:39], off
	v_add_u32_e32 v20, s65, v88
	v_ashrrev_i32_e32 v41, 31, v40
	v_ashrrev_i32_e32 v43, 31, v42
	;; [unrolled: 1-line block ×4, first 2 shown]
	v_add_u32_e32 v22, s66, v88
	v_add_u32_e32 v24, s67, v88
	;; [unrolled: 1-line block ×4, first 2 shown]
	v_lshl_add_u64 v[40:41], v[40:41], 2, s[0:1]
	v_lshl_add_u64 v[42:43], v[42:43], 2, s[0:1]
	;; [unrolled: 1-line block ×4, first 2 shown]
	v_ashrrev_i32_e32 v23, 31, v22
	v_ashrrev_i32_e32 v25, 31, v24
	;; [unrolled: 1-line block ×4, first 2 shown]
	v_lshl_add_u64 v[22:23], v[22:23], 2, s[0:1]
	v_lshl_add_u64 v[24:25], v[24:25], 2, s[0:1]
	;; [unrolled: 1-line block ×4, first 2 shown]
	v_add_u32_e32 v30, s75, v88
	v_add_u32_e32 v32, s76, v88
	;; [unrolled: 1-line block ×3, first 2 shown]
	v_ashrrev_i32_e32 v31, 31, v30
	v_ashrrev_i32_e32 v33, 31, v32
	;; [unrolled: 1-line block ×3, first 2 shown]
	v_lshl_add_u64 v[30:31], v[30:31], 2, s[0:1]
	s_waitcnt vmcnt(17)
	ds_write_b32 v89, v16
	s_waitcnt vmcnt(16)
	ds_write_b32 v89, v46 offset:264
	s_waitcnt vmcnt(15)
	ds_write_b32 v89, v47 offset:528
	;; [unrolled: 2-line block ×7, first 2 shown]
	global_load_dword v16, v[40:41], off
	global_load_dword v39, v[42:43], off
	s_nop 0
	global_load_dword v40, v[44:45], off
	global_load_dword v41, v[20:21], off
	;; [unrolled: 1-line block ×4, first 2 shown]
	s_nop 0
	global_load_dword v44, v[26:27], off
	global_load_dword v45, v[28:29], off
	v_add_u32_e32 v20, s70, v88
	v_ashrrev_i32_e32 v21, 31, v20
	v_add_u32_e32 v22, s71, v88
	v_add_u32_e32 v24, s72, v88
	;; [unrolled: 1-line block ×4, first 2 shown]
	v_lshl_add_u64 v[20:21], v[20:21], 2, s[0:1]
	v_ashrrev_i32_e32 v23, 31, v22
	v_ashrrev_i32_e32 v25, 31, v24
	;; [unrolled: 1-line block ×4, first 2 shown]
	v_lshl_add_u64 v[22:23], v[22:23], 2, s[0:1]
	v_lshl_add_u64 v[24:25], v[24:25], 2, s[0:1]
	v_lshl_add_u64 v[26:27], v[26:27], 2, s[0:1]
	v_lshl_add_u64 v[28:29], v[28:29], 2, s[0:1]
	v_lshl_add_u64 v[32:33], v[32:33], 2, s[0:1]
	v_lshl_add_u64 v[34:35], v[34:35], 2, s[0:1]
	global_load_dword v46, v[20:21], off
	global_load_dword v47, v[22:23], off
	global_load_dword v48, v[24:25], off
	global_load_dword v49, v[26:27], off
	global_load_dword v50, v[28:29], off
	global_load_dword v51, v[30:31], off
	global_load_dword v62, v[32:33], off
	global_load_dword v63, v[34:35], off
	v_add_u32_e32 v20, s78, v88
	v_ashrrev_i32_e32 v21, 31, v20
	v_add_u32_e32 v22, s79, v88
	v_add_u32_e32 v24, s80, v88
	v_add_u32_e32 v26, s81, v88
	v_add_u32_e32 v28, s82, v88
	v_add_u32_e32 v30, s83, v88
	v_add_u32_e32 v32, s84, v88
	v_add_u32_e32 v34, s85, v88
	v_lshl_add_u64 v[20:21], v[20:21], 2, s[0:1]
	v_ashrrev_i32_e32 v23, 31, v22
	v_ashrrev_i32_e32 v25, 31, v24
	v_ashrrev_i32_e32 v27, 31, v26
	v_ashrrev_i32_e32 v29, 31, v28
	v_ashrrev_i32_e32 v31, 31, v30
	v_ashrrev_i32_e32 v33, 31, v32
	v_ashrrev_i32_e32 v35, 31, v34
	v_lshl_add_u64 v[22:23], v[22:23], 2, s[0:1]
	v_lshl_add_u64 v[24:25], v[24:25], 2, s[0:1]
	v_lshl_add_u64 v[26:27], v[26:27], 2, s[0:1]
	v_lshl_add_u64 v[28:29], v[28:29], 2, s[0:1]
	v_lshl_add_u64 v[30:31], v[30:31], 2, s[0:1]
	v_lshl_add_u64 v[32:33], v[32:33], 2, s[0:1]
	v_lshl_add_u64 v[34:35], v[34:35], 2, s[0:1]
	global_load_dword v64, v[20:21], off
	global_load_dword v65, v[22:23], off
	global_load_dword v66, v[24:25], off
	global_load_dword v67, v[26:27], off
	global_load_dword v68, v[28:29], off
	global_load_dword v69, v[30:31], off
	global_load_dword v70, v[32:33], off
	global_load_dword v71, v[34:35], off
	v_add_u32_e32 v20, s44, v88
	v_ashrrev_i32_e32 v21, 31, v20
	v_add_u32_e32 v22, s45, v88
	v_add_u32_e32 v24, s46, v88
	v_add_u32_e32 v26, s47, v88
	v_add_u32_e32 v28, s86, v88
	v_add_u32_e32 v30, s87, v88
	v_add_u32_e32 v32, s88, v88
	v_add_u32_e32 v34, s89, v88
	v_lshl_add_u64 v[20:21], v[20:21], 2, s[0:1]
	v_ashrrev_i32_e32 v23, 31, v22
	v_ashrrev_i32_e32 v25, 31, v24
	v_ashrrev_i32_e32 v27, 31, v26
	v_ashrrev_i32_e32 v29, 31, v28
	v_ashrrev_i32_e32 v31, 31, v30
	v_ashrrev_i32_e32 v33, 31, v32
	v_ashrrev_i32_e32 v35, 31, v34
	v_lshl_add_u64 v[22:23], v[22:23], 2, s[0:1]
	;; [unrolled: 32-line block ×3, first 2 shown]
	v_lshl_add_u64 v[24:25], v[24:25], 2, s[0:1]
	v_lshl_add_u64 v[26:27], v[26:27], 2, s[0:1]
	;; [unrolled: 1-line block ×6, first 2 shown]
	global_load_dword v80, v[20:21], off
	global_load_dword v81, v[22:23], off
	;; [unrolled: 1-line block ×8, first 2 shown]
	v_add_u32_e32 v20, s98, v88
	v_ashrrev_i32_e32 v21, 31, v20
	v_add_u32_e32 v22, s99, v88
	v_add_u32_e32 v24, s24, v88
	;; [unrolled: 1-line block ×5, first 2 shown]
	v_lshl_add_u64 v[20:21], v[20:21], 2, s[0:1]
	v_ashrrev_i32_e32 v23, 31, v22
	v_ashrrev_i32_e32 v25, 31, v24
	;; [unrolled: 1-line block ×5, first 2 shown]
	v_lshl_add_u64 v[22:23], v[22:23], 2, s[0:1]
	v_lshl_add_u64 v[24:25], v[24:25], 2, s[0:1]
	v_lshl_add_u64 v[26:27], v[26:27], 2, s[0:1]
	v_lshl_add_u64 v[28:29], v[28:29], 2, s[0:1]
	v_lshl_add_u64 v[30:31], v[30:31], 2, s[0:1]
	global_load_dword v95, v[20:21], off
	global_load_dword v96, v[22:23], off
	;; [unrolled: 1-line block ×6, first 2 shown]
	s_waitcnt vmcnt(55)
	ds_write_b32 v89, v53 offset:2112
	s_waitcnt vmcnt(54)
	ds_write_b32 v89, v54 offset:2376
	s_waitcnt vmcnt(53)
	ds_write_b32 v89, v55 offset:2640
	s_waitcnt vmcnt(52)
	ds_write_b32 v89, v56 offset:2904
	s_waitcnt vmcnt(51)
	ds_write_b32 v89, v57 offset:3168
	s_waitcnt vmcnt(50)
	ds_write_b32 v89, v58 offset:3432
	s_waitcnt vmcnt(49)
	ds_write_b32 v89, v59 offset:3696
	s_waitcnt vmcnt(48)
	ds_write_b32 v89, v60 offset:3960
	ds_read_b64 v[36:37], v90
	ds_read_b64 v[32:33], v90 offset:32
	ds_read_b64 v[30:31], v90 offset:64
	ds_read_b64 v[28:29], v90 offset:96
	ds_read_b64 v[26:27], v90 offset:128
	ds_read_b64 v[24:25], v90 offset:160
	ds_read_b64 v[22:23], v90 offset:192
	ds_read_b64 v[20:21], v90 offset:224
	s_waitcnt vmcnt(47)
	ds_write_b32 v89, v61
	s_waitcnt vmcnt(46)
	ds_write_b32 v89, v38 offset:264
	s_waitcnt vmcnt(45)
	ds_write_b32 v89, v16 offset:528
	s_waitcnt vmcnt(44)
	ds_write_b32 v89, v39 offset:792
	s_waitcnt vmcnt(43)
	ds_write_b32 v89, v40 offset:1056
	s_waitcnt vmcnt(42)
	ds_write_b32 v89, v41 offset:1320
	s_waitcnt vmcnt(41)
	ds_write_b32 v89, v42 offset:1584
	s_waitcnt vmcnt(40)
	ds_write_b32 v89, v43 offset:1848
	s_waitcnt vmcnt(39)
	ds_write_b32 v89, v44 offset:2112
	s_waitcnt vmcnt(38)
	ds_write_b32 v89, v45 offset:2376
	s_waitcnt vmcnt(37)
	ds_write_b32 v89, v46 offset:2640
	s_waitcnt vmcnt(36)
	ds_write_b32 v89, v47 offset:2904
	s_waitcnt vmcnt(35)
	ds_write_b32 v89, v48 offset:3168
	s_waitcnt vmcnt(34)
	ds_write_b32 v89, v49 offset:3432
	s_waitcnt vmcnt(33)
	ds_write_b32 v89, v50 offset:3696
	s_waitcnt vmcnt(32)
	ds_write_b32 v89, v51 offset:3960
	ds_read_b64 v[52:53], v90
	ds_read_b64 v[50:51], v90 offset:32
	ds_read_b64 v[46:47], v90 offset:64
	ds_read_b64 v[44:45], v90 offset:96
	ds_read_b64 v[42:43], v90 offset:128
	ds_read_b64 v[40:41], v90 offset:160
	ds_read_b64 v[38:39], v90 offset:192
	ds_read_b64 v[34:35], v90 offset:224
	s_waitcnt vmcnt(31)
	ds_write_b32 v89, v62
	s_waitcnt vmcnt(30)
	ds_write_b32 v89, v63 offset:264
	s_waitcnt vmcnt(29)
	ds_write_b32 v89, v64 offset:528
	s_waitcnt vmcnt(28)
	ds_write_b32 v89, v65 offset:792
	s_waitcnt vmcnt(27)
	ds_write_b32 v89, v66 offset:1056
	s_waitcnt vmcnt(26)
	ds_write_b32 v89, v67 offset:1320
	s_waitcnt vmcnt(25)
	ds_write_b32 v89, v68 offset:1584
	s_waitcnt vmcnt(24)
	ds_write_b32 v89, v69 offset:1848
	;; [unrolled: 40-line block ×3, first 2 shown]
	s_waitcnt vmcnt(7)
	ds_write_b32 v89, v93 offset:2112
	s_waitcnt vmcnt(6)
	ds_write_b32 v89, v94 offset:2376
	;; [unrolled: 2-line block ×8, first 2 shown]
	ds_read_b64 v[82:83], v90
	ds_read_b64 v[80:81], v90 offset:32
	ds_read_b64 v[76:77], v90 offset:64
	;; [unrolled: 1-line block ×7, first 2 shown]
	s_andn2_b64 vcc, exec, s[34:35]
	v_mov_b32_e32 v91, 0
	v_mov_b32_e32 v16, 0
	s_cbranch_vccnz .LBB138_9
; %bb.7:                                ;   in Loop: Header=BB138_6 Depth=1
	s_load_dword vcc_lo, s[36:37], 0x0
	v_mov_b32_e32 v16, 0
	v_mov_b32_e32 v91, 0
	s_waitcnt lgkmcnt(0)
	s_mul_hi_u32 vcc_hi, vcc_lo, s16
	s_add_i32 vcc_hi, vcc_lo, vcc_hi
	s_lshr_b32 s28, vcc_hi, s17
	s_cmp_ge_i32 s28, s13
	s_cbranch_scc1 .LBB138_9
; %bb.8:                                ;   in Loop: Header=BB138_6 Depth=1
	s_mul_i32 vcc_hi, s28, s18
	s_sub_i32 s29, vcc_lo, vcc_hi
	s_mul_i32 s28, s28, s20
	s_mul_i32 s29, s29, s9
	v_add_u32_e32 v16, s28, v88
	v_lshl_add_u32 v92, v16, 1, s29
	v_ashrrev_i32_e32 v93, 31, v92
	v_lshl_add_u64 v[92:93], v[92:93], 2, s[6:7]
	global_load_dwordx2 v[92:93], v[92:93], off
	s_waitcnt vmcnt(0)
	v_cvt_pk_bf16_f32 v91, v92, s0
	v_cvt_pk_bf16_f32 v16, v93, s0
.LBB138_9:                              ;   in Loop: Header=BB138_6 Depth=1
	v_mov_b32_e32 v92, 0
	s_andn2_b64 vcc, exec, s[38:39]
	v_mov_b32_e32 v94, 0
	v_mov_b32_e32 v93, 0
	s_cbranch_vccnz .LBB138_12
; %bb.10:                               ;   in Loop: Header=BB138_6 Depth=1
	s_load_dword vcc_lo, s[36:37], 0x4
	v_mov_b32_e32 v93, 0
	v_mov_b32_e32 v94, 0
	s_waitcnt lgkmcnt(0)
	s_mul_hi_u32 s28, vcc_lo, s16
	s_add_i32 s28, vcc_lo, s28
	s_lshr_b32 vcc_hi, s28, s17
	s_cmp_ge_i32 vcc_hi, s13
	s_cbranch_scc1 .LBB138_12
; %bb.11:                               ;   in Loop: Header=BB138_6 Depth=1
	s_mul_i32 s28, vcc_hi, s18
	s_sub_i32 s28, vcc_lo, s28
	s_mul_i32 vcc_hi, vcc_hi, s20
	s_mul_i32 s28, s28, s9
	v_add_u32_e32 v93, vcc_hi, v88
	v_lshl_add_u32 v94, v93, 1, s28
	v_ashrrev_i32_e32 v95, 31, v94
	v_lshl_add_u64 v[94:95], v[94:95], 2, s[6:7]
	global_load_dwordx2 v[94:95], v[94:95], off
	s_waitcnt vmcnt(0)
	v_cvt_pk_bf16_f32 v94, v94, s0
	v_cvt_pk_bf16_f32 v93, v95, s0
.LBB138_12:                             ;   in Loop: Header=BB138_6 Depth=1
	s_andn2_b64 vcc, exec, s[40:41]
	v_mov_b32_e32 v95, 0
	s_cbranch_vccnz .LBB138_5
; %bb.13:                               ;   in Loop: Header=BB138_6 Depth=1
	s_load_dword vcc_lo, s[36:37], 0x8
	v_mov_b32_e32 v95, 0
	v_mov_b32_e32 v92, 0
	s_waitcnt lgkmcnt(0)
	s_mul_hi_u32 s28, vcc_lo, s16
	s_add_i32 s28, vcc_lo, s28
	s_lshr_b32 vcc_hi, s28, s17
	s_cmp_ge_i32 vcc_hi, s13
	s_cbranch_scc1 .LBB138_5
; %bb.14:                               ;   in Loop: Header=BB138_6 Depth=1
	s_mul_i32 s28, vcc_hi, s18
	s_sub_i32 s28, vcc_lo, s28
	s_mul_i32 vcc_hi, vcc_hi, s20
	s_mul_i32 s28, s28, s9
	v_add_u32_e32 v92, vcc_hi, v88
	v_lshl_add_u32 v96, v92, 1, s28
	v_ashrrev_i32_e32 v97, 31, v96
	v_lshl_add_u64 v[96:97], v[96:97], 2, s[6:7]
	global_load_dwordx2 v[96:97], v[96:97], off
	s_waitcnt vmcnt(0)
	v_cvt_pk_bf16_f32 v92, v96, s0
	v_cvt_pk_bf16_f32 v95, v97, s0
	s_branch .LBB138_5
.LBB138_15:
	s_or_b64 exec, exec, s[4:5]
	v_readlane_b32 s24, v101, 4
	v_readlane_b32 s25, v101, 5
.LBB138_16:
	s_or_b64 exec, exec, s[30:31]
	v_lshl_add_u32 v16, v86, 2, 0
	v_mul_u32_u24_e32 v17, 0x608, v87
	v_and_b32_e32 v18, 0x3f0, v84
	v_add3_u32 v16, v16, v17, v18
	v_cmp_gt_u32_e32 vcc, 3, v85
	s_barrier
	ds_write2_b32 v16, v8, v9 offset1:1
	ds_write2_b32 v16, v10, v11 offset0:2 offset1:3
	ds_write2_b32 v16, v0, v1 offset0:16 offset1:17
	;; [unrolled: 1-line block ×7, first 2 shown]
	s_waitcnt lgkmcnt(0)
	s_barrier
	s_and_saveexec_b64 s[0:1], vcc
	s_cbranch_execz .LBB138_20
; %bb.17:
	s_cmp_gt_i32 s14, 0
	v_add_u32_e32 v0, s2, v85
	s_cselect_b64 s[0:1], -1, 0
	v_cmp_gt_i32_e32 vcc, s33, v0
	s_and_b64 s[0:1], s[0:1], vcc
	s_and_b64 exec, exec, s[0:1]
	s_cbranch_execz .LBB138_20
; %bb.18:
	s_lshl_b64 s[0:1], s[26:27], 2
	v_readlane_b32 s2, v101, 0
	v_readlane_b32 s3, v101, 1
	s_add_u32 s0, s2, s0
	s_addc_u32 s1, s3, s1
	v_ashrrev_i32_e32 v1, 31, v0
	v_lshl_add_u64 v[0:1], v[0:1], 2, s[0:1]
	global_load_dword v0, v[0:1], off
	s_waitcnt vmcnt(0)
	v_mul_hi_u32 v1, v0, s19
	v_add_u32_e32 v1, v0, v1
	v_lshrrev_b32_e32 v1, s24, v1
	v_cmp_gt_i32_e32 vcc, s13, v1
	s_and_b64 exec, exec, vcc
	s_cbranch_execz .LBB138_20
; %bb.19:
	v_lshlrev_b32_e32 v2, 2, v84
	v_mul_u32_u24_e32 v3, 0x608, v85
	v_add3_u32 v6, 0, v2, v3
	ds_read2st64_b32 v[2:3], v6 offset1:1
	ds_read2st64_b32 v[4:5], v6 offset0:2 offset1:3
	ds_read2st64_b32 v[6:7], v6 offset0:4 offset1:5
	v_add_u32_e32 v8, s11, v84
	v_readlane_b32 s0, v101, 2
	s_waitcnt lgkmcnt(2)
	v_add_f32_e32 v2, 0, v2
	v_add_f32_e32 v2, v2, v3
	v_mul_lo_u32 v3, v1, s25
	s_waitcnt lgkmcnt(1)
	v_add_f32_e32 v2, v2, v4
	v_sub_u32_e32 v0, v0, v3
	v_add_f32_e32 v2, v2, v5
	v_mul_lo_u32 v0, v0, s10
	v_mul_lo_u32 v1, v1, s21
	s_waitcnt lgkmcnt(0)
	v_add_f32_e32 v2, v2, v6
	v_add3_u32 v0, v8, v1, v0
	v_mov_b32_e32 v1, 0
	v_readlane_b32 s1, v101, 3
	v_add_f32_e32 v2, v2, v7
	s_nop 0
	v_lshl_add_u64 v[0:1], v[0:1], 2, s[0:1]
	global_store_dword v[0:1], v2, off
.LBB138_20:
	s_endpgm
	.section	.rodata,"a",@progbits
	.p2align	6, 0x0
	.amdhsa_kernel _ZL13mul_mat_f_idsI15__hip_bfloat162Li64ELi3ELi6EEvPKT_PKfPKiS7_S7_Pfiiiiiiiiiiiiii15HIP_vector_typeIjLj3EESA_
		.amdhsa_group_segment_fixed_size 0
		.amdhsa_private_segment_fixed_size 0
		.amdhsa_kernarg_size 128
		.amdhsa_user_sgpr_count 2
		.amdhsa_user_sgpr_dispatch_ptr 0
		.amdhsa_user_sgpr_queue_ptr 0
		.amdhsa_user_sgpr_kernarg_segment_ptr 1
		.amdhsa_user_sgpr_dispatch_id 0
		.amdhsa_user_sgpr_kernarg_preload_length 0
		.amdhsa_user_sgpr_kernarg_preload_offset 0
		.amdhsa_user_sgpr_private_segment_size 0
		.amdhsa_uses_dynamic_stack 0
		.amdhsa_enable_private_segment 0
		.amdhsa_system_sgpr_workgroup_id_x 1
		.amdhsa_system_sgpr_workgroup_id_y 1
		.amdhsa_system_sgpr_workgroup_id_z 1
		.amdhsa_system_sgpr_workgroup_info 0
		.amdhsa_system_vgpr_workitem_id 1
		.amdhsa_next_free_vgpr 102
		.amdhsa_next_free_sgpr 100
		.amdhsa_accum_offset 104
		.amdhsa_reserve_vcc 1
		.amdhsa_float_round_mode_32 0
		.amdhsa_float_round_mode_16_64 0
		.amdhsa_float_denorm_mode_32 3
		.amdhsa_float_denorm_mode_16_64 3
		.amdhsa_dx10_clamp 1
		.amdhsa_ieee_mode 1
		.amdhsa_fp16_overflow 0
		.amdhsa_tg_split 0
		.amdhsa_exception_fp_ieee_invalid_op 0
		.amdhsa_exception_fp_denorm_src 0
		.amdhsa_exception_fp_ieee_div_zero 0
		.amdhsa_exception_fp_ieee_overflow 0
		.amdhsa_exception_fp_ieee_underflow 0
		.amdhsa_exception_fp_ieee_inexact 0
		.amdhsa_exception_int_div_zero 0
	.end_amdhsa_kernel
	.section	.text._ZL13mul_mat_f_idsI15__hip_bfloat162Li64ELi3ELi6EEvPKT_PKfPKiS7_S7_Pfiiiiiiiiiiiiii15HIP_vector_typeIjLj3EESA_,"axG",@progbits,_ZL13mul_mat_f_idsI15__hip_bfloat162Li64ELi3ELi6EEvPKT_PKfPKiS7_S7_Pfiiiiiiiiiiiiii15HIP_vector_typeIjLj3EESA_,comdat
.Lfunc_end138:
	.size	_ZL13mul_mat_f_idsI15__hip_bfloat162Li64ELi3ELi6EEvPKT_PKfPKiS7_S7_Pfiiiiiiiiiiiiii15HIP_vector_typeIjLj3EESA_, .Lfunc_end138-_ZL13mul_mat_f_idsI15__hip_bfloat162Li64ELi3ELi6EEvPKT_PKfPKiS7_S7_Pfiiiiiiiiiiiiii15HIP_vector_typeIjLj3EESA_
                                        ; -- End function
	.set _ZL13mul_mat_f_idsI15__hip_bfloat162Li64ELi3ELi6EEvPKT_PKfPKiS7_S7_Pfiiiiiiiiiiiiii15HIP_vector_typeIjLj3EESA_.num_vgpr, 102
	.set _ZL13mul_mat_f_idsI15__hip_bfloat162Li64ELi3ELi6EEvPKT_PKfPKiS7_S7_Pfiiiiiiiiiiiiii15HIP_vector_typeIjLj3EESA_.num_agpr, 0
	.set _ZL13mul_mat_f_idsI15__hip_bfloat162Li64ELi3ELi6EEvPKT_PKfPKiS7_S7_Pfiiiiiiiiiiiiii15HIP_vector_typeIjLj3EESA_.numbered_sgpr, 100
	.set _ZL13mul_mat_f_idsI15__hip_bfloat162Li64ELi3ELi6EEvPKT_PKfPKiS7_S7_Pfiiiiiiiiiiiiii15HIP_vector_typeIjLj3EESA_.num_named_barrier, 0
	.set _ZL13mul_mat_f_idsI15__hip_bfloat162Li64ELi3ELi6EEvPKT_PKfPKiS7_S7_Pfiiiiiiiiiiiiii15HIP_vector_typeIjLj3EESA_.private_seg_size, 0
	.set _ZL13mul_mat_f_idsI15__hip_bfloat162Li64ELi3ELi6EEvPKT_PKfPKiS7_S7_Pfiiiiiiiiiiiiii15HIP_vector_typeIjLj3EESA_.uses_vcc, 1
	.set _ZL13mul_mat_f_idsI15__hip_bfloat162Li64ELi3ELi6EEvPKT_PKfPKiS7_S7_Pfiiiiiiiiiiiiii15HIP_vector_typeIjLj3EESA_.uses_flat_scratch, 0
	.set _ZL13mul_mat_f_idsI15__hip_bfloat162Li64ELi3ELi6EEvPKT_PKfPKiS7_S7_Pfiiiiiiiiiiiiii15HIP_vector_typeIjLj3EESA_.has_dyn_sized_stack, 0
	.set _ZL13mul_mat_f_idsI15__hip_bfloat162Li64ELi3ELi6EEvPKT_PKfPKiS7_S7_Pfiiiiiiiiiiiiii15HIP_vector_typeIjLj3EESA_.has_recursion, 0
	.set _ZL13mul_mat_f_idsI15__hip_bfloat162Li64ELi3ELi6EEvPKT_PKfPKiS7_S7_Pfiiiiiiiiiiiiii15HIP_vector_typeIjLj3EESA_.has_indirect_call, 0
	.section	.AMDGPU.csdata,"",@progbits
; Kernel info:
; codeLenInByte = 4672
; TotalNumSgprs: 106
; NumVgprs: 102
; NumAgprs: 0
; TotalNumVgprs: 102
; ScratchSize: 0
; MemoryBound: 0
; FloatMode: 240
; IeeeMode: 1
; LDSByteSize: 0 bytes/workgroup (compile time only)
; SGPRBlocks: 13
; VGPRBlocks: 12
; NumSGPRsForWavesPerEU: 106
; NumVGPRsForWavesPerEU: 102
; AccumOffset: 104
; Occupancy: 4
; WaveLimiterHint : 1
; COMPUTE_PGM_RSRC2:SCRATCH_EN: 0
; COMPUTE_PGM_RSRC2:USER_SGPR: 2
; COMPUTE_PGM_RSRC2:TRAP_HANDLER: 0
; COMPUTE_PGM_RSRC2:TGID_X_EN: 1
; COMPUTE_PGM_RSRC2:TGID_Y_EN: 1
; COMPUTE_PGM_RSRC2:TGID_Z_EN: 1
; COMPUTE_PGM_RSRC2:TIDIG_COMP_CNT: 1
; COMPUTE_PGM_RSRC3_GFX90A:ACCUM_OFFSET: 25
; COMPUTE_PGM_RSRC3_GFX90A:TG_SPLIT: 0
	.section	.text._ZL9mul_mat_fI15__hip_bfloat162Li64ELi3ELi6ELb1EEvPKT_PKfPKiPfiiiiiiiiiiiiiiii,"axG",@progbits,_ZL9mul_mat_fI15__hip_bfloat162Li64ELi3ELi6ELb1EEvPKT_PKfPKiPfiiiiiiiiiiiiiiii,comdat
	.globl	_ZL9mul_mat_fI15__hip_bfloat162Li64ELi3ELi6ELb1EEvPKT_PKfPKiPfiiiiiiiiiiiiiiii ; -- Begin function _ZL9mul_mat_fI15__hip_bfloat162Li64ELi3ELi6ELb1EEvPKT_PKfPKiPfiiiiiiiiiiiiiiii
	.p2align	8
	.type	_ZL9mul_mat_fI15__hip_bfloat162Li64ELi3ELi6ELb1EEvPKT_PKfPKiPfiiiiiiiiiiiiiiii,@function
_ZL9mul_mat_fI15__hip_bfloat162Li64ELi3ELi6ELb1EEvPKT_PKfPKiPfiiiiiiiiiiiiiiii: ; @_ZL9mul_mat_fI15__hip_bfloat162Li64ELi3ELi6ELb1EEvPKT_PKfPKiPfiiiiiiiiiiiiiiii
; %bb.0:
	s_load_dwordx8 s[12:19], s[0:1], 0x20
	v_and_b32_e32 v16, 0x3ff, v0
	v_bfe_u32 v17, v0, 10, 10
	s_waitcnt lgkmcnt(0)
	s_add_i32 s5, s13, 2
	s_mul_hi_i32 s5, s5, 0x55555556
	s_lshr_b32 s6, s5, 31
	s_add_i32 s5, s5, s6
	v_cvt_f32_u32_e32 v1, s5
	s_load_dwordx4 s[20:23], s[0:1], 0x44
	s_load_dword s6, s[0:1], 0x64
	s_add_u32 s30, s0, 0x60
	s_addc_u32 s31, s1, 0
	v_rcp_iflag_f32_e32 v1, v1
	s_sub_i32 s7, 0, s5
	s_waitcnt lgkmcnt(0)
	s_abs_i32 s33, s23
	v_mul_f32_e32 v1, 0x4f7ffffe, v1
	v_cvt_u32_f32_e32 v1, v1
	v_mul_lo_u32 v2, s7, v1
	v_mul_hi_u32 v2, v1, v2
	v_add_u32_e32 v1, v1, v2
	v_mul_hi_u32 v1, s6, v1
	v_mul_lo_u32 v2, v1, s5
	v_sub_u32_e32 v2, s6, v2
	v_add_u32_e32 v3, 1, v1
	v_subrev_u32_e32 v4, s5, v2
	v_cmp_le_u32_e32 vcc, s5, v2
	s_nop 1
	v_cndmask_b32_e32 v1, v1, v3, vcc
	v_cndmask_b32_e32 v2, v2, v4, vcc
	v_add_u32_e32 v3, 1, v1
	v_cmp_le_u32_e32 vcc, s5, v2
	v_cvt_f32_u32_e32 v4, s33
	s_sub_i32 s5, 0, s33
	v_cndmask_b32_e32 v2, v1, v3, vcc
	v_cvt_f32_u32_e32 v1, v2
	v_rcp_iflag_f32_e32 v3, v4
	v_sub_u32_e32 v5, 0, v2
	v_cmp_eq_u32_e32 vcc, 0, v16
	v_rcp_iflag_f32_e32 v4, v1
	v_mul_f32_e32 v1, 0x4f7ffffe, v3
	v_cvt_u32_f32_e32 v1, v1
	v_mul_f32_e32 v3, 0x4f7ffffe, v4
	v_cvt_u32_f32_e32 v3, v3
	v_mul_lo_u32 v4, s5, v1
	v_mul_hi_u32 v4, v1, v4
	v_mul_lo_u32 v5, v5, v3
	v_mul_hi_u32 v5, v3, v5
	v_add_u32_e32 v3, v3, v5
	v_mul_hi_u32 v3, s3, v3
	s_and_saveexec_b64 s[6:7], vcc
; %bb.1:
	v_mov_b32_e32 v5, 0x100
	v_lshl_add_u32 v5, v17, 2, v5
	v_mov_b32_e32 v6, -1
	ds_write_b32 v5, v6
; %bb.2:
	s_or_b64 exec, exec, s[6:7]
	v_add_u32_e32 v1, v1, v4
	v_mul_lo_u32 v4, v3, v2
	v_sub_u32_e32 v4, s3, v4
	v_add_u32_e32 v5, 1, v3
	v_sub_u32_e32 v6, v4, v2
	v_cmp_ge_u32_e32 vcc, v4, v2
	s_load_dwordx4 s[24:27], s[0:1], 0x54
	s_waitcnt lgkmcnt(0)
	s_abs_i32 s27, s4
	v_cndmask_b32_e32 v3, v3, v5, vcc
	v_cndmask_b32_e32 v4, v4, v6, vcc
	v_add_u32_e32 v5, 1, v3
	v_cmp_ge_u32_e32 vcc, v4, v2
	v_mov_b32_e32 v6, 0
	s_nop 0
	v_cndmask_b32_e32 v3, v3, v5, vcc
	v_mul_lo_u32 v2, v3, v2
	v_mul_lo_u32 v94, v3, 3
	v_sub_u32_e32 v18, s3, v2
	v_add_u32_e32 v2, v17, v94
	v_cmp_gt_i32_e64 s[8:9], s13, v2
	s_and_saveexec_b64 s[10:11], s[8:9]
	s_cbranch_execz .LBB139_10
; %bb.3:
	v_cmp_gt_i32_e32 vcc, s14, v16
	v_mov_b32_e32 v6, 0
	s_and_saveexec_b64 s[28:29], vcc
	s_cbranch_execz .LBB139_9
; %bb.4:
	s_load_dwordx2 s[6:7], s[0:1], 0x10
	v_mul_hi_i32 v3, v94, s19
	v_mul_lo_u32 v2, v94, s19
	v_mul_lo_u32 v4, v17, s19
	v_lshlrev_b64 v[2:3], 2, v[2:3]
	s_waitcnt lgkmcnt(0)
	v_lshl_add_u64 v[2:3], s[6:7], 0, v[2:3]
	v_ashrrev_i32_e32 v5, 31, v4
	v_lshl_add_u64 v[2:3], v[4:5], 2, v[2:3]
	v_mov_b32_e32 v4, 0x100
	v_lshl_add_u32 v7, v17, 2, v4
	v_mul_lo_u32 v4, v16, s18
	s_lshl_b32 s3, s18, 6
	v_mov_b32_e32 v6, 0
	s_mov_b64 s[18:19], 0
	v_mov_b32_e32 v8, v16
	s_branch .LBB139_6
.LBB139_5:                              ;   in Loop: Header=BB139_6 Depth=1
	s_or_b64 exec, exec, s[34:35]
	v_add_u32_e32 v8, 64, v8
	v_cmp_le_i32_e64 s[6:7], s14, v8
	s_xor_b64 s[34:35], vcc, -1
	s_or_b64 s[6:7], s[34:35], s[6:7]
	s_and_b64 s[6:7], exec, s[6:7]
	s_or_b64 s[18:19], s[6:7], s[18:19]
	v_add_u32_e32 v4, s3, v4
	s_andn2_b64 exec, exec, s[18:19]
	s_cbranch_execz .LBB139_8
.LBB139_6:                              ; =>This Inner Loop Header: Depth=1
	v_ashrrev_i32_e32 v5, 31, v4
	v_lshl_add_u64 v[10:11], v[4:5], 2, v[2:3]
	global_load_dword v5, v[10:11], off
	s_waitcnt vmcnt(0)
	v_cmp_ne_u32_e32 vcc, v5, v18
	v_cmp_eq_u32_e64 s[6:7], v5, v18
	s_and_saveexec_b64 s[34:35], s[6:7]
	s_cbranch_execz .LBB139_5
; %bb.7:                                ;   in Loop: Header=BB139_6 Depth=1
	v_mov_b32_e32 v6, 1
	ds_write_b32 v7, v8
	s_branch .LBB139_5
.LBB139_8:
	s_or_b64 exec, exec, s[18:19]
.LBB139_9:
	s_or_b64 exec, exec, s[28:29]
.LBB139_10:
	s_or_b64 exec, exec, s[10:11]
	s_load_dwordx2 s[18:19], s[30:31], 0xc
	s_load_dwordx2 s[28:29], s[0:1], 0x8
	;; [unrolled: 1-line block ×3, first 2 shown]
	v_mul_hi_u32 v19, s27, v1
	v_or_b32_dpp v1, v6, v6 row_shl:1 row_mask:0xf bank_mask:0xf bound_ctrl:1
	s_waitcnt lgkmcnt(0)
	s_lshr_b32 s6, s18, 16
	s_and_b32 s5, s18, 0xffff
	v_or_b32_dpp v1, v1, v1 row_shl:2 row_mask:0xf bank_mask:0xf bound_ctrl:1
	s_mul_i32 s7, s6, s5
	s_and_b32 s3, s19, 0xffff
	v_or_b32_dpp v1, v1, v1 row_shl:4 row_mask:0xf bank_mask:0xf bound_ctrl:1
	s_bfe_i32 s7, s7, 0x180000
	s_mul_i32 s3, s7, s3
	v_or_b32_dpp v1, v1, v1 row_shl:8 row_mask:0xf bank_mask:0xf bound_ctrl:1
	s_add_i32 s7, s3, 63
	s_bitcmp1_b32 exec_hi, 0
	v_mov_b32_dpp v2, v1 wave_shl:1 row_mask:0xf bank_mask:0xf bound_ctrl:1
	s_nop 1
	v_or_b32_dpp v1, v2, v1 row_mirror row_mask:0xf bank_mask:0xf bound_ctrl:1
	s_nop 0
	v_readlane_b32 s3, v1, 32
	s_cselect_b32 s3, s3, 0
	v_readlane_b32 s14, v1, 0
	s_or_b32 s3, s3, s14
	s_andn2_b32 s7, s7, 63
	s_cmp_lg_u32 s7, 64
	v_mov_b32_e32 v1, s3
	s_cbranch_scc0 .LBB139_17
; %bb.11:
	v_bfe_u32 v0, v0, 20, 10
	v_mbcnt_lo_u32_b32 v1, -1, 0
	v_mad_u32_u24 v0, v0, s6, v17
	v_mbcnt_hi_u32_b32 v2, -1, v1
	v_mad_u64_u32 v[0:1], s[6:7], v0, s5, v[16:17]
	v_lshrrev_b32_e32 v1, 6, v0
	v_or_b32_e32 v1, v2, v1
	v_cmp_eq_u32_e32 vcc, 0, v1
	s_and_saveexec_b64 s[6:7], vcc
; %bb.12:
	v_mov_b32_e32 v1, 0
	v_mov_b32_e32 v3, s3
	ds_write_b32 v1, v3
; %bb.13:
	s_or_b64 exec, exec, s[6:7]
	v_cmp_eq_u32_e32 vcc, 0, v2
	v_cmp_lt_u32_e64 s[6:7], 63, v0
	s_and_b64 s[18:19], s[6:7], vcc
	s_waitcnt lgkmcnt(0)
	s_barrier
	s_and_saveexec_b64 s[6:7], s[18:19]
	s_cbranch_execz .LBB139_16
; %bb.14:
	v_mbcnt_lo_u32_b32 v0, exec_lo, 0
	v_mbcnt_hi_u32_b32 v0, exec_hi, v0
	v_cmp_eq_u32_e32 vcc, 0, v0
	s_and_b64 exec, exec, vcc
; %bb.15:
	v_mov_b32_e32 v0, 0
	v_mov_b32_e32 v1, s3
	ds_or_b32 v0, v1
.LBB139_16:
	s_or_b64 exec, exec, s[6:7]
	v_mov_b32_e32 v0, 0
	s_waitcnt lgkmcnt(0)
	s_barrier
	ds_read_b32 v1, v0
	s_waitcnt lgkmcnt(0)
	s_barrier
.LBB139_17:
	s_load_dwordx2 s[0:1], s[0:1], 0x0
	v_cmp_ne_u32_e32 vcc, 0, v1
	s_ashr_i32 s3, s4, 31
	s_ashr_i32 s14, s23, 31
	s_cbranch_vccz .LBB139_39
; %bb.18:
	v_lshlrev_b32_e32 v95, 6, v17
	v_add_u32_e32 v97, v95, v16
	v_cmp_le_i32_e32 vcc, s12, v97
	v_and_b32_e32 v96, 15, v16
	s_and_saveexec_b64 s[6:7], vcc
	s_xor_b64 s[6:7], exec, s[6:7]
; %bb.19:
	v_and_b32_e32 v96, 15, v16
                                        ; implicit-def: $vgpr97
                                        ; implicit-def: $vgpr19
                                        ; implicit-def: $vgpr18
; %bb.20:
	s_or_saveexec_b64 s[18:19], s[6:7]
	v_mov_b32_e32 v11, 0
	s_lshl_b32 s5, s2, 6
	v_mov_b32_e32 v10, v11
	v_mov_b32_e32 v9, v11
	v_mov_b32_e32 v8, v11
	v_mov_b32_e32 v3, v11
	v_mov_b32_e32 v2, v11
	v_mov_b32_e32 v1, v11
	v_mov_b32_e32 v0, v11
	v_mov_b32_e32 v7, v11
	v_mov_b32_e32 v6, v11
	v_mov_b32_e32 v5, v11
	v_mov_b32_e32 v4, v11
	v_mov_b32_e32 v15, v11
	v_mov_b32_e32 v14, v11
	v_mov_b32_e32 v13, v11
	v_mov_b32_e32 v12, v11
	s_xor_b64 exec, exec, s[18:19]
	s_cbranch_execz .LBB139_36
; %bb.21:
	v_mul_lo_u32 v0, v19, s33
	v_sub_u32_e32 v0, s27, v0
	v_add_u32_e32 v1, 1, v19
	v_subrev_u32_e32 v2, s33, v0
	v_cmp_le_u32_e32 vcc, s33, v0
	s_xor_b32 s2, s3, s14
	s_movk_i32 s6, 0x1080
	v_cndmask_b32_e32 v1, v19, v1, vcc
	v_cndmask_b32_e32 v0, v0, v2, vcc
	v_add_u32_e32 v2, 1, v1
	v_cmp_le_u32_e32 vcc, s33, v0
	v_mov_b32_e32 v98, 0x100
	v_mad_u32_u24 v6, v17, s6, v98
	v_cndmask_b32_e32 v0, v1, v2, vcc
	v_xor_b32_e32 v0, s2, v0
	v_subrev_u32_e32 v0, s2, v0
	v_mul_hi_i32 v1, v0, s24
	v_mul_lo_u32 v0, v0, s24
	v_mul_lo_u32 v2, v18, s20
	v_ashrrev_i32_e32 v3, 31, v2
	s_mul_i32 s2, s15, s5
	v_lshlrev_b64 v[0:1], 2, v[0:1]
	s_waitcnt lgkmcnt(0)
	v_lshl_add_u64 v[4:5], s[0:1], 0, v[0:1]
	v_lshlrev_b64 v[2:3], 2, v[2:3]
	s_ashr_i32 s3, s2, 31
	s_mul_hi_i32 s7, s25, s4
	s_mul_i32 s6, s25, s4
	v_lshl_add_u64 v[4:5], v[4:5], 0, v[2:3]
	s_lshl_b64 s[2:3], s[2:3], 2
	s_lshl_b64 s[6:7], s[6:7], 2
	v_lshl_add_u64 v[18:19], v[4:5], 0, s[2:3]
	v_mul_hi_i32 v5, s16, v94
	v_mul_lo_u32 v4, s16, v94
	s_add_u32 s6, s28, s6
	v_lshlrev_b64 v[4:5], 3, v[4:5]
	s_addc_u32 s7, s29, s7
	v_lshl_add_u64 v[0:1], v[0:1], 0, s[2:3]
	v_lshl_add_u64 v[20:21], s[6:7], 0, v[4:5]
	v_lshrrev_b32_e32 v5, 1, v16
	v_lshl_add_u64 v[0:1], v[0:1], 0, v[2:3]
	v_mul_u32_u24_e32 v4, 0x108, v96
	v_and_b32_e32 v5, 0x1f8, v5
	v_add_u32_e32 v26, 1, v94
	v_add_u32_e32 v27, 2, v94
	s_ashr_i32 s7, s15, 31
	s_mov_b32 s6, s15
	v_lshl_add_u64 v[0:1], s[0:1], 0, v[0:1]
	v_lshlrev_b32_e32 v2, 1, v16
	v_lshlrev_b32_e32 v22, 2, v97
	v_mov_b32_e32 v23, 0
	v_lshl_add_u32 v99, v16, 2, v6
	v_add3_u32 v100, v6, v4, v5
	s_lshl_b32 s20, s16, 2
	s_add_i32 s23, s15, s15
	s_mul_i32 s27, s15, 3
	s_lshl_b32 s30, s15, 2
	s_mul_i32 s31, s15, 5
	s_mul_i32 s33, s15, 6
	s_mul_i32 s34, s15, 7
	s_lshl_b32 s35, s15, 3
	s_mul_i32 s36, s15, 9
	s_mul_i32 s37, s15, 10
	;; [unrolled: 1-line block ×7, first 2 shown]
	s_lshl_b32 s43, s15, 4
	s_mul_i32 s44, s15, 17
	s_mul_i32 s45, s15, 18
	;; [unrolled: 1-line block ×15, first 2 shown]
	s_lshl_b32 s59, s15, 5
	s_mul_i32 s60, s15, 33
	s_mul_i32 s61, s15, 34
	s_mul_i32 s62, s15, 35
	s_mul_i32 s63, s15, 36
	s_mul_i32 s64, s15, 37
	s_mul_i32 s65, s15, 38
	s_mul_i32 s66, s15, 39
	s_mul_i32 s67, s15, 40
	s_mul_i32 s68, s15, 41
	s_mul_i32 s69, s15, 42
	s_mul_i32 s70, s15, 43
	s_mul_i32 s71, s15, 44
	s_mul_i32 s72, s15, 45
	s_mul_i32 s73, s15, 46
	s_mul_i32 s74, s15, 47
	s_mul_i32 s75, s15, 48
	s_mul_i32 s76, s15, 49
	s_mul_i32 s77, s15, 50
	s_mul_i32 s78, s15, 51
	s_mul_i32 s79, s15, 52
	s_mul_i32 s80, s15, 53
	s_mul_i32 s81, s15, 54
	v_cmp_gt_i32_e64 s[2:3], s13, v94
	s_mul_i32 s82, s15, 55
	s_mul_i32 s83, s15, 56
	v_lshl_add_u32 v101, v17, 7, v2
	s_lshl_b64 s[24:25], s[6:7], 2
	v_lshl_add_u64 v[24:25], v[0:1], 0, v[22:23]
	v_mov_b32_e32 v12, 0
	v_mov_b32_e32 v13, v23
	;; [unrolled: 1-line block ×16, first 2 shown]
	s_mul_i32 s84, s15, 57
	s_mul_i32 s85, s15, 58
	s_mul_i32 s86, s15, 59
	s_mul_i32 s87, s15, 60
	s_mul_i32 s88, s15, 61
	s_mul_i32 s89, s15, 62
	s_mul_i32 s90, s15, 63
	s_lshl_b32 s16, s16, 1
	v_cmp_gt_i32_e64 s[0:1], s13, v26
	v_cmp_gt_i32_e64 s[6:7], s13, v27
	s_mov_b64 s[14:15], 0
	s_mov_b64 s[28:29], 0x600
	s_branch .LBB139_24
.LBB139_22:                             ;   in Loop: Header=BB139_24 Depth=1
	v_mul_lo_u32 v22, v22, s21
	v_add_u32_e32 v22, s20, v22
	v_add_u32_e32 v90, v22, v101
	v_ashrrev_i32_e32 v91, 31, v90
	v_lshl_add_u64 v[90:91], v[90:91], 2, v[20:21]
	global_load_dwordx2 v[90:91], v[90:91], off
.LBB139_23:                             ;   in Loop: Header=BB139_24 Depth=1
	s_waitcnt vmcnt(0)
	v_cvt_pk_bf16_f32 v22, v90, v91
	ds_write2_b32 v99, v22, v23 offset0:148 offset1:214
	v_add_u32_e32 v22, 0x400, v99
	ds_write2_b32 v22, v23, v23 offset0:24 offset1:90
	ds_write2_b32 v22, v23, v23 offset0:156 offset1:222
	v_add_u32_e32 v22, 0x800, v99
	ds_write2_b32 v22, v23, v23 offset0:32 offset1:98
	;; [unrolled: 3-line block ×3, first 2 shown]
	ds_write2_b32 v22, v23, v23 offset0:172 offset1:238
	ds_read2_b64 v[90:93], v100 offset0:8 offset1:12
	v_add_u32_e32 v97, 0x180, v97
	s_waitcnt lgkmcnt(0)
	v_mfma_f32_16x16x16_bf16 v[0:3], v[58:59], v[90:91], v[0:3]
	v_cmp_le_i32_e32 vcc, s12, v97
	v_add_u32_e32 v101, 0x300, v101
	v_lshl_add_u64 v[24:25], v[24:25], 0, s[28:29]
	v_mfma_f32_16x16x16_bf16 v[8:11], v[42:43], v[90:91], v[8:11]
	s_or_b64 s[14:15], vcc, s[14:15]
	v_mfma_f32_16x16x16_bf16 v[4:7], v[74:75], v[90:91], v[4:7]
	v_mfma_f32_16x16x16_bf16 v[12:15], v[88:89], v[90:91], v[12:15]
	v_mfma_f32_16x16x16_bf16 v[0:3], v[56:57], v[92:93], v[0:3]
	ds_read2_b64 v[56:59], v100 offset0:16 offset1:20
	v_mfma_f32_16x16x16_bf16 v[8:11], v[38:39], v[92:93], v[8:11]
	v_mfma_f32_16x16x16_bf16 v[4:7], v[72:73], v[92:93], v[4:7]
	v_mfma_f32_16x16x16_bf16 v[12:15], v[86:87], v[92:93], v[12:15]
	s_waitcnt lgkmcnt(0)
	v_mfma_f32_16x16x16_bf16 v[8:11], v[36:37], v[56:57], v[8:11]
	v_mfma_f32_16x16x16_bf16 v[0:3], v[52:53], v[56:57], v[0:3]
	v_mfma_f32_16x16x16_bf16 v[4:7], v[70:71], v[56:57], v[4:7]
	v_mfma_f32_16x16x16_bf16 v[12:15], v[84:85], v[56:57], v[12:15]
	v_mfma_f32_16x16x16_bf16 v[8:11], v[34:35], v[58:59], v[8:11]
	ds_read2_b64 v[34:37], v100 offset0:24 offset1:28
	v_mfma_f32_16x16x16_bf16 v[0:3], v[50:51], v[58:59], v[0:3]
	v_mfma_f32_16x16x16_bf16 v[4:7], v[68:69], v[58:59], v[4:7]
	v_mfma_f32_16x16x16_bf16 v[12:15], v[82:83], v[58:59], v[12:15]
	s_waitcnt lgkmcnt(0)
	v_mfma_f32_16x16x16_bf16 v[8:11], v[32:33], v[34:35], v[8:11]
	v_mfma_f32_16x16x16_bf16 v[0:3], v[48:49], v[34:35], v[0:3]
	;; [unrolled: 10-line block ×3, first 2 shown]
	v_mfma_f32_16x16x16_bf16 v[4:7], v[60:61], v[30:31], v[4:7]
	v_mfma_f32_16x16x16_bf16 v[12:15], v[76:77], v[30:31], v[12:15]
	;; [unrolled: 1-line block ×6, first 2 shown]
	s_andn2_b64 exec, exec, s[14:15]
	s_cbranch_execz .LBB139_35
.LBB139_24:                             ; =>This Inner Loop Header: Depth=1
	v_lshl_add_u64 v[26:27], v[24:25], 0, s[24:25]
	global_load_dword v22, v[24:25], off
	global_load_dword v52, v[26:27], off
	v_add_u32_e32 v26, s23, v97
	v_ashrrev_i32_e32 v27, 31, v26
	v_add_u32_e32 v28, s27, v97
	v_add_u32_e32 v30, s30, v97
	;; [unrolled: 1-line block ×5, first 2 shown]
	v_lshl_add_u64 v[26:27], v[26:27], 2, v[18:19]
	v_ashrrev_i32_e32 v29, 31, v28
	v_ashrrev_i32_e32 v31, 31, v30
	;; [unrolled: 1-line block ×5, first 2 shown]
	v_lshl_add_u64 v[28:29], v[28:29], 2, v[18:19]
	v_lshl_add_u64 v[30:31], v[30:31], 2, v[18:19]
	;; [unrolled: 1-line block ×5, first 2 shown]
	global_load_dword v53, v[26:27], off
	global_load_dword v54, v[28:29], off
	;; [unrolled: 1-line block ×6, first 2 shown]
	v_add_u32_e32 v26, s35, v97
	v_add_u32_e32 v44, s44, v97
	;; [unrolled: 1-line block ×10, first 2 shown]
	v_ashrrev_i32_e32 v27, 31, v26
	v_ashrrev_i32_e32 v45, 31, v44
	;; [unrolled: 1-line block ×10, first 2 shown]
	v_lshl_add_u64 v[26:27], v[26:27], 2, v[18:19]
	v_lshl_add_u64 v[44:45], v[44:45], 2, v[18:19]
	v_add_u32_e32 v46, s45, v97
	v_add_u32_e32 v48, s46, v97
	;; [unrolled: 1-line block ×3, first 2 shown]
	v_lshl_add_u64 v[28:29], v[28:29], 2, v[18:19]
	v_lshl_add_u64 v[30:31], v[30:31], 2, v[18:19]
	;; [unrolled: 1-line block ×8, first 2 shown]
	global_load_dword v59, v[26:27], off
	global_load_dword v60, v[28:29], off
	global_load_dword v61, v[30:31], off
	global_load_dword v62, v[32:33], off
	global_load_dword v63, v[34:35], off
	global_load_dword v64, v[36:37], off
	global_load_dword v65, v[38:39], off
	global_load_dword v66, v[40:41], off
	global_load_dword v67, v[42:43], off
	s_nop 0
	global_load_dword v44, v[44:45], off
	v_add_u32_e32 v26, s48, v97
	v_ashrrev_i32_e32 v47, 31, v46
	v_ashrrev_i32_e32 v49, 31, v48
	;; [unrolled: 1-line block ×4, first 2 shown]
	v_add_u32_e32 v28, s49, v97
	v_add_u32_e32 v30, s50, v97
	;; [unrolled: 1-line block ×4, first 2 shown]
	v_lshl_add_u64 v[46:47], v[46:47], 2, v[18:19]
	v_lshl_add_u64 v[48:49], v[48:49], 2, v[18:19]
	;; [unrolled: 1-line block ×4, first 2 shown]
	v_ashrrev_i32_e32 v29, 31, v28
	v_ashrrev_i32_e32 v31, 31, v30
	;; [unrolled: 1-line block ×4, first 2 shown]
	v_lshl_add_u64 v[28:29], v[28:29], 2, v[18:19]
	v_lshl_add_u64 v[30:31], v[30:31], 2, v[18:19]
	;; [unrolled: 1-line block ×4, first 2 shown]
	v_add_u32_e32 v36, s58, v97
	v_add_u32_e32 v38, s59, v97
	;; [unrolled: 1-line block ×3, first 2 shown]
	v_ashrrev_i32_e32 v37, 31, v36
	v_ashrrev_i32_e32 v39, 31, v38
	;; [unrolled: 1-line block ×3, first 2 shown]
	v_lshl_add_u64 v[36:37], v[36:37], 2, v[18:19]
	s_waitcnt vmcnt(17)
	ds_write_b32 v99, v22 offset:64
	s_waitcnt vmcnt(16)
	ds_write_b32 v99, v52 offset:328
	;; [unrolled: 2-line block ×8, first 2 shown]
	global_load_dword v22, v[46:47], off
	global_load_dword v45, v[48:49], off
	s_nop 0
	global_load_dword v46, v[50:51], off
	global_load_dword v47, v[26:27], off
	;; [unrolled: 1-line block ×4, first 2 shown]
	s_nop 0
	global_load_dword v50, v[32:33], off
	global_load_dword v51, v[34:35], off
	v_add_u32_e32 v26, s53, v97
	v_ashrrev_i32_e32 v27, 31, v26
	v_add_u32_e32 v28, s54, v97
	v_add_u32_e32 v30, s55, v97
	;; [unrolled: 1-line block ×4, first 2 shown]
	v_lshl_add_u64 v[26:27], v[26:27], 2, v[18:19]
	v_ashrrev_i32_e32 v29, 31, v28
	v_ashrrev_i32_e32 v31, 31, v30
	;; [unrolled: 1-line block ×4, first 2 shown]
	v_lshl_add_u64 v[28:29], v[28:29], 2, v[18:19]
	v_lshl_add_u64 v[30:31], v[30:31], 2, v[18:19]
	v_lshl_add_u64 v[32:33], v[32:33], 2, v[18:19]
	v_lshl_add_u64 v[34:35], v[34:35], 2, v[18:19]
	v_lshl_add_u64 v[38:39], v[38:39], 2, v[18:19]
	v_lshl_add_u64 v[40:41], v[40:41], 2, v[18:19]
	global_load_dword v52, v[26:27], off
	global_load_dword v53, v[28:29], off
	global_load_dword v54, v[30:31], off
	global_load_dword v55, v[32:33], off
	global_load_dword v56, v[34:35], off
	global_load_dword v57, v[36:37], off
	global_load_dword v68, v[38:39], off
	global_load_dword v69, v[40:41], off
	v_add_u32_e32 v26, s61, v97
	v_ashrrev_i32_e32 v27, 31, v26
	v_add_u32_e32 v28, s62, v97
	v_add_u32_e32 v30, s63, v97
	v_add_u32_e32 v32, s64, v97
	v_add_u32_e32 v34, s65, v97
	v_add_u32_e32 v36, s66, v97
	v_add_u32_e32 v38, s67, v97
	v_add_u32_e32 v40, s68, v97
	v_lshl_add_u64 v[26:27], v[26:27], 2, v[18:19]
	v_ashrrev_i32_e32 v29, 31, v28
	v_ashrrev_i32_e32 v31, 31, v30
	v_ashrrev_i32_e32 v33, 31, v32
	v_ashrrev_i32_e32 v35, 31, v34
	v_ashrrev_i32_e32 v37, 31, v36
	v_ashrrev_i32_e32 v39, 31, v38
	v_ashrrev_i32_e32 v41, 31, v40
	v_lshl_add_u64 v[28:29], v[28:29], 2, v[18:19]
	v_lshl_add_u64 v[30:31], v[30:31], 2, v[18:19]
	v_lshl_add_u64 v[32:33], v[32:33], 2, v[18:19]
	v_lshl_add_u64 v[34:35], v[34:35], 2, v[18:19]
	v_lshl_add_u64 v[36:37], v[36:37], 2, v[18:19]
	v_lshl_add_u64 v[38:39], v[38:39], 2, v[18:19]
	v_lshl_add_u64 v[40:41], v[40:41], 2, v[18:19]
	global_load_dword v70, v[26:27], off
	global_load_dword v71, v[28:29], off
	global_load_dword v72, v[30:31], off
	global_load_dword v73, v[32:33], off
	global_load_dword v74, v[34:35], off
	global_load_dword v75, v[36:37], off
	global_load_dword v76, v[38:39], off
	global_load_dword v77, v[40:41], off
	v_add_u32_e32 v26, s69, v97
	v_ashrrev_i32_e32 v27, 31, v26
	v_add_u32_e32 v28, s70, v97
	v_add_u32_e32 v30, s71, v97
	v_add_u32_e32 v32, s72, v97
	v_add_u32_e32 v34, s73, v97
	v_add_u32_e32 v36, s74, v97
	v_add_u32_e32 v38, s75, v97
	v_add_u32_e32 v40, s76, v97
	v_lshl_add_u64 v[26:27], v[26:27], 2, v[18:19]
	v_ashrrev_i32_e32 v29, 31, v28
	v_ashrrev_i32_e32 v31, 31, v30
	v_ashrrev_i32_e32 v33, 31, v32
	v_ashrrev_i32_e32 v35, 31, v34
	v_ashrrev_i32_e32 v37, 31, v36
	v_ashrrev_i32_e32 v39, 31, v38
	v_ashrrev_i32_e32 v41, 31, v40
	v_lshl_add_u64 v[28:29], v[28:29], 2, v[18:19]
	;; [unrolled: 32-line block ×3, first 2 shown]
	v_lshl_add_u64 v[30:31], v[30:31], 2, v[18:19]
	v_lshl_add_u64 v[32:33], v[32:33], 2, v[18:19]
	;; [unrolled: 1-line block ×6, first 2 shown]
	global_load_dword v86, v[26:27], off
	global_load_dword v87, v[28:29], off
	;; [unrolled: 1-line block ×8, first 2 shown]
	v_add_u32_e32 v26, s85, v97
	v_ashrrev_i32_e32 v27, 31, v26
	v_add_u32_e32 v28, s86, v97
	v_add_u32_e32 v30, s87, v97
	;; [unrolled: 1-line block ×5, first 2 shown]
	v_lshl_add_u64 v[26:27], v[26:27], 2, v[18:19]
	v_ashrrev_i32_e32 v29, 31, v28
	v_ashrrev_i32_e32 v31, 31, v30
	;; [unrolled: 1-line block ×5, first 2 shown]
	v_lshl_add_u64 v[28:29], v[28:29], 2, v[18:19]
	v_lshl_add_u64 v[30:31], v[30:31], 2, v[18:19]
	;; [unrolled: 1-line block ×5, first 2 shown]
	global_load_dword v102, v[26:27], off
	global_load_dword v103, v[28:29], off
	;; [unrolled: 1-line block ×6, first 2 shown]
	s_waitcnt vmcnt(55)
	ds_write_b32 v99, v59 offset:2176
	s_waitcnt vmcnt(54)
	ds_write_b32 v99, v60 offset:2440
	s_waitcnt vmcnt(53)
	ds_write_b32 v99, v61 offset:2704
	s_waitcnt vmcnt(52)
	ds_write_b32 v99, v62 offset:2968
	s_waitcnt vmcnt(51)
	ds_write_b32 v99, v63 offset:3232
	s_waitcnt vmcnt(50)
	ds_write_b32 v99, v64 offset:3496
	s_waitcnt vmcnt(49)
	ds_write_b32 v99, v65 offset:3760
	s_waitcnt vmcnt(48)
	ds_write_b32 v99, v66 offset:4024
	ds_read_b64 v[42:43], v100 offset:64
	ds_read_b64 v[38:39], v100 offset:96
	ds_read_b64 v[36:37], v100 offset:128
	ds_read_b64 v[34:35], v100 offset:160
	ds_read_b64 v[32:33], v100 offset:192
	ds_read_b64 v[30:31], v100 offset:224
	ds_read_b64 v[28:29], v100 offset:256
	ds_read_b64 v[26:27], v100 offset:288
	s_waitcnt vmcnt(47)
	ds_write_b32 v99, v67 offset:64
	s_waitcnt vmcnt(46)
	ds_write_b32 v99, v44 offset:328
	s_waitcnt vmcnt(45)
	ds_write_b32 v99, v22 offset:592
	s_waitcnt vmcnt(44)
	ds_write_b32 v99, v45 offset:856
	s_waitcnt vmcnt(43)
	ds_write_b32 v99, v46 offset:1120
	s_waitcnt vmcnt(42)
	ds_write_b32 v99, v47 offset:1384
	s_waitcnt vmcnt(41)
	ds_write_b32 v99, v48 offset:1648
	s_waitcnt vmcnt(40)
	ds_write_b32 v99, v49 offset:1912
	s_waitcnt vmcnt(39)
	ds_write_b32 v99, v50 offset:2176
	s_waitcnt vmcnt(38)
	ds_write_b32 v99, v51 offset:2440
	s_waitcnt vmcnt(37)
	ds_write_b32 v99, v52 offset:2704
	s_waitcnt vmcnt(36)
	ds_write_b32 v99, v53 offset:2968
	s_waitcnt vmcnt(35)
	ds_write_b32 v99, v54 offset:3232
	s_waitcnt vmcnt(34)
	ds_write_b32 v99, v55 offset:3496
	s_waitcnt vmcnt(33)
	ds_write_b32 v99, v56 offset:3760
	s_waitcnt vmcnt(32)
	ds_write_b32 v99, v57 offset:4024
	ds_read_b64 v[58:59], v100 offset:64
	ds_read_b64 v[56:57], v100 offset:96
	ds_read_b64 v[52:53], v100 offset:128
	ds_read_b64 v[50:51], v100 offset:160
	ds_read_b64 v[48:49], v100 offset:192
	ds_read_b64 v[46:47], v100 offset:224
	ds_read_b64 v[44:45], v100 offset:256
	ds_read_b64 v[40:41], v100 offset:288
	s_waitcnt vmcnt(31)
	ds_write_b32 v99, v68 offset:64
	s_waitcnt vmcnt(30)
	ds_write_b32 v99, v69 offset:328
	s_waitcnt vmcnt(29)
	ds_write_b32 v99, v70 offset:592
	s_waitcnt vmcnt(28)
	ds_write_b32 v99, v71 offset:856
	s_waitcnt vmcnt(27)
	ds_write_b32 v99, v72 offset:1120
	s_waitcnt vmcnt(26)
	ds_write_b32 v99, v73 offset:1384
	s_waitcnt vmcnt(25)
	ds_write_b32 v99, v74 offset:1648
	s_waitcnt vmcnt(24)
	ds_write_b32 v99, v75 offset:1912
	;; [unrolled: 40-line block ×3, first 2 shown]
	s_waitcnt vmcnt(7)
	ds_write_b32 v99, v92 offset:2176
	s_waitcnt vmcnt(6)
	ds_write_b32 v99, v93 offset:2440
	;; [unrolled: 2-line block ×8, first 2 shown]
	ds_read_b64 v[88:89], v100 offset:64
	ds_read_b64 v[86:87], v100 offset:96
	;; [unrolled: 1-line block ×8, first 2 shown]
	s_andn2_b64 vcc, exec, s[2:3]
	v_mov_b32_e32 v90, 0
	v_mov_b32_e32 v91, 0
	s_cbranch_vccnz .LBB139_28
; %bb.25:                               ;   in Loop: Header=BB139_24 Depth=1
	ds_read_b32 v22, v98
	s_waitcnt lgkmcnt(0)
	v_cmp_gt_i32_e32 vcc, 0, v22
	s_cbranch_vccnz .LBB139_27
; %bb.26:                               ;   in Loop: Header=BB139_24 Depth=1
	v_mul_lo_u32 v22, v22, s21
	v_add_u32_e32 v90, v101, v22
	v_ashrrev_i32_e32 v91, 31, v90
	v_lshl_add_u64 v[90:91], v[90:91], 2, v[20:21]
	global_load_dwordx2 v[90:91], v[90:91], off
	s_branch .LBB139_28
.LBB139_27:                             ;   in Loop: Header=BB139_24 Depth=1
	v_mov_b32_e32 v90, 0
	v_mov_b32_e32 v91, 0
.LBB139_28:                             ;   in Loop: Header=BB139_24 Depth=1
	s_waitcnt vmcnt(0)
	v_cvt_pk_bf16_f32 v22, v90, v91
	v_mov_b32_e32 v90, 0
	s_andn2_b64 vcc, exec, s[0:1]
	v_mov_b32_e32 v92, 0
	v_mov_b32_e32 v93, 0
	ds_write_b32 v99, v22 offset:64
	s_cbranch_vccnz .LBB139_32
; %bb.29:                               ;   in Loop: Header=BB139_24 Depth=1
	ds_read_b32 v22, v98 offset:4
	s_waitcnt lgkmcnt(0)
	v_cmp_gt_i32_e32 vcc, 0, v22
	s_cbranch_vccnz .LBB139_31
; %bb.30:                               ;   in Loop: Header=BB139_24 Depth=1
	v_mul_lo_u32 v22, v22, s21
	v_add_u32_e32 v22, s16, v22
	v_add_u32_e32 v92, v22, v101
	v_ashrrev_i32_e32 v93, 31, v92
	v_lshl_add_u64 v[92:93], v[92:93], 2, v[20:21]
	global_load_dwordx2 v[92:93], v[92:93], off
	s_branch .LBB139_32
.LBB139_31:                             ;   in Loop: Header=BB139_24 Depth=1
	v_mov_b32_e32 v92, 0
	v_mov_b32_e32 v93, 0
.LBB139_32:                             ;   in Loop: Header=BB139_24 Depth=1
	s_waitcnt vmcnt(0)
	v_cvt_pk_bf16_f32 v22, v92, v93
	s_andn2_b64 vcc, exec, s[6:7]
	v_mov_b32_e32 v91, 0
	ds_write_b32 v99, v22 offset:328
	s_cbranch_vccnz .LBB139_23
; %bb.33:                               ;   in Loop: Header=BB139_24 Depth=1
	ds_read_b32 v22, v98 offset:8
	s_waitcnt lgkmcnt(0)
	v_cmp_gt_i32_e32 vcc, 0, v22
	s_cbranch_vccz .LBB139_22
; %bb.34:                               ;   in Loop: Header=BB139_24 Depth=1
	v_mov_b32_e32 v90, 0
	v_mov_b32_e32 v91, 0
	s_branch .LBB139_23
.LBB139_35:
	s_or_b64 exec, exec, s[14:15]
.LBB139_36:
	s_or_b64 exec, exec, s[18:19]
	v_mov_b32_e32 v18, 0x100
	v_lshl_add_u32 v18, v95, 2, v18
	v_mul_u32_u24_e32 v19, 0x608, v96
	v_and_b32_e32 v20, 0x3f0, v16
	v_add3_u32 v19, v18, v19, v20
	v_cmp_gt_u32_e32 vcc, 3, v17
	s_waitcnt lgkmcnt(0)
	s_barrier
	ds_write2_b32 v19, v8, v9 offset0:16 offset1:17
	ds_write2_b32 v19, v10, v11 offset0:18 offset1:19
	;; [unrolled: 1-line block ×8, first 2 shown]
	s_waitcnt lgkmcnt(0)
	s_barrier
	s_and_saveexec_b64 s[0:1], vcc
	s_cbranch_execz .LBB139_39
; %bb.37:
	s_movk_i32 s0, 0xff04
	v_mad_i32_i24 v0, v17, s0, v18
	ds_read_b32 v0, v0
	s_waitcnt lgkmcnt(0)
	v_cmp_lt_i32_e32 vcc, -1, v0
	s_and_b64 s[0:1], vcc, s[8:9]
	s_and_b64 exec, exec, s[0:1]
	s_cbranch_execz .LBB139_39
; %bb.38:
	v_lshlrev_b32_e32 v4, 2, v16
	s_movk_i32 s2, 0x100
	v_mul_u32_u24_e32 v5, 0x608, v17
	v_add3_u32 v8, s2, v4, v5
	ds_read2_b32 v[4:5], v8 offset0:16 offset1:80
	ds_read2_b32 v[6:7], v8 offset0:144 offset1:208
	v_add_u32_e32 v8, 64, v8
	ds_read2st64_b32 v[8:9], v8 offset0:4 offset1:5
	s_mul_hi_i32 s1, s26, s4
	s_mul_i32 s0, s26, s4
	s_waitcnt lgkmcnt(2)
	v_add_f32_e32 v4, 0, v4
	s_lshl_b64 s[0:1], s[0:1], 2
	v_add_f32_e32 v4, v4, v5
	v_mul_hi_i32 v3, v94, s17
	v_mul_lo_u32 v2, v94, s17
	s_add_u32 s0, s10, s0
	s_waitcnt lgkmcnt(1)
	v_add_f32_e32 v4, v4, v6
	v_add_u32_e32 v1, s5, v16
	s_addc_u32 s1, s11, s1
	v_lshlrev_b64 v[2:3], 2, v[2:3]
	v_add_f32_e32 v4, v4, v7
	v_mul_lo_u32 v0, v0, s22
	v_mul_lo_u32 v5, v17, s17
	v_lshl_add_u64 v[2:3], s[0:1], 0, v[2:3]
	s_waitcnt lgkmcnt(0)
	v_add_f32_e32 v4, v4, v8
	v_add3_u32 v0, v1, v5, v0
	v_mov_b32_e32 v1, 0
	v_add_f32_e32 v4, v4, v9
	v_lshl_add_u64 v[0:1], v[0:1], 2, v[2:3]
	global_store_dword v[0:1], v4, off
.LBB139_39:
	s_endpgm
	.section	.rodata,"a",@progbits
	.p2align	6, 0x0
	.amdhsa_kernel _ZL9mul_mat_fI15__hip_bfloat162Li64ELi3ELi6ELb1EEvPKT_PKfPKiPfiiiiiiiiiiiiiiii
		.amdhsa_group_segment_fixed_size 256
		.amdhsa_private_segment_fixed_size 0
		.amdhsa_kernarg_size 352
		.amdhsa_user_sgpr_count 2
		.amdhsa_user_sgpr_dispatch_ptr 0
		.amdhsa_user_sgpr_queue_ptr 0
		.amdhsa_user_sgpr_kernarg_segment_ptr 1
		.amdhsa_user_sgpr_dispatch_id 0
		.amdhsa_user_sgpr_kernarg_preload_length 0
		.amdhsa_user_sgpr_kernarg_preload_offset 0
		.amdhsa_user_sgpr_private_segment_size 0
		.amdhsa_uses_dynamic_stack 0
		.amdhsa_enable_private_segment 0
		.amdhsa_system_sgpr_workgroup_id_x 1
		.amdhsa_system_sgpr_workgroup_id_y 1
		.amdhsa_system_sgpr_workgroup_id_z 1
		.amdhsa_system_sgpr_workgroup_info 0
		.amdhsa_system_vgpr_workitem_id 2
		.amdhsa_next_free_vgpr 108
		.amdhsa_next_free_sgpr 91
		.amdhsa_accum_offset 108
		.amdhsa_reserve_vcc 1
		.amdhsa_float_round_mode_32 0
		.amdhsa_float_round_mode_16_64 0
		.amdhsa_float_denorm_mode_32 3
		.amdhsa_float_denorm_mode_16_64 3
		.amdhsa_dx10_clamp 1
		.amdhsa_ieee_mode 1
		.amdhsa_fp16_overflow 0
		.amdhsa_tg_split 0
		.amdhsa_exception_fp_ieee_invalid_op 0
		.amdhsa_exception_fp_denorm_src 0
		.amdhsa_exception_fp_ieee_div_zero 0
		.amdhsa_exception_fp_ieee_overflow 0
		.amdhsa_exception_fp_ieee_underflow 0
		.amdhsa_exception_fp_ieee_inexact 0
		.amdhsa_exception_int_div_zero 0
	.end_amdhsa_kernel
	.section	.text._ZL9mul_mat_fI15__hip_bfloat162Li64ELi3ELi6ELb1EEvPKT_PKfPKiPfiiiiiiiiiiiiiiii,"axG",@progbits,_ZL9mul_mat_fI15__hip_bfloat162Li64ELi3ELi6ELb1EEvPKT_PKfPKiPfiiiiiiiiiiiiiiii,comdat
.Lfunc_end139:
	.size	_ZL9mul_mat_fI15__hip_bfloat162Li64ELi3ELi6ELb1EEvPKT_PKfPKiPfiiiiiiiiiiiiiiii, .Lfunc_end139-_ZL9mul_mat_fI15__hip_bfloat162Li64ELi3ELi6ELb1EEvPKT_PKfPKiPfiiiiiiiiiiiiiiii
                                        ; -- End function
	.set _ZL9mul_mat_fI15__hip_bfloat162Li64ELi3ELi6ELb1EEvPKT_PKfPKiPfiiiiiiiiiiiiiiii.num_vgpr, 108
	.set _ZL9mul_mat_fI15__hip_bfloat162Li64ELi3ELi6ELb1EEvPKT_PKfPKiPfiiiiiiiiiiiiiiii.num_agpr, 0
	.set _ZL9mul_mat_fI15__hip_bfloat162Li64ELi3ELi6ELb1EEvPKT_PKfPKiPfiiiiiiiiiiiiiiii.numbered_sgpr, 91
	.set _ZL9mul_mat_fI15__hip_bfloat162Li64ELi3ELi6ELb1EEvPKT_PKfPKiPfiiiiiiiiiiiiiiii.num_named_barrier, 0
	.set _ZL9mul_mat_fI15__hip_bfloat162Li64ELi3ELi6ELb1EEvPKT_PKfPKiPfiiiiiiiiiiiiiiii.private_seg_size, 0
	.set _ZL9mul_mat_fI15__hip_bfloat162Li64ELi3ELi6ELb1EEvPKT_PKfPKiPfiiiiiiiiiiiiiiii.uses_vcc, 1
	.set _ZL9mul_mat_fI15__hip_bfloat162Li64ELi3ELi6ELb1EEvPKT_PKfPKiPfiiiiiiiiiiiiiiii.uses_flat_scratch, 0
	.set _ZL9mul_mat_fI15__hip_bfloat162Li64ELi3ELi6ELb1EEvPKT_PKfPKiPfiiiiiiiiiiiiiiii.has_dyn_sized_stack, 0
	.set _ZL9mul_mat_fI15__hip_bfloat162Li64ELi3ELi6ELb1EEvPKT_PKfPKiPfiiiiiiiiiiiiiiii.has_recursion, 0
	.set _ZL9mul_mat_fI15__hip_bfloat162Li64ELi3ELi6ELb1EEvPKT_PKfPKiPfiiiiiiiiiiiiiiii.has_indirect_call, 0
	.section	.AMDGPU.csdata,"",@progbits
; Kernel info:
; codeLenInByte = 5480
; TotalNumSgprs: 97
; NumVgprs: 108
; NumAgprs: 0
; TotalNumVgprs: 108
; ScratchSize: 0
; MemoryBound: 0
; FloatMode: 240
; IeeeMode: 1
; LDSByteSize: 256 bytes/workgroup (compile time only)
; SGPRBlocks: 12
; VGPRBlocks: 13
; NumSGPRsForWavesPerEU: 97
; NumVGPRsForWavesPerEU: 108
; AccumOffset: 108
; Occupancy: 4
; WaveLimiterHint : 0
; COMPUTE_PGM_RSRC2:SCRATCH_EN: 0
; COMPUTE_PGM_RSRC2:USER_SGPR: 2
; COMPUTE_PGM_RSRC2:TRAP_HANDLER: 0
; COMPUTE_PGM_RSRC2:TGID_X_EN: 1
; COMPUTE_PGM_RSRC2:TGID_Y_EN: 1
; COMPUTE_PGM_RSRC2:TGID_Z_EN: 1
; COMPUTE_PGM_RSRC2:TIDIG_COMP_CNT: 2
; COMPUTE_PGM_RSRC3_GFX90A:ACCUM_OFFSET: 26
; COMPUTE_PGM_RSRC3_GFX90A:TG_SPLIT: 0
	.section	.text._ZL9mul_mat_fI15__hip_bfloat162Li64ELi3ELi6ELb0EEvPKT_PKfPKiPfiiiiiiiiiiiiiiii,"axG",@progbits,_ZL9mul_mat_fI15__hip_bfloat162Li64ELi3ELi6ELb0EEvPKT_PKfPKiPfiiiiiiiiiiiiiiii,comdat
	.globl	_ZL9mul_mat_fI15__hip_bfloat162Li64ELi3ELi6ELb0EEvPKT_PKfPKiPfiiiiiiiiiiiiiiii ; -- Begin function _ZL9mul_mat_fI15__hip_bfloat162Li64ELi3ELi6ELb0EEvPKT_PKfPKiPfiiiiiiiiiiiiiiii
	.p2align	8
	.type	_ZL9mul_mat_fI15__hip_bfloat162Li64ELi3ELi6ELb0EEvPKT_PKfPKiPfiiiiiiiiiiiiiiii,@function
_ZL9mul_mat_fI15__hip_bfloat162Li64ELi3ELi6ELb0EEvPKT_PKfPKiPfiiiiiiiiiiiiiiii: ; @_ZL9mul_mat_fI15__hip_bfloat162Li64ELi3ELi6ELb0EEvPKT_PKfPKiPfiiiiiiiiiiiiiiii
; %bb.0:
	s_load_dword s5, s[0:1], 0x20
	s_load_dwordx4 s[16:19], s[0:1], 0x2c
	v_bfe_u32 v84, v0, 10, 10
	v_lshlrev_b32_e32 v86, 6, v84
	v_and_b32_e32 v85, 0x3ff, v0
	v_add_u32_e32 v88, v86, v85
	s_waitcnt lgkmcnt(0)
	s_ashr_i32 s19, s4, 31
	v_cmp_le_i32_e32 vcc, s5, v88
	v_and_b32_e32 v87, 15, v85
	s_and_saveexec_b64 s[6:7], vcc
	s_xor_b64 s[6:7], exec, s[6:7]
; %bb.1:
	v_and_b32_e32 v87, 15, v85
                                        ; implicit-def: $vgpr88
; %bb.2:
	s_or_saveexec_b64 s[24:25], s[6:7]
	s_load_dwordx8 s[8:15], s[0:1], 0x40
	s_load_dwordx2 s[6:7], s[0:1], 0x18
	v_mov_b32_e32 v11, 0
	s_lshl_b32 s2, s2, 6
	v_lshlrev_b32_e32 v16, 2, v85
	v_mov_b32_e32 v10, v11
	v_mov_b32_e32 v9, v11
	;; [unrolled: 1-line block ×15, first 2 shown]
	s_xor_b64 exec, exec, s[24:25]
	s_cbranch_execz .LBB140_6
; %bb.3:
	s_waitcnt lgkmcnt(0)
	s_abs_i32 s26, s8
	v_cvt_f32_u32_e32 v0, s26
	s_abs_i32 s27, s12
	v_cvt_f32_u32_e32 v1, s27
	s_sub_i32 s20, 0, s26
	v_rcp_iflag_f32_e32 v0, v0
	s_abs_i32 s28, s3
	v_rcp_iflag_f32_e32 v1, v1
	s_sub_i32 s21, 0, s27
	v_mul_f32_e32 v0, 0x4f7ffffe, v0
	v_cvt_u32_f32_e32 v0, v0
	v_mul_f32_e32 v1, 0x4f7ffffe, v1
	v_cvt_u32_f32_e32 v1, v1
	s_abs_i32 s29, s4
	v_mul_lo_u32 v2, s20, v0
	v_mul_hi_u32 v2, v0, v2
	v_add_u32_e32 v0, v0, v2
	v_mul_hi_u32 v0, s28, v0
	v_mul_lo_u32 v3, s21, v1
	v_mul_lo_u32 v2, v0, s26
	v_mul_hi_u32 v3, v1, v3
	v_sub_u32_e32 v2, s28, v2
	v_add_u32_e32 v1, v1, v3
	v_add_u32_e32 v3, 1, v0
	v_subrev_u32_e32 v4, s26, v2
	v_cmp_le_u32_e32 vcc, s26, v2
	s_load_dwordx4 s[20:23], s[0:1], 0x0
	s_ashr_i32 s0, s3, 31
	v_cndmask_b32_e32 v0, v0, v3, vcc
	v_cndmask_b32_e32 v2, v2, v4, vcc
	s_ashr_i32 s1, s8, 31
	v_add_u32_e32 v3, 1, v0
	v_cmp_le_u32_e32 vcc, s26, v2
	s_xor_b32 s0, s0, s1
	v_mul_hi_u32 v1, s29, v1
	v_cndmask_b32_e32 v0, v0, v3, vcc
	v_xor_b32_e32 v0, s0, v0
	v_subrev_u32_e32 v2, s0, v0
	v_mul_lo_u32 v0, v1, s27
	v_sub_u32_e32 v0, s29, v0
	v_add_u32_e32 v3, 1, v1
	v_subrev_u32_e32 v4, s27, v0
	v_cmp_le_u32_e32 vcc, s27, v0
	s_ashr_i32 s8, s12, 31
	s_xor_b32 s0, s19, s8
	v_cndmask_b32_e32 v1, v1, v3, vcc
	v_cndmask_b32_e32 v0, v0, v4, vcc
	v_add_u32_e32 v3, 1, v1
	v_cmp_le_u32_e32 vcc, s27, v0
	v_mul_lo_u32 v2, v2, s9
	s_mul_hi_i32 s9, s14, s4
	v_cndmask_b32_e32 v0, v1, v3, vcc
	v_xor_b32_e32 v0, s0, v0
	s_mul_i32 s8, s14, s4
	v_subrev_u32_e32 v0, s0, v0
	s_lshl_b64 s[26:27], s[8:9], 2
	v_mul_hi_i32 v1, v0, s13
	v_mul_lo_u32 v0, v0, s13
	s_mul_i32 s0, s16, s2
	s_waitcnt lgkmcnt(0)
	s_add_u32 s8, s22, s26
	v_ashrrev_i32_e32 v3, 31, v2
	v_lshlrev_b64 v[0:1], 2, v[0:1]
	s_mul_i32 s12, s10, s3
	s_addc_u32 s9, s23, s27
	s_ashr_i32 s1, s0, 31
	v_lshl_add_u64 v[4:5], s[20:21], 0, v[0:1]
	v_lshlrev_b64 v[2:3], 2, v[2:3]
	s_lshl_b64 s[74:75], s[0:1], 2
	s_ashr_i32 s13, s12, 31
	v_lshl_add_u64 v[4:5], v[4:5], 0, v[2:3]
	s_lshl_b64 s[28:29], s[12:13], 2
	v_lshl_add_u64 v[2:3], v[2:3], 0, s[74:75]
	s_add_u32 s0, s8, s28
	s_movk_i32 s8, 0x1080
	v_mov_b32_e32 v21, 0
	v_lshlrev_b32_e32 v20, 8, v84
	v_lshl_add_u64 v[0:1], v[2:3], 0, v[0:1]
	v_lshl_add_u64 v[18:19], v[4:5], 0, s[74:75]
	s_addc_u32 s1, s9, s29
	v_mad_u32_u24 v4, v84, s8, 0
	s_ashr_i32 s9, s16, 31
	s_mov_b32 s8, s16
	s_ashr_i32 s13, s17, 31
	s_mov_b32 s12, s17
	v_lshl_add_u64 v[0:1], v[0:1], 0, v[20:21]
	v_mov_b32_e32 v17, v21
	s_add_i32 s10, s16, s16
	s_add_i32 s14, s17, s17
	s_lshl_b32 s30, s16, 2
	s_lshl_b32 s35, s16, 3
	;; [unrolled: 1-line block ×4, first 2 shown]
	s_lshl_b64 s[8:9], s[8:9], 2
	s_lshl_b64 s[12:13], s[12:13], 3
	v_lshl_add_u64 v[0:1], v[0:1], 0, v[16:17]
	v_lshlrev_b32_e32 v20, 9, v84
	v_lshrrev_b32_e32 v6, 1, v85
	s_add_u32 s22, s22, s28
	v_lshl_add_u64 v[22:23], s[20:21], 0, v[0:1]
	v_lshl_add_u64 v[0:1], s[26:27], 0, v[20:21]
	v_lshlrev_b32_e32 v20, 3, v85
	v_mul_u32_u24_e32 v5, 0x108, v87
	v_and_b32_e32 v6, 0x1f8, v6
	s_addc_u32 s23, s23, s29
	v_lshl_add_u64 v[0:1], v[0:1], 0, v[20:21]
	v_add_u32_e32 v89, v4, v16
	v_add3_u32 v90, v4, v5, v6
	s_mul_i32 s19, s16, 3
	s_mul_i32 s31, s16, 5
	;; [unrolled: 1-line block ×47, first 2 shown]
	v_lshl_add_u64 v[24:25], s[22:23], 0, v[0:1]
	s_mul_i32 s77, s16, 54
	s_mul_i32 s78, s16, 55
	v_mov_b32_e32 v12, 0
	v_mov_b32_e32 v13, v21
	;; [unrolled: 1-line block ×16, first 2 shown]
	s_mul_i32 s79, s16, 56
	s_mul_i32 s80, s16, 57
	;; [unrolled: 1-line block ×8, first 2 shown]
	s_mov_b64 s[16:17], 0
	s_mov_b64 s[20:21], 0x600
	;; [unrolled: 1-line block ×3, first 2 shown]
.LBB140_4:                              ; =>This Inner Loop Header: Depth=1
	v_add_u32_e32 v82, s10, v88
	v_add_u32_e32 v74, s19, v88
	;; [unrolled: 1-line block ×8, first 2 shown]
	v_lshl_add_u64 v[80:81], v[22:23], 0, s[8:9]
	v_add_u32_e32 v78, s30, v88
	v_add_u32_e32 v68, s33, v88
	;; [unrolled: 1-line block ×7, first 2 shown]
	v_ashrrev_i32_e32 v83, 31, v82
	v_ashrrev_i32_e32 v75, 31, v74
	v_ashrrev_i32_e32 v63, 31, v62
	v_ashrrev_i32_e32 v49, 31, v48
	v_ashrrev_i32_e32 v41, 31, v40
	v_ashrrev_i32_e32 v33, 31, v32
	v_ashrrev_i32_e32 v31, 31, v30
	v_ashrrev_i32_e32 v35, 31, v34
	v_add_u32_e32 v28, s44, v88
	v_add_u32_e32 v44, s45, v88
	global_load_dword v91, v[80:81], off
	v_lshl_add_u64 v[80:81], v[82:83], 2, v[18:19]
	v_ashrrev_i32_e32 v79, 31, v78
	v_lshl_add_u64 v[74:75], v[74:75], 2, v[18:19]
	v_ashrrev_i32_e32 v69, 31, v68
	;; [unrolled: 2-line block ×5, first 2 shown]
	v_lshl_add_u64 v[32:33], v[32:33], 2, v[18:19]
	v_lshl_add_u64 v[30:31], v[30:31], 2, v[18:19]
	;; [unrolled: 1-line block ×3, first 2 shown]
	v_ashrrev_i32_e32 v27, 31, v26
	v_ashrrev_i32_e32 v39, 31, v38
	v_add_u32_e32 v36, s46, v88
	v_add_u32_e32 v52, s47, v88
	global_load_dword v82, v[80:81], off
	v_lshl_add_u64 v[92:93], v[78:79], 2, v[18:19]
	global_load_dword v78, v[74:75], off
	global_load_dword v79, v[92:93], off
	v_lshl_add_u64 v[68:69], v[68:69], 2, v[18:19]
	global_load_dword v62, v[62:63], off
	s_nop 0
	global_load_dword v63, v[68:69], off
	v_lshl_add_u64 v[56:57], v[56:57], 2, v[18:19]
	global_load_dword v48, v[48:49], off
	s_nop 0
	;; [unrolled: 4-line block ×4, first 2 shown]
	global_load_dword v32, v[42:43], off
	s_nop 0
	global_load_dword v30, v[30:31], off
	s_nop 0
	global_load_dword v31, v[34:35], off
	v_lshl_add_u64 v[26:27], v[26:27], 2, v[18:19]
	v_lshl_add_u64 v[34:35], v[38:39], 2, v[18:19]
	v_ashrrev_i32_e32 v29, 31, v28
	v_ashrrev_i32_e32 v45, 31, v44
	v_add_u32_e32 v46, s48, v88
	v_add_u32_e32 v58, s49, v88
	global_load_dword v27, v[26:27], off
	s_nop 0
	global_load_dword v26, v[34:35], off
	v_lshl_add_u64 v[28:29], v[28:29], 2, v[18:19]
	v_lshl_add_u64 v[34:35], v[44:45], 2, v[18:19]
	v_ashrrev_i32_e32 v37, 31, v36
	v_ashrrev_i32_e32 v53, 31, v52
	v_add_u32_e32 v54, s50, v88
	v_add_u32_e32 v64, s51, v88
	global_load_dword v28, v[28:29], off
	s_nop 0
	global_load_dword v29, v[34:35], off
	v_lshl_add_u64 v[34:35], v[36:37], 2, v[18:19]
	v_lshl_add_u64 v[36:37], v[52:53], 2, v[18:19]
	v_ashrrev_i32_e32 v47, 31, v46
	v_ashrrev_i32_e32 v59, 31, v58
	v_add_u32_e32 v60, s52, v88
	v_add_u32_e32 v70, s53, v88
	global_load_dword v33, v[34:35], off
	s_nop 0
	global_load_dword v34, v[36:37], off
	v_lshl_add_u64 v[36:37], v[46:47], 2, v[18:19]
	v_lshl_add_u64 v[38:39], v[58:59], 2, v[18:19]
	v_ashrrev_i32_e32 v55, 31, v54
	v_ashrrev_i32_e32 v65, 31, v64
	v_add_u32_e32 v66, s54, v88
	v_add_u32_e32 v76, s55, v88
	global_load_dword v35, v[36:37], off
	s_nop 0
	global_load_dword v36, v[38:39], off
	v_lshl_add_u64 v[38:39], v[54:55], 2, v[18:19]
	v_lshl_add_u64 v[42:43], v[64:65], 2, v[18:19]
	v_ashrrev_i32_e32 v61, 31, v60
	v_ashrrev_i32_e32 v71, 31, v70
	v_add_u32_e32 v72, s56, v88
	v_add_u32_e32 v80, s57, v88
	global_load_dword v37, v[38:39], off
	s_nop 0
	global_load_dword v38, v[42:43], off
	v_lshl_add_u64 v[42:43], v[60:61], 2, v[18:19]
	v_lshl_add_u64 v[44:45], v[70:71], 2, v[18:19]
	v_ashrrev_i32_e32 v67, 31, v66
	v_ashrrev_i32_e32 v77, 31, v76
	v_add_u32_e32 v74, s58, v88
	v_add_u32_e32 v68, s59, v88
	global_load_dword v39, v[42:43], off
	global_load_dword v41, v[44:45], off
	v_lshl_add_u64 v[42:43], v[66:67], 2, v[18:19]
	v_lshl_add_u64 v[44:45], v[76:77], 2, v[18:19]
	v_ashrrev_i32_e32 v73, 31, v72
	v_ashrrev_i32_e32 v81, 31, v80
	v_add_u32_e32 v56, s60, v88
	v_add_u32_e32 v50, s61, v88
	global_load_dword v42, v[42:43], off
	s_nop 0
	global_load_dword v43, v[44:45], off
	v_lshl_add_u64 v[44:45], v[72:73], 2, v[18:19]
	v_lshl_add_u64 v[46:47], v[80:81], 2, v[18:19]
	v_ashrrev_i32_e32 v75, 31, v74
	v_ashrrev_i32_e32 v69, 31, v68
	v_add_u32_e32 v92, s62, v88
	v_add_u32_e32 v94, s63, v88
	global_load_dword v44, v[44:45], off
	s_nop 0
	;; [unrolled: 9-line block ×3, first 2 shown]
	global_load_dword v46, v[52:53], off
	v_lshl_add_u64 v[52:53], v[56:57], 2, v[18:19]
	v_lshl_add_u64 v[54:55], v[50:51], 2, v[18:19]
	v_ashrrev_i32_e32 v93, 31, v92
	v_ashrrev_i32_e32 v95, 31, v94
	v_add_u32_e32 v100, s66, v88
	v_add_u32_e32 v58, s67, v88
	;; [unrolled: 1-line block ×3, first 2 shown]
	global_load_dword v50, v[52:53], off
	global_load_dword v51, v[54:55], off
	v_lshl_add_u64 v[52:53], v[92:93], 2, v[18:19]
	v_lshl_add_u64 v[54:55], v[94:95], 2, v[18:19]
	v_ashrrev_i32_e32 v97, 31, v96
	v_ashrrev_i32_e32 v99, 31, v98
	v_add_u32_e32 v60, s69, v88
	v_add_u32_e32 v66, s70, v88
	;; [unrolled: 1-line block ×3, first 2 shown]
	global_load_dword v52, v[52:53], off
	s_nop 0
	global_load_dword v53, v[54:55], off
	v_lshl_add_u64 v[54:55], v[96:97], 2, v[18:19]
	v_lshl_add_u64 v[56:57], v[98:99], 2, v[18:19]
	v_ashrrev_i32_e32 v101, 31, v100
	v_ashrrev_i32_e32 v59, 31, v58
	;; [unrolled: 1-line block ×3, first 2 shown]
	v_add_u32_e32 v68, s72, v88
	v_add_u32_e32 v72, s28, v88
	global_load_dword v54, v[54:55], off
	s_nop 0
	global_load_dword v55, v[56:57], off
	v_lshl_add_u64 v[56:57], v[100:101], 2, v[18:19]
	v_lshl_add_u64 v[58:59], v[58:59], 2, v[18:19]
	v_ashrrev_i32_e32 v61, 31, v60
	v_lshl_add_u64 v[64:65], v[64:65], 2, v[18:19]
	v_ashrrev_i32_e32 v67, 31, v66
	v_ashrrev_i32_e32 v71, 31, v70
	v_add_u32_e32 v74, s29, v88
	global_load_dword v56, v[56:57], off
	s_nop 0
	global_load_dword v57, v[58:59], off
	v_add_u32_e32 v58, s74, v88
	v_lshl_add_u64 v[60:61], v[60:61], 2, v[18:19]
	global_load_dword v80, v[64:65], off
	global_load_dword v81, v[60:61], off
	v_lshl_add_u64 v[64:65], v[66:67], 2, v[18:19]
	v_lshl_add_u64 v[66:67], v[70:71], 2, v[18:19]
	v_ashrrev_i32_e32 v69, 31, v68
	v_ashrrev_i32_e32 v73, 31, v72
	v_add_u32_e32 v76, s73, v88
	v_add_u32_e32 v60, s75, v88
	global_load_dword v83, v[64:65], off
	global_load_dword v92, v[66:67], off
	v_lshl_add_u64 v[66:67], v[68:69], 2, v[18:19]
	v_lshl_add_u64 v[68:69], v[72:73], 2, v[18:19]
	v_ashrrev_i32_e32 v75, 31, v74
	v_ashrrev_i32_e32 v59, 31, v58
	v_add_u32_e32 v64, s76, v88
	global_load_dword v72, v[66:67], off
	global_load_dword v73, v[68:69], off
	v_add_u32_e32 v66, s26, v88
	v_ashrrev_i32_e32 v77, 31, v76
	v_lshl_add_u64 v[68:69], v[74:75], 2, v[18:19]
	v_ashrrev_i32_e32 v61, 31, v60
	v_lshl_add_u64 v[58:59], v[58:59], 2, v[18:19]
	v_lshl_add_u64 v[70:71], v[76:77], 2, v[18:19]
	global_load_dword v74, v[68:69], off
	global_load_dword v75, v[70:71], off
	v_add_u32_e32 v68, s27, v88
	v_lshl_add_u64 v[60:61], v[60:61], 2, v[18:19]
	global_load_dword v76, v[58:59], off
	global_load_dword v77, v[60:61], off
	v_add_u32_e32 v58, s77, v88
	v_ashrrev_i32_e32 v65, 31, v64
	v_ashrrev_i32_e32 v67, 31, v66
	v_lshl_add_u64 v[60:61], v[64:65], 2, v[18:19]
	v_lshl_add_u64 v[64:65], v[66:67], 2, v[18:19]
	v_ashrrev_i32_e32 v69, 31, v68
	v_ashrrev_i32_e32 v59, 31, v58
	global_load_dword v93, v[60:61], off
	global_load_dword v94, v[64:65], off
	v_lshl_add_u64 v[64:65], v[68:69], 2, v[18:19]
	v_lshl_add_u64 v[58:59], v[58:59], 2, v[18:19]
	v_add_u32_e32 v60, s78, v88
	global_load_dword v95, v[64:65], off
	global_load_dword v96, v[58:59], off
	v_add_u32_e32 v58, s79, v88
	v_ashrrev_i32_e32 v61, 31, v60
	v_ashrrev_i32_e32 v59, 31, v58
	v_lshl_add_u64 v[60:61], v[60:61], 2, v[18:19]
	v_lshl_add_u64 v[58:59], v[58:59], 2, v[18:19]
	global_load_dword v97, v[60:61], off
	global_load_dword v98, v[58:59], off
	v_add_u32_e32 v58, s80, v88
	v_ashrrev_i32_e32 v59, 31, v58
	v_lshl_add_u64 v[58:59], v[58:59], 2, v[18:19]
	global_load_dword v99, v[58:59], off
	v_add_u32_e32 v58, s81, v88
	v_ashrrev_i32_e32 v59, 31, v58
	v_lshl_add_u64 v[58:59], v[58:59], 2, v[18:19]
	;; [unrolled: 4-line block ×7, first 2 shown]
	global_load_dword v105, v[58:59], off
	s_nop 0
	global_load_dword v58, v[22:23], off
	s_waitcnt vmcnt(62)
	ds_write_b32 v89, v91 offset:264
	v_lshl_add_u64 v[22:23], v[22:23], 0, s[20:21]
	s_waitcnt vmcnt(0)
	ds_write_b32 v89, v58
	global_load_dwordx2 v[58:59], v[24:25], off
	s_waitcnt vmcnt(0)
	v_cvt_pk_bf16_f32 v106, v58, v59
	v_lshl_add_u64 v[58:59], v[24:25], 0, s[12:13]
	global_load_dwordx2 v[58:59], v[58:59], off
	ds_write_b32 v89, v82 offset:528
	ds_write_b32 v89, v78 offset:792
	;; [unrolled: 1-line block ×8, first 2 shown]
	v_add_u32_e32 v48, s14, v88
	v_ashrrev_i32_e32 v49, 31, v48
	v_lshl_add_u64 v[48:49], v[48:49], 3, s[0:1]
	global_load_dwordx2 v[48:49], v[48:49], off
	ds_write_b32 v89, v17 offset:2640
	ds_write_b32 v89, v20 offset:2904
	ds_write_b32 v89, v32 offset:3168
	ds_write_b32 v89, v30 offset:3432
	ds_write_b32 v89, v31 offset:3696
	ds_write_b32 v89, v27 offset:3960
	v_add_u32_e32 v88, 0x180, v88
	v_cmp_le_i32_e32 vcc, s5, v88
	s_or_b64 s[16:17], vcc, s[16:17]
	v_lshl_add_u64 v[24:25], v[24:25], 0, s[22:23]
	s_waitcnt vmcnt(1)
	v_cvt_pk_bf16_f32 v91, v58, v59
	s_waitcnt vmcnt(0)
	v_cvt_pk_bf16_f32 v17, v48, v49
	ds_read_b64 v[30:31], v90
	ds_read_b64 v[48:49], v90 offset:32
	ds_read_b64 v[58:59], v90 offset:64
	ds_read_b64 v[60:61], v90 offset:96
	ds_read_b64 v[62:63], v90 offset:128
	ds_read_b64 v[64:65], v90 offset:160
	ds_read_b64 v[66:67], v90 offset:192
	ds_read_b64 v[68:69], v90 offset:224
	ds_write_b32 v89, v26
	ds_write_b32 v89, v28 offset:264
	ds_write_b32 v89, v29 offset:528
	ds_write_b32 v89, v33 offset:792
	ds_write_b32 v89, v34 offset:1056
	ds_write_b32 v89, v35 offset:1320
	ds_write_b32 v89, v36 offset:1584
	ds_write_b32 v89, v37 offset:1848
	ds_write_b32 v89, v38 offset:2112
	ds_write_b32 v89, v39 offset:2376
	ds_write_b32 v89, v41 offset:2640
	ds_write_b32 v89, v42 offset:2904
	ds_write_b32 v89, v43 offset:3168
	ds_write_b32 v89, v44 offset:3432
	ds_write_b32 v89, v45 offset:3696
	ds_write_b32 v89, v47 offset:3960
	ds_read_b64 v[26:27], v90
	ds_read_b64 v[28:29], v90 offset:32
	ds_read_b64 v[32:33], v90 offset:64
	ds_read_b64 v[34:35], v90 offset:96
	ds_read_b64 v[36:37], v90 offset:128
	ds_read_b64 v[38:39], v90 offset:160
	ds_read_b64 v[40:41], v90 offset:192
	ds_read_b64 v[42:43], v90 offset:224
	ds_write_b32 v89, v46
	ds_write_b32 v89, v50 offset:264
	ds_write_b32 v89, v51 offset:528
	ds_write_b32 v89, v52 offset:792
	ds_write_b32 v89, v53 offset:1056
	ds_write_b32 v89, v54 offset:1320
	ds_write_b32 v89, v55 offset:1584
	ds_write_b32 v89, v56 offset:1848
	ds_write_b32 v89, v57 offset:2112
	ds_write_b32 v89, v80 offset:2376
	ds_write_b32 v89, v81 offset:2640
	ds_write_b32 v89, v83 offset:2904
	ds_write_b32 v89, v92 offset:3168
	ds_write_b32 v89, v72 offset:3432
	ds_write_b32 v89, v73 offset:3696
	ds_write_b32 v89, v74 offset:3960
	;; [unrolled: 24-line block ×4, first 2 shown]
	ds_read_b64 v[98:99], v90
	s_waitcnt lgkmcnt(0)
	v_mfma_f32_16x16x16_bf16 v[4:7], v[26:27], v[98:99], v[4:7]
	ds_read_b64 v[26:27], v90 offset:32
	v_mfma_f32_16x16x16_bf16 v[8:11], v[30:31], v[98:99], v[8:11]
	v_mfma_f32_16x16x16_bf16 v[0:3], v[44:45], v[98:99], v[0:3]
	;; [unrolled: 1-line block ×3, first 2 shown]
	s_waitcnt lgkmcnt(0)
	v_mfma_f32_16x16x16_bf16 v[8:11], v[48:49], v[26:27], v[8:11]
	v_mfma_f32_16x16x16_bf16 v[4:7], v[28:29], v[26:27], v[4:7]
	v_mfma_f32_16x16x16_bf16 v[0:3], v[46:47], v[26:27], v[0:3]
	v_mfma_f32_16x16x16_bf16 v[12:15], v[76:77], v[26:27], v[12:15]
	ds_read_b64 v[26:27], v90 offset:64
	s_waitcnt lgkmcnt(0)
	v_mfma_f32_16x16x16_bf16 v[8:11], v[58:59], v[26:27], v[8:11]
	v_mfma_f32_16x16x16_bf16 v[4:7], v[32:33], v[26:27], v[4:7]
	v_mfma_f32_16x16x16_bf16 v[0:3], v[50:51], v[26:27], v[0:3]
	v_mfma_f32_16x16x16_bf16 v[12:15], v[78:79], v[26:27], v[12:15]
	ds_read_b64 v[26:27], v90 offset:96
	;; [unrolled: 6-line block ×6, first 2 shown]
	s_waitcnt lgkmcnt(0)
	v_mfma_f32_16x16x16_bf16 v[8:11], v[68:69], v[26:27], v[8:11]
	v_mfma_f32_16x16x16_bf16 v[4:7], v[42:43], v[26:27], v[4:7]
	;; [unrolled: 1-line block ×4, first 2 shown]
	s_andn2_b64 exec, exec, s[16:17]
	s_cbranch_execnz .LBB140_4
; %bb.5:
	s_or_b64 exec, exec, s[16:17]
.LBB140_6:
	s_or_b64 exec, exec, s[24:25]
	v_lshl_add_u32 v17, v86, 2, 0
	v_mul_u32_u24_e32 v18, 0x608, v87
	v_and_b32_e32 v19, 0x3f0, v85
	v_add3_u32 v17, v17, v18, v19
	v_cmp_gt_u32_e32 vcc, 3, v84
	s_waitcnt lgkmcnt(0)
	s_barrier
	ds_write2_b32 v17, v8, v9 offset1:1
	ds_write2_b32 v17, v10, v11 offset0:2 offset1:3
	ds_write2_b32 v17, v4, v5 offset0:16 offset1:17
	;; [unrolled: 1-line block ×7, first 2 shown]
	s_waitcnt lgkmcnt(0)
	s_barrier
	s_and_saveexec_b64 s[0:1], vcc
	s_cbranch_execz .LBB140_8
; %bb.7:
	v_mul_u32_u24_e32 v0, 0x608, v84
	v_add3_u32 v4, 0, v16, v0
	ds_read2st64_b32 v[0:1], v4 offset1:1
	ds_read2st64_b32 v[2:3], v4 offset0:2 offset1:3
	ds_read2st64_b32 v[4:5], v4 offset0:4 offset1:5
	s_mul_hi_i32 s1, s15, s4
	s_mul_i32 s0, s15, s4
	s_waitcnt lgkmcnt(2)
	v_add_f32_e32 v0, 0, v0
	s_lshl_b64 s[0:1], s[0:1], 2
	v_add_f32_e32 v0, v0, v1
	s_mul_i32 s4, s11, s3
	s_add_u32 s3, s6, s0
	s_waitcnt lgkmcnt(1)
	v_add_f32_e32 v0, v0, v2
	s_addc_u32 s6, s7, s1
	s_ashr_i32 s5, s4, 31
	v_add_f32_e32 v0, v0, v3
	s_lshl_b64 s[0:1], s[4:5], 2
	s_waitcnt lgkmcnt(0)
	v_add_f32_e32 v0, v0, v4
	s_add_u32 s0, s3, s0
	v_add_f32_e32 v2, v0, v5
	v_mul_lo_u32 v0, v84, s18
	s_addc_u32 s1, s6, s1
	v_add3_u32 v0, s2, v85, v0
	v_mov_b32_e32 v1, 0
	v_lshl_add_u64 v[0:1], v[0:1], 2, s[0:1]
	global_store_dword v[0:1], v2, off
.LBB140_8:
	s_endpgm
	.section	.rodata,"a",@progbits
	.p2align	6, 0x0
	.amdhsa_kernel _ZL9mul_mat_fI15__hip_bfloat162Li64ELi3ELi6ELb0EEvPKT_PKfPKiPfiiiiiiiiiiiiiiii
		.amdhsa_group_segment_fixed_size 0
		.amdhsa_private_segment_fixed_size 0
		.amdhsa_kernarg_size 96
		.amdhsa_user_sgpr_count 2
		.amdhsa_user_sgpr_dispatch_ptr 0
		.amdhsa_user_sgpr_queue_ptr 0
		.amdhsa_user_sgpr_kernarg_segment_ptr 1
		.amdhsa_user_sgpr_dispatch_id 0
		.amdhsa_user_sgpr_kernarg_preload_length 0
		.amdhsa_user_sgpr_kernarg_preload_offset 0
		.amdhsa_user_sgpr_private_segment_size 0
		.amdhsa_uses_dynamic_stack 0
		.amdhsa_enable_private_segment 0
		.amdhsa_system_sgpr_workgroup_id_x 1
		.amdhsa_system_sgpr_workgroup_id_y 1
		.amdhsa_system_sgpr_workgroup_id_z 1
		.amdhsa_system_sgpr_workgroup_info 0
		.amdhsa_system_vgpr_workitem_id 1
		.amdhsa_next_free_vgpr 107
		.amdhsa_next_free_sgpr 87
		.amdhsa_accum_offset 108
		.amdhsa_reserve_vcc 1
		.amdhsa_float_round_mode_32 0
		.amdhsa_float_round_mode_16_64 0
		.amdhsa_float_denorm_mode_32 3
		.amdhsa_float_denorm_mode_16_64 3
		.amdhsa_dx10_clamp 1
		.amdhsa_ieee_mode 1
		.amdhsa_fp16_overflow 0
		.amdhsa_tg_split 0
		.amdhsa_exception_fp_ieee_invalid_op 0
		.amdhsa_exception_fp_denorm_src 0
		.amdhsa_exception_fp_ieee_div_zero 0
		.amdhsa_exception_fp_ieee_overflow 0
		.amdhsa_exception_fp_ieee_underflow 0
		.amdhsa_exception_fp_ieee_inexact 0
		.amdhsa_exception_int_div_zero 0
	.end_amdhsa_kernel
	.section	.text._ZL9mul_mat_fI15__hip_bfloat162Li64ELi3ELi6ELb0EEvPKT_PKfPKiPfiiiiiiiiiiiiiiii,"axG",@progbits,_ZL9mul_mat_fI15__hip_bfloat162Li64ELi3ELi6ELb0EEvPKT_PKfPKiPfiiiiiiiiiiiiiiii,comdat
.Lfunc_end140:
	.size	_ZL9mul_mat_fI15__hip_bfloat162Li64ELi3ELi6ELb0EEvPKT_PKfPKiPfiiiiiiiiiiiiiiii, .Lfunc_end140-_ZL9mul_mat_fI15__hip_bfloat162Li64ELi3ELi6ELb0EEvPKT_PKfPKiPfiiiiiiiiiiiiiiii
                                        ; -- End function
	.set _ZL9mul_mat_fI15__hip_bfloat162Li64ELi3ELi6ELb0EEvPKT_PKfPKiPfiiiiiiiiiiiiiiii.num_vgpr, 107
	.set _ZL9mul_mat_fI15__hip_bfloat162Li64ELi3ELi6ELb0EEvPKT_PKfPKiPfiiiiiiiiiiiiiiii.num_agpr, 0
	.set _ZL9mul_mat_fI15__hip_bfloat162Li64ELi3ELi6ELb0EEvPKT_PKfPKiPfiiiiiiiiiiiiiiii.numbered_sgpr, 87
	.set _ZL9mul_mat_fI15__hip_bfloat162Li64ELi3ELi6ELb0EEvPKT_PKfPKiPfiiiiiiiiiiiiiiii.num_named_barrier, 0
	.set _ZL9mul_mat_fI15__hip_bfloat162Li64ELi3ELi6ELb0EEvPKT_PKfPKiPfiiiiiiiiiiiiiiii.private_seg_size, 0
	.set _ZL9mul_mat_fI15__hip_bfloat162Li64ELi3ELi6ELb0EEvPKT_PKfPKiPfiiiiiiiiiiiiiiii.uses_vcc, 1
	.set _ZL9mul_mat_fI15__hip_bfloat162Li64ELi3ELi6ELb0EEvPKT_PKfPKiPfiiiiiiiiiiiiiiii.uses_flat_scratch, 0
	.set _ZL9mul_mat_fI15__hip_bfloat162Li64ELi3ELi6ELb0EEvPKT_PKfPKiPfiiiiiiiiiiiiiiii.has_dyn_sized_stack, 0
	.set _ZL9mul_mat_fI15__hip_bfloat162Li64ELi3ELi6ELb0EEvPKT_PKfPKiPfiiiiiiiiiiiiiiii.has_recursion, 0
	.set _ZL9mul_mat_fI15__hip_bfloat162Li64ELi3ELi6ELb0EEvPKT_PKfPKiPfiiiiiiiiiiiiiiii.has_indirect_call, 0
	.section	.AMDGPU.csdata,"",@progbits
; Kernel info:
; codeLenInByte = 4296
; TotalNumSgprs: 93
; NumVgprs: 107
; NumAgprs: 0
; TotalNumVgprs: 107
; ScratchSize: 0
; MemoryBound: 0
; FloatMode: 240
; IeeeMode: 1
; LDSByteSize: 0 bytes/workgroup (compile time only)
; SGPRBlocks: 11
; VGPRBlocks: 13
; NumSGPRsForWavesPerEU: 93
; NumVGPRsForWavesPerEU: 107
; AccumOffset: 108
; Occupancy: 4
; WaveLimiterHint : 0
; COMPUTE_PGM_RSRC2:SCRATCH_EN: 0
; COMPUTE_PGM_RSRC2:USER_SGPR: 2
; COMPUTE_PGM_RSRC2:TRAP_HANDLER: 0
; COMPUTE_PGM_RSRC2:TGID_X_EN: 1
; COMPUTE_PGM_RSRC2:TGID_Y_EN: 1
; COMPUTE_PGM_RSRC2:TGID_Z_EN: 1
; COMPUTE_PGM_RSRC2:TIDIG_COMP_CNT: 1
; COMPUTE_PGM_RSRC3_GFX90A:ACCUM_OFFSET: 26
; COMPUTE_PGM_RSRC3_GFX90A:TG_SPLIT: 0
	.section	.text._ZL13mul_mat_f_idsI15__hip_bfloat162Li64ELi3ELi7EEvPKT_PKfPKiS7_S7_Pfiiiiiiiiiiiiii15HIP_vector_typeIjLj3EESA_,"axG",@progbits,_ZL13mul_mat_f_idsI15__hip_bfloat162Li64ELi3ELi7EEvPKT_PKfPKiS7_S7_Pfiiiiiiiiiiiiii15HIP_vector_typeIjLj3EESA_,comdat
	.globl	_ZL13mul_mat_f_idsI15__hip_bfloat162Li64ELi3ELi7EEvPKT_PKfPKiS7_S7_Pfiiiiiiiiiiiiii15HIP_vector_typeIjLj3EESA_ ; -- Begin function _ZL13mul_mat_f_idsI15__hip_bfloat162Li64ELi3ELi7EEvPKT_PKfPKiS7_S7_Pfiiiiiiiiiiiiii15HIP_vector_typeIjLj3EESA_
	.p2align	8
	.type	_ZL13mul_mat_f_idsI15__hip_bfloat162Li64ELi3ELi7EEvPKT_PKfPKiS7_S7_Pfiiiiiiiiiiiiii15HIP_vector_typeIjLj3EESA_,@function
_ZL13mul_mat_f_idsI15__hip_bfloat162Li64ELi3ELi7EEvPKT_PKfPKiS7_S7_Pfiiiiiiiiiiiiii15HIP_vector_typeIjLj3EESA_: ; @_ZL13mul_mat_f_idsI15__hip_bfloat162Li64ELi3ELi7EEvPKT_PKfPKiS7_S7_Pfiiiiiiiiiiiiii15HIP_vector_typeIjLj3EESA_
; %bb.0:
	s_load_dwordx2 s[6:7], s[0:1], 0x20
	s_mov_b32 s34, s3
	s_ashr_i32 s35, s3, 31
	s_lshl_b64 s[8:9], s[34:35], 2
	s_waitcnt lgkmcnt(0)
	s_add_u32 s6, s6, s8
	s_addc_u32 s7, s7, s9
	s_load_dwordx2 s[26:27], s[6:7], 0x0
	s_waitcnt lgkmcnt(0)
	s_sub_i32 s33, s27, s26
	s_add_i32 s3, s33, 2
	s_mul_hi_i32 s3, s3, 0x55555556
	s_lshr_b32 s5, s3, 31
	s_add_i32 s3, s3, s5
	s_cmp_ge_i32 s4, s3
	s_cbranch_scc1 .LBB141_20
; %bb.1:
	v_bfe_u32 v85, v0, 10, 10
	v_lshlrev_b32_e32 v86, 6, v85
	v_and_b32_e32 v84, 0x3ff, v0
	s_load_dwordx4 s[12:15], s[0:1], 0x30
	s_load_dwordx2 s[20:21], s[0:1], 0x40
	s_load_dwordx4 s[8:11], s[0:1], 0x4c
	s_load_dwordx4 s[16:19], s[0:1], 0x68
	s_load_dwordx2 s[24:25], s[0:1], 0x78
	v_add_u32_e32 v88, v86, v84
	s_ashr_i32 s27, s26, 31
	s_waitcnt lgkmcnt(0)
	v_cmp_le_i32_e32 vcc, s12, v88
	v_and_b32_e32 v87, 15, v84
	s_and_saveexec_b64 s[6:7], vcc
	s_xor_b64 s[6:7], exec, s[6:7]
; %bb.2:
	v_and_b32_e32 v87, 15, v84
                                        ; implicit-def: $vgpr88
; %bb.3:
	s_or_saveexec_b64 s[30:31], s[6:7]
	s_load_dwordx2 s[6:7], s[0:1], 0x18
                                        ; implicit-def: $vgpr101 : SGPR spill to VGPR lane
	v_mov_b32_e32 v15, 0
	s_lshl_b32 s11, s2, 6
	s_mul_i32 s2, s4, 3
	v_mov_b32_e32 v14, v15
	s_waitcnt lgkmcnt(0)
	v_writelane_b32 v101, s6, 0
	v_mov_b32_e32 v13, v15
	v_mov_b32_e32 v12, v15
	v_writelane_b32 v101, s7, 1
	s_load_dwordx2 s[6:7], s[0:1], 0x28
	v_mov_b32_e32 v7, v15
	v_mov_b32_e32 v6, v15
	;; [unrolled: 1-line block ×4, first 2 shown]
	s_waitcnt lgkmcnt(0)
	v_writelane_b32 v101, s6, 2
	v_mov_b32_e32 v3, v15
	v_mov_b32_e32 v2, v15
	;; [unrolled: 1-line block ×8, first 2 shown]
	v_writelane_b32 v101, s7, 3
	s_xor_b64 exec, exec, s[30:31]
	s_cbranch_execz .LBB141_16
; %bb.4:
	s_load_dwordx4 s[4:7], s[0:1], 0x0
	s_load_dwordx2 s[22:23], s[0:1], 0x10
	s_mul_i32 s0, s8, s34
	s_ashr_i32 s1, s0, 31
	v_writelane_b32 v101, s24, 4
	s_lshl_b64 s[44:45], s[0:1], 2
	s_waitcnt lgkmcnt(0)
	s_add_u32 s0, s4, s44
	v_writelane_b32 v101, s25, 5
	s_mul_i32 s24, s15, s11
	s_addc_u32 s1, s5, s45
	s_ashr_i32 s25, s24, 31
	s_lshl_b64 s[46:47], s[24:25], 2
	s_add_u32 s0, s0, s46
	s_addc_u32 s1, s1, s47
	s_lshl_b64 s[24:25], s[26:27], 2
	s_add_u32 s8, s22, s24
	s_addc_u32 s24, s23, s25
	s_movk_i32 s3, 0x1080
	s_cmp_lt_i32 s2, s33
	v_mad_u32_u24 v1, v85, s3, 0
	s_cselect_b64 s[34:35], -1, 0
	s_ashr_i32 s3, s2, 31
	s_lshl_b64 s[22:23], s[2:3], 2
	s_add_u32 s36, s8, s22
	s_addc_u32 s37, s24, s23
	s_add_i32 s3, s2, 1
	s_cmp_lt_i32 s3, s33
	s_cselect_b64 s[38:39], -1, 0
	s_add_i32 s3, s2, 2
	s_cmp_lt_i32 s3, s33
	s_cselect_b64 s[40:41], -1, 0
	s_ashr_i32 s23, s15, 31
	s_mov_b32 s22, s15
	s_add_i32 s3, s15, s15
	s_lshl_b32 s48, s15, 2
	s_lshl_b32 s52, s15, 3
	;; [unrolled: 1-line block ×4, first 2 shown]
	s_lshl_b64 s[42:43], s[22:23], 2
	v_lshrrev_b32_e32 v3, 1, v84
	s_add_u32 s22, s44, s46
	v_mov_b32_e32 v17, 0
	v_lshlrev_b32_e32 v0, 2, v84
	v_mul_u32_u24_e32 v2, 0x108, v87
	v_and_b32_e32 v3, 0x1f8, v3
	s_addc_u32 s23, s45, s47
	v_lshlrev_b32_e32 v16, 8, v85
	v_add_u32_e32 v89, v1, v0
	v_add3_u32 v90, v1, v2, v3
	v_lshl_add_u64 v[2:3], s[22:23], 0, v[16:17]
	v_mov_b32_e32 v1, v17
	v_lshl_add_u64 v[0:1], v[2:3], 0, v[0:1]
	s_mul_i32 s8, s15, 3
	s_mul_i32 s49, s15, 5
	;; [unrolled: 1-line block ×43, first 2 shown]
	v_lshl_add_u64 v[18:19], s[4:5], 0, v[0:1]
	v_mov_b32_e32 v8, 0
	v_mov_b32_e32 v9, v17
	;; [unrolled: 1-line block ×16, first 2 shown]
	s_mul_i32 s90, s15, 50
	s_mul_i32 s91, s15, 51
	;; [unrolled: 1-line block ×14, first 2 shown]
	s_mov_b32 s23, 0x5040100
	s_mov_b64 s[4:5], 0
	s_branch .LBB141_6
.LBB141_5:                              ;   in Loop: Header=BB141_6 Depth=1
	v_perm_b32 v16, v16, v91, s23
	v_perm_b32 v91, v93, v94, s23
	ds_write2_b32 v89, v16, v91 offset1:66
	v_perm_b32 v16, v95, v92, s23
	ds_write2_b32 v89, v16, v17 offset0:132 offset1:198
	v_add_u32_e32 v16, 0x400, v89
	ds_write2_b32 v16, v17, v17 offset0:8 offset1:74
	ds_write2_b32 v16, v17, v17 offset0:140 offset1:206
	v_add_u32_e32 v16, 0x800, v89
	ds_write2_b32 v16, v17, v17 offset0:16 offset1:82
	;; [unrolled: 3-line block ×3, first 2 shown]
	ds_write2_b32 v16, v17, v17 offset0:156 offset1:222
	ds_read2_b64 v[92:95], v90 offset1:4
	s_waitcnt lgkmcnt(0)
	v_mfma_f32_16x16x16_bf16 v[0:3], v[52:53], v[92:93], v[0:3]
	v_add_u32_e32 v88, 0x1c0, v88
	s_mov_b64 vcc, 0x700
	v_lshl_add_u64 v[18:19], v[18:19], 0, vcc
	v_mfma_f32_16x16x16_bf16 v[8:11], v[36:37], v[92:93], v[8:11]
	v_cmp_le_i32_e32 vcc, s12, v88
	s_or_b64 s[4:5], vcc, s[4:5]
	v_mfma_f32_16x16x16_bf16 v[4:7], v[68:69], v[92:93], v[4:7]
	v_mfma_f32_16x16x16_bf16 v[12:15], v[82:83], v[92:93], v[12:15]
	v_mfma_f32_16x16x16_bf16 v[0:3], v[50:51], v[94:95], v[0:3]
	ds_read2_b64 v[50:53], v90 offset0:8 offset1:12
	v_mfma_f32_16x16x16_bf16 v[8:11], v[32:33], v[94:95], v[8:11]
	v_mfma_f32_16x16x16_bf16 v[4:7], v[66:67], v[94:95], v[4:7]
	v_mfma_f32_16x16x16_bf16 v[12:15], v[80:81], v[94:95], v[12:15]
	s_waitcnt lgkmcnt(0)
	v_mfma_f32_16x16x16_bf16 v[8:11], v[30:31], v[50:51], v[8:11]
	v_mfma_f32_16x16x16_bf16 v[0:3], v[46:47], v[50:51], v[0:3]
	v_mfma_f32_16x16x16_bf16 v[4:7], v[64:65], v[50:51], v[4:7]
	v_mfma_f32_16x16x16_bf16 v[12:15], v[76:77], v[50:51], v[12:15]
	v_mfma_f32_16x16x16_bf16 v[8:11], v[28:29], v[52:53], v[8:11]
	ds_read2_b64 v[28:31], v90 offset0:16 offset1:20
	v_mfma_f32_16x16x16_bf16 v[0:3], v[44:45], v[52:53], v[0:3]
	v_mfma_f32_16x16x16_bf16 v[4:7], v[62:63], v[52:53], v[4:7]
	v_mfma_f32_16x16x16_bf16 v[12:15], v[72:73], v[52:53], v[12:15]
	s_waitcnt lgkmcnt(0)
	v_mfma_f32_16x16x16_bf16 v[8:11], v[26:27], v[28:29], v[8:11]
	v_mfma_f32_16x16x16_bf16 v[0:3], v[42:43], v[28:29], v[0:3]
	v_mfma_f32_16x16x16_bf16 v[4:7], v[60:61], v[28:29], v[4:7]
	v_mfma_f32_16x16x16_bf16 v[12:15], v[78:79], v[28:29], v[12:15]
	v_mfma_f32_16x16x16_bf16 v[8:11], v[24:25], v[30:31], v[8:11]
	ds_read2_b64 v[24:27], v90 offset0:24 offset1:28
	v_mfma_f32_16x16x16_bf16 v[0:3], v[40:41], v[30:31], v[0:3]
	v_mfma_f32_16x16x16_bf16 v[4:7], v[56:57], v[30:31], v[4:7]
	v_mfma_f32_16x16x16_bf16 v[12:15], v[74:75], v[30:31], v[12:15]
	s_waitcnt lgkmcnt(0)
	v_mfma_f32_16x16x16_bf16 v[8:11], v[22:23], v[24:25], v[8:11]
	v_mfma_f32_16x16x16_bf16 v[0:3], v[38:39], v[24:25], v[0:3]
	v_mfma_f32_16x16x16_bf16 v[4:7], v[54:55], v[24:25], v[4:7]
	v_mfma_f32_16x16x16_bf16 v[12:15], v[70:71], v[24:25], v[12:15]
	v_mfma_f32_16x16x16_bf16 v[8:11], v[20:21], v[26:27], v[8:11]
	v_mfma_f32_16x16x16_bf16 v[0:3], v[34:35], v[26:27], v[0:3]
	v_mfma_f32_16x16x16_bf16 v[4:7], v[48:49], v[26:27], v[4:7]
	v_mfma_f32_16x16x16_bf16 v[12:15], v[58:59], v[26:27], v[12:15]
	s_andn2_b64 exec, exec, s[4:5]
	s_cbranch_execz .LBB141_15
.LBB141_6:                              ; =>This Inner Loop Header: Depth=1
	v_lshl_add_u64 v[20:21], v[18:19], 0, s[42:43]
	global_load_dword v16, v[18:19], off
	global_load_dword v46, v[20:21], off
	v_add_u32_e32 v20, s3, v88
	v_ashrrev_i32_e32 v21, 31, v20
	v_add_u32_e32 v22, s8, v88
	v_add_u32_e32 v24, s48, v88
	;; [unrolled: 1-line block ×5, first 2 shown]
	v_lshl_add_u64 v[20:21], v[20:21], 2, s[0:1]
	v_ashrrev_i32_e32 v23, 31, v22
	v_ashrrev_i32_e32 v25, 31, v24
	;; [unrolled: 1-line block ×5, first 2 shown]
	v_lshl_add_u64 v[22:23], v[22:23], 2, s[0:1]
	v_lshl_add_u64 v[24:25], v[24:25], 2, s[0:1]
	;; [unrolled: 1-line block ×5, first 2 shown]
	global_load_dword v47, v[20:21], off
	global_load_dword v48, v[22:23], off
	;; [unrolled: 1-line block ×6, first 2 shown]
	v_add_u32_e32 v20, s52, v88
	v_add_u32_e32 v38, s61, v88
	;; [unrolled: 1-line block ×10, first 2 shown]
	v_ashrrev_i32_e32 v21, 31, v20
	v_ashrrev_i32_e32 v39, 31, v38
	;; [unrolled: 1-line block ×10, first 2 shown]
	v_lshl_add_u64 v[20:21], v[20:21], 2, s[0:1]
	v_lshl_add_u64 v[38:39], v[38:39], 2, s[0:1]
	v_add_u32_e32 v40, s62, v88
	v_add_u32_e32 v42, s63, v88
	;; [unrolled: 1-line block ×3, first 2 shown]
	v_lshl_add_u64 v[22:23], v[22:23], 2, s[0:1]
	v_lshl_add_u64 v[24:25], v[24:25], 2, s[0:1]
	;; [unrolled: 1-line block ×8, first 2 shown]
	global_load_dword v53, v[20:21], off
	global_load_dword v54, v[22:23], off
	;; [unrolled: 1-line block ×9, first 2 shown]
	s_nop 0
	global_load_dword v38, v[38:39], off
	v_add_u32_e32 v20, s65, v88
	v_ashrrev_i32_e32 v41, 31, v40
	v_ashrrev_i32_e32 v43, 31, v42
	;; [unrolled: 1-line block ×4, first 2 shown]
	v_add_u32_e32 v22, s66, v88
	v_add_u32_e32 v24, s67, v88
	;; [unrolled: 1-line block ×4, first 2 shown]
	v_lshl_add_u64 v[40:41], v[40:41], 2, s[0:1]
	v_lshl_add_u64 v[42:43], v[42:43], 2, s[0:1]
	;; [unrolled: 1-line block ×4, first 2 shown]
	v_ashrrev_i32_e32 v23, 31, v22
	v_ashrrev_i32_e32 v25, 31, v24
	;; [unrolled: 1-line block ×4, first 2 shown]
	v_lshl_add_u64 v[22:23], v[22:23], 2, s[0:1]
	v_lshl_add_u64 v[24:25], v[24:25], 2, s[0:1]
	;; [unrolled: 1-line block ×4, first 2 shown]
	v_add_u32_e32 v30, s75, v88
	v_add_u32_e32 v32, s76, v88
	;; [unrolled: 1-line block ×3, first 2 shown]
	v_ashrrev_i32_e32 v31, 31, v30
	v_ashrrev_i32_e32 v33, 31, v32
	;; [unrolled: 1-line block ×3, first 2 shown]
	v_lshl_add_u64 v[30:31], v[30:31], 2, s[0:1]
	s_waitcnt vmcnt(17)
	ds_write_b32 v89, v16
	s_waitcnt vmcnt(16)
	ds_write_b32 v89, v46 offset:264
	s_waitcnt vmcnt(15)
	ds_write_b32 v89, v47 offset:528
	s_waitcnt vmcnt(14)
	ds_write_b32 v89, v48 offset:792
	s_waitcnt vmcnt(13)
	ds_write_b32 v89, v49 offset:1056
	s_waitcnt vmcnt(12)
	ds_write_b32 v89, v50 offset:1320
	s_waitcnt vmcnt(11)
	ds_write_b32 v89, v51 offset:1584
	s_waitcnt vmcnt(10)
	ds_write_b32 v89, v52 offset:1848
	global_load_dword v16, v[40:41], off
	global_load_dword v39, v[42:43], off
	s_nop 0
	global_load_dword v40, v[44:45], off
	global_load_dword v41, v[20:21], off
	;; [unrolled: 1-line block ×4, first 2 shown]
	s_nop 0
	global_load_dword v44, v[26:27], off
	global_load_dword v45, v[28:29], off
	v_add_u32_e32 v20, s70, v88
	v_ashrrev_i32_e32 v21, 31, v20
	v_add_u32_e32 v22, s71, v88
	v_add_u32_e32 v24, s72, v88
	;; [unrolled: 1-line block ×4, first 2 shown]
	v_lshl_add_u64 v[20:21], v[20:21], 2, s[0:1]
	v_ashrrev_i32_e32 v23, 31, v22
	v_ashrrev_i32_e32 v25, 31, v24
	;; [unrolled: 1-line block ×4, first 2 shown]
	v_lshl_add_u64 v[22:23], v[22:23], 2, s[0:1]
	v_lshl_add_u64 v[24:25], v[24:25], 2, s[0:1]
	v_lshl_add_u64 v[26:27], v[26:27], 2, s[0:1]
	v_lshl_add_u64 v[28:29], v[28:29], 2, s[0:1]
	v_lshl_add_u64 v[32:33], v[32:33], 2, s[0:1]
	v_lshl_add_u64 v[34:35], v[34:35], 2, s[0:1]
	global_load_dword v46, v[20:21], off
	global_load_dword v47, v[22:23], off
	global_load_dword v48, v[24:25], off
	global_load_dword v49, v[26:27], off
	global_load_dword v50, v[28:29], off
	global_load_dword v51, v[30:31], off
	global_load_dword v62, v[32:33], off
	global_load_dword v63, v[34:35], off
	v_add_u32_e32 v20, s78, v88
	v_ashrrev_i32_e32 v21, 31, v20
	v_add_u32_e32 v22, s79, v88
	v_add_u32_e32 v24, s80, v88
	v_add_u32_e32 v26, s81, v88
	v_add_u32_e32 v28, s82, v88
	v_add_u32_e32 v30, s83, v88
	v_add_u32_e32 v32, s84, v88
	v_add_u32_e32 v34, s85, v88
	v_lshl_add_u64 v[20:21], v[20:21], 2, s[0:1]
	v_ashrrev_i32_e32 v23, 31, v22
	v_ashrrev_i32_e32 v25, 31, v24
	v_ashrrev_i32_e32 v27, 31, v26
	v_ashrrev_i32_e32 v29, 31, v28
	v_ashrrev_i32_e32 v31, 31, v30
	v_ashrrev_i32_e32 v33, 31, v32
	v_ashrrev_i32_e32 v35, 31, v34
	v_lshl_add_u64 v[22:23], v[22:23], 2, s[0:1]
	v_lshl_add_u64 v[24:25], v[24:25], 2, s[0:1]
	v_lshl_add_u64 v[26:27], v[26:27], 2, s[0:1]
	v_lshl_add_u64 v[28:29], v[28:29], 2, s[0:1]
	v_lshl_add_u64 v[30:31], v[30:31], 2, s[0:1]
	v_lshl_add_u64 v[32:33], v[32:33], 2, s[0:1]
	v_lshl_add_u64 v[34:35], v[34:35], 2, s[0:1]
	global_load_dword v64, v[20:21], off
	global_load_dword v65, v[22:23], off
	global_load_dword v66, v[24:25], off
	global_load_dword v67, v[26:27], off
	global_load_dword v68, v[28:29], off
	global_load_dword v69, v[30:31], off
	global_load_dword v70, v[32:33], off
	global_load_dword v71, v[34:35], off
	v_add_u32_e32 v20, s44, v88
	v_ashrrev_i32_e32 v21, 31, v20
	v_add_u32_e32 v22, s45, v88
	v_add_u32_e32 v24, s46, v88
	v_add_u32_e32 v26, s47, v88
	v_add_u32_e32 v28, s86, v88
	v_add_u32_e32 v30, s87, v88
	v_add_u32_e32 v32, s88, v88
	v_add_u32_e32 v34, s89, v88
	v_lshl_add_u64 v[20:21], v[20:21], 2, s[0:1]
	v_ashrrev_i32_e32 v23, 31, v22
	v_ashrrev_i32_e32 v25, 31, v24
	v_ashrrev_i32_e32 v27, 31, v26
	v_ashrrev_i32_e32 v29, 31, v28
	v_ashrrev_i32_e32 v31, 31, v30
	v_ashrrev_i32_e32 v33, 31, v32
	v_ashrrev_i32_e32 v35, 31, v34
	v_lshl_add_u64 v[22:23], v[22:23], 2, s[0:1]
	;; [unrolled: 32-line block ×3, first 2 shown]
	v_lshl_add_u64 v[24:25], v[24:25], 2, s[0:1]
	v_lshl_add_u64 v[26:27], v[26:27], 2, s[0:1]
	v_lshl_add_u64 v[28:29], v[28:29], 2, s[0:1]
	v_lshl_add_u64 v[30:31], v[30:31], 2, s[0:1]
	v_lshl_add_u64 v[32:33], v[32:33], 2, s[0:1]
	v_lshl_add_u64 v[34:35], v[34:35], 2, s[0:1]
	global_load_dword v80, v[20:21], off
	global_load_dword v81, v[22:23], off
	;; [unrolled: 1-line block ×8, first 2 shown]
	v_add_u32_e32 v20, s98, v88
	v_ashrrev_i32_e32 v21, 31, v20
	v_add_u32_e32 v22, s99, v88
	v_add_u32_e32 v24, s24, v88
	;; [unrolled: 1-line block ×5, first 2 shown]
	v_lshl_add_u64 v[20:21], v[20:21], 2, s[0:1]
	v_ashrrev_i32_e32 v23, 31, v22
	v_ashrrev_i32_e32 v25, 31, v24
	;; [unrolled: 1-line block ×5, first 2 shown]
	v_lshl_add_u64 v[22:23], v[22:23], 2, s[0:1]
	v_lshl_add_u64 v[24:25], v[24:25], 2, s[0:1]
	;; [unrolled: 1-line block ×5, first 2 shown]
	global_load_dword v95, v[20:21], off
	global_load_dword v96, v[22:23], off
	global_load_dword v97, v[24:25], off
	global_load_dword v98, v[26:27], off
	global_load_dword v99, v[28:29], off
	global_load_dword v100, v[30:31], off
	s_waitcnt vmcnt(55)
	ds_write_b32 v89, v53 offset:2112
	s_waitcnt vmcnt(54)
	ds_write_b32 v89, v54 offset:2376
	s_waitcnt vmcnt(53)
	ds_write_b32 v89, v55 offset:2640
	s_waitcnt vmcnt(52)
	ds_write_b32 v89, v56 offset:2904
	s_waitcnt vmcnt(51)
	ds_write_b32 v89, v57 offset:3168
	s_waitcnt vmcnt(50)
	ds_write_b32 v89, v58 offset:3432
	s_waitcnt vmcnt(49)
	ds_write_b32 v89, v59 offset:3696
	s_waitcnt vmcnt(48)
	ds_write_b32 v89, v60 offset:3960
	ds_read_b64 v[36:37], v90
	ds_read_b64 v[32:33], v90 offset:32
	ds_read_b64 v[30:31], v90 offset:64
	ds_read_b64 v[28:29], v90 offset:96
	ds_read_b64 v[26:27], v90 offset:128
	ds_read_b64 v[24:25], v90 offset:160
	ds_read_b64 v[22:23], v90 offset:192
	ds_read_b64 v[20:21], v90 offset:224
	s_waitcnt vmcnt(47)
	ds_write_b32 v89, v61
	s_waitcnt vmcnt(46)
	ds_write_b32 v89, v38 offset:264
	s_waitcnt vmcnt(45)
	ds_write_b32 v89, v16 offset:528
	s_waitcnt vmcnt(44)
	ds_write_b32 v89, v39 offset:792
	s_waitcnt vmcnt(43)
	ds_write_b32 v89, v40 offset:1056
	s_waitcnt vmcnt(42)
	ds_write_b32 v89, v41 offset:1320
	s_waitcnt vmcnt(41)
	ds_write_b32 v89, v42 offset:1584
	s_waitcnt vmcnt(40)
	ds_write_b32 v89, v43 offset:1848
	s_waitcnt vmcnt(39)
	ds_write_b32 v89, v44 offset:2112
	s_waitcnt vmcnt(38)
	ds_write_b32 v89, v45 offset:2376
	s_waitcnt vmcnt(37)
	ds_write_b32 v89, v46 offset:2640
	s_waitcnt vmcnt(36)
	ds_write_b32 v89, v47 offset:2904
	s_waitcnt vmcnt(35)
	ds_write_b32 v89, v48 offset:3168
	s_waitcnt vmcnt(34)
	ds_write_b32 v89, v49 offset:3432
	s_waitcnt vmcnt(33)
	ds_write_b32 v89, v50 offset:3696
	s_waitcnt vmcnt(32)
	ds_write_b32 v89, v51 offset:3960
	ds_read_b64 v[52:53], v90
	ds_read_b64 v[50:51], v90 offset:32
	ds_read_b64 v[46:47], v90 offset:64
	ds_read_b64 v[44:45], v90 offset:96
	ds_read_b64 v[42:43], v90 offset:128
	ds_read_b64 v[40:41], v90 offset:160
	ds_read_b64 v[38:39], v90 offset:192
	ds_read_b64 v[34:35], v90 offset:224
	s_waitcnt vmcnt(31)
	ds_write_b32 v89, v62
	s_waitcnt vmcnt(30)
	ds_write_b32 v89, v63 offset:264
	s_waitcnt vmcnt(29)
	ds_write_b32 v89, v64 offset:528
	s_waitcnt vmcnt(28)
	ds_write_b32 v89, v65 offset:792
	s_waitcnt vmcnt(27)
	ds_write_b32 v89, v66 offset:1056
	s_waitcnt vmcnt(26)
	ds_write_b32 v89, v67 offset:1320
	s_waitcnt vmcnt(25)
	ds_write_b32 v89, v68 offset:1584
	s_waitcnt vmcnt(24)
	ds_write_b32 v89, v69 offset:1848
	;; [unrolled: 40-line block ×3, first 2 shown]
	s_waitcnt vmcnt(7)
	ds_write_b32 v89, v93 offset:2112
	s_waitcnt vmcnt(6)
	ds_write_b32 v89, v94 offset:2376
	;; [unrolled: 2-line block ×8, first 2 shown]
	ds_read_b64 v[82:83], v90
	ds_read_b64 v[80:81], v90 offset:32
	ds_read_b64 v[76:77], v90 offset:64
	;; [unrolled: 1-line block ×7, first 2 shown]
	s_andn2_b64 vcc, exec, s[34:35]
	v_mov_b32_e32 v91, 0
	v_mov_b32_e32 v16, 0
	s_cbranch_vccnz .LBB141_9
; %bb.7:                                ;   in Loop: Header=BB141_6 Depth=1
	s_load_dword vcc_lo, s[36:37], 0x0
	v_mov_b32_e32 v16, 0
	v_mov_b32_e32 v91, 0
	s_waitcnt lgkmcnt(0)
	s_mul_hi_u32 vcc_hi, vcc_lo, s16
	s_add_i32 vcc_hi, vcc_lo, vcc_hi
	s_lshr_b32 s28, vcc_hi, s17
	s_cmp_ge_i32 s28, s13
	s_cbranch_scc1 .LBB141_9
; %bb.8:                                ;   in Loop: Header=BB141_6 Depth=1
	s_mul_i32 vcc_hi, s28, s18
	s_sub_i32 s29, vcc_lo, vcc_hi
	s_mul_i32 s28, s28, s20
	s_mul_i32 s29, s29, s9
	v_add_u32_e32 v16, s28, v88
	v_lshl_add_u32 v92, v16, 1, s29
	v_ashrrev_i32_e32 v93, 31, v92
	v_lshl_add_u64 v[92:93], v[92:93], 2, s[6:7]
	global_load_dwordx2 v[92:93], v[92:93], off
	s_waitcnt vmcnt(0)
	v_cvt_pk_bf16_f32 v91, v92, s0
	v_cvt_pk_bf16_f32 v16, v93, s0
.LBB141_9:                              ;   in Loop: Header=BB141_6 Depth=1
	v_mov_b32_e32 v92, 0
	s_andn2_b64 vcc, exec, s[38:39]
	v_mov_b32_e32 v94, 0
	v_mov_b32_e32 v93, 0
	s_cbranch_vccnz .LBB141_12
; %bb.10:                               ;   in Loop: Header=BB141_6 Depth=1
	s_load_dword vcc_lo, s[36:37], 0x4
	v_mov_b32_e32 v93, 0
	v_mov_b32_e32 v94, 0
	s_waitcnt lgkmcnt(0)
	s_mul_hi_u32 s28, vcc_lo, s16
	s_add_i32 s28, vcc_lo, s28
	s_lshr_b32 vcc_hi, s28, s17
	s_cmp_ge_i32 vcc_hi, s13
	s_cbranch_scc1 .LBB141_12
; %bb.11:                               ;   in Loop: Header=BB141_6 Depth=1
	s_mul_i32 s28, vcc_hi, s18
	s_sub_i32 s28, vcc_lo, s28
	s_mul_i32 vcc_hi, vcc_hi, s20
	s_mul_i32 s28, s28, s9
	v_add_u32_e32 v93, vcc_hi, v88
	v_lshl_add_u32 v94, v93, 1, s28
	v_ashrrev_i32_e32 v95, 31, v94
	v_lshl_add_u64 v[94:95], v[94:95], 2, s[6:7]
	global_load_dwordx2 v[94:95], v[94:95], off
	s_waitcnt vmcnt(0)
	v_cvt_pk_bf16_f32 v94, v94, s0
	v_cvt_pk_bf16_f32 v93, v95, s0
.LBB141_12:                             ;   in Loop: Header=BB141_6 Depth=1
	s_andn2_b64 vcc, exec, s[40:41]
	v_mov_b32_e32 v95, 0
	s_cbranch_vccnz .LBB141_5
; %bb.13:                               ;   in Loop: Header=BB141_6 Depth=1
	s_load_dword vcc_lo, s[36:37], 0x8
	v_mov_b32_e32 v95, 0
	v_mov_b32_e32 v92, 0
	s_waitcnt lgkmcnt(0)
	s_mul_hi_u32 s28, vcc_lo, s16
	s_add_i32 s28, vcc_lo, s28
	s_lshr_b32 vcc_hi, s28, s17
	s_cmp_ge_i32 vcc_hi, s13
	s_cbranch_scc1 .LBB141_5
; %bb.14:                               ;   in Loop: Header=BB141_6 Depth=1
	s_mul_i32 s28, vcc_hi, s18
	s_sub_i32 s28, vcc_lo, s28
	s_mul_i32 vcc_hi, vcc_hi, s20
	s_mul_i32 s28, s28, s9
	v_add_u32_e32 v92, vcc_hi, v88
	v_lshl_add_u32 v96, v92, 1, s28
	v_ashrrev_i32_e32 v97, 31, v96
	v_lshl_add_u64 v[96:97], v[96:97], 2, s[6:7]
	global_load_dwordx2 v[96:97], v[96:97], off
	s_waitcnt vmcnt(0)
	v_cvt_pk_bf16_f32 v92, v96, s0
	v_cvt_pk_bf16_f32 v95, v97, s0
	s_branch .LBB141_5
.LBB141_15:
	s_or_b64 exec, exec, s[4:5]
	v_readlane_b32 s24, v101, 4
	v_readlane_b32 s25, v101, 5
.LBB141_16:
	s_or_b64 exec, exec, s[30:31]
	v_lshl_add_u32 v16, v86, 2, 0
	v_mul_u32_u24_e32 v17, 0x708, v87
	v_and_b32_e32 v18, 0x3f0, v84
	v_add3_u32 v16, v16, v17, v18
	v_cmp_gt_u32_e32 vcc, 3, v85
	s_barrier
	ds_write2_b32 v16, v8, v9 offset1:1
	ds_write2_b32 v16, v10, v11 offset0:2 offset1:3
	ds_write2_b32 v16, v0, v1 offset0:16 offset1:17
	;; [unrolled: 1-line block ×7, first 2 shown]
	s_waitcnt lgkmcnt(0)
	s_barrier
	s_and_saveexec_b64 s[0:1], vcc
	s_cbranch_execz .LBB141_20
; %bb.17:
	s_cmp_gt_i32 s14, 0
	v_add_u32_e32 v0, s2, v85
	s_cselect_b64 s[0:1], -1, 0
	v_cmp_gt_i32_e32 vcc, s33, v0
	s_and_b64 s[0:1], s[0:1], vcc
	s_and_b64 exec, exec, s[0:1]
	s_cbranch_execz .LBB141_20
; %bb.18:
	s_lshl_b64 s[0:1], s[26:27], 2
	v_readlane_b32 s2, v101, 0
	v_readlane_b32 s3, v101, 1
	s_add_u32 s0, s2, s0
	s_addc_u32 s1, s3, s1
	v_ashrrev_i32_e32 v1, 31, v0
	v_lshl_add_u64 v[0:1], v[0:1], 2, s[0:1]
	global_load_dword v0, v[0:1], off
	s_waitcnt vmcnt(0)
	v_mul_hi_u32 v1, v0, s19
	v_add_u32_e32 v1, v0, v1
	v_lshrrev_b32_e32 v1, s24, v1
	v_cmp_gt_i32_e32 vcc, s13, v1
	s_and_b64 exec, exec, vcc
	s_cbranch_execz .LBB141_20
; %bb.19:
	v_lshlrev_b32_e32 v2, 2, v84
	v_mul_u32_u24_e32 v3, 0x708, v85
	v_add3_u32 v8, 0, v2, v3
	ds_read2st64_b32 v[2:3], v8 offset1:1
	ds_read2st64_b32 v[4:5], v8 offset0:2 offset1:3
	ds_read2st64_b32 v[6:7], v8 offset0:4 offset1:5
	ds_read_b32 v8, v8 offset:1536
	v_readlane_b32 s0, v101, 2
	s_waitcnt lgkmcnt(3)
	v_add_f32_e32 v2, 0, v2
	v_add_f32_e32 v2, v2, v3
	s_waitcnt lgkmcnt(2)
	v_add_f32_e32 v2, v2, v4
	v_mul_lo_u32 v4, v1, s25
	v_add_f32_e32 v2, v2, v5
	v_sub_u32_e32 v0, v0, v4
	s_waitcnt lgkmcnt(1)
	v_add_f32_e32 v2, v2, v6
	v_add_u32_e32 v3, s11, v84
	v_mul_lo_u32 v0, v0, s10
	v_mul_lo_u32 v1, v1, s21
	v_add_f32_e32 v2, v2, v7
	v_add3_u32 v0, v3, v1, v0
	v_mov_b32_e32 v1, 0
	v_readlane_b32 s1, v101, 3
	s_waitcnt lgkmcnt(0)
	v_add_f32_e32 v2, v2, v8
	v_lshl_add_u64 v[0:1], v[0:1], 2, s[0:1]
	global_store_dword v[0:1], v2, off
.LBB141_20:
	s_endpgm
	.section	.rodata,"a",@progbits
	.p2align	6, 0x0
	.amdhsa_kernel _ZL13mul_mat_f_idsI15__hip_bfloat162Li64ELi3ELi7EEvPKT_PKfPKiS7_S7_Pfiiiiiiiiiiiiii15HIP_vector_typeIjLj3EESA_
		.amdhsa_group_segment_fixed_size 0
		.amdhsa_private_segment_fixed_size 0
		.amdhsa_kernarg_size 128
		.amdhsa_user_sgpr_count 2
		.amdhsa_user_sgpr_dispatch_ptr 0
		.amdhsa_user_sgpr_queue_ptr 0
		.amdhsa_user_sgpr_kernarg_segment_ptr 1
		.amdhsa_user_sgpr_dispatch_id 0
		.amdhsa_user_sgpr_kernarg_preload_length 0
		.amdhsa_user_sgpr_kernarg_preload_offset 0
		.amdhsa_user_sgpr_private_segment_size 0
		.amdhsa_uses_dynamic_stack 0
		.amdhsa_enable_private_segment 0
		.amdhsa_system_sgpr_workgroup_id_x 1
		.amdhsa_system_sgpr_workgroup_id_y 1
		.amdhsa_system_sgpr_workgroup_id_z 1
		.amdhsa_system_sgpr_workgroup_info 0
		.amdhsa_system_vgpr_workitem_id 1
		.amdhsa_next_free_vgpr 102
		.amdhsa_next_free_sgpr 100
		.amdhsa_accum_offset 104
		.amdhsa_reserve_vcc 1
		.amdhsa_float_round_mode_32 0
		.amdhsa_float_round_mode_16_64 0
		.amdhsa_float_denorm_mode_32 3
		.amdhsa_float_denorm_mode_16_64 3
		.amdhsa_dx10_clamp 1
		.amdhsa_ieee_mode 1
		.amdhsa_fp16_overflow 0
		.amdhsa_tg_split 0
		.amdhsa_exception_fp_ieee_invalid_op 0
		.amdhsa_exception_fp_denorm_src 0
		.amdhsa_exception_fp_ieee_div_zero 0
		.amdhsa_exception_fp_ieee_overflow 0
		.amdhsa_exception_fp_ieee_underflow 0
		.amdhsa_exception_fp_ieee_inexact 0
		.amdhsa_exception_int_div_zero 0
	.end_amdhsa_kernel
	.section	.text._ZL13mul_mat_f_idsI15__hip_bfloat162Li64ELi3ELi7EEvPKT_PKfPKiS7_S7_Pfiiiiiiiiiiiiii15HIP_vector_typeIjLj3EESA_,"axG",@progbits,_ZL13mul_mat_f_idsI15__hip_bfloat162Li64ELi3ELi7EEvPKT_PKfPKiS7_S7_Pfiiiiiiiiiiiiii15HIP_vector_typeIjLj3EESA_,comdat
.Lfunc_end141:
	.size	_ZL13mul_mat_f_idsI15__hip_bfloat162Li64ELi3ELi7EEvPKT_PKfPKiS7_S7_Pfiiiiiiiiiiiiii15HIP_vector_typeIjLj3EESA_, .Lfunc_end141-_ZL13mul_mat_f_idsI15__hip_bfloat162Li64ELi3ELi7EEvPKT_PKfPKiS7_S7_Pfiiiiiiiiiiiiii15HIP_vector_typeIjLj3EESA_
                                        ; -- End function
	.set _ZL13mul_mat_f_idsI15__hip_bfloat162Li64ELi3ELi7EEvPKT_PKfPKiS7_S7_Pfiiiiiiiiiiiiii15HIP_vector_typeIjLj3EESA_.num_vgpr, 102
	.set _ZL13mul_mat_f_idsI15__hip_bfloat162Li64ELi3ELi7EEvPKT_PKfPKiS7_S7_Pfiiiiiiiiiiiiii15HIP_vector_typeIjLj3EESA_.num_agpr, 0
	.set _ZL13mul_mat_f_idsI15__hip_bfloat162Li64ELi3ELi7EEvPKT_PKfPKiS7_S7_Pfiiiiiiiiiiiiii15HIP_vector_typeIjLj3EESA_.numbered_sgpr, 100
	.set _ZL13mul_mat_f_idsI15__hip_bfloat162Li64ELi3ELi7EEvPKT_PKfPKiS7_S7_Pfiiiiiiiiiiiiii15HIP_vector_typeIjLj3EESA_.num_named_barrier, 0
	.set _ZL13mul_mat_f_idsI15__hip_bfloat162Li64ELi3ELi7EEvPKT_PKfPKiS7_S7_Pfiiiiiiiiiiiiii15HIP_vector_typeIjLj3EESA_.private_seg_size, 0
	.set _ZL13mul_mat_f_idsI15__hip_bfloat162Li64ELi3ELi7EEvPKT_PKfPKiS7_S7_Pfiiiiiiiiiiiiii15HIP_vector_typeIjLj3EESA_.uses_vcc, 1
	.set _ZL13mul_mat_f_idsI15__hip_bfloat162Li64ELi3ELi7EEvPKT_PKfPKiS7_S7_Pfiiiiiiiiiiiiii15HIP_vector_typeIjLj3EESA_.uses_flat_scratch, 0
	.set _ZL13mul_mat_f_idsI15__hip_bfloat162Li64ELi3ELi7EEvPKT_PKfPKiS7_S7_Pfiiiiiiiiiiiiii15HIP_vector_typeIjLj3EESA_.has_dyn_sized_stack, 0
	.set _ZL13mul_mat_f_idsI15__hip_bfloat162Li64ELi3ELi7EEvPKT_PKfPKiS7_S7_Pfiiiiiiiiiiiiii15HIP_vector_typeIjLj3EESA_.has_recursion, 0
	.set _ZL13mul_mat_f_idsI15__hip_bfloat162Li64ELi3ELi7EEvPKT_PKfPKiS7_S7_Pfiiiiiiiiiiiiii15HIP_vector_typeIjLj3EESA_.has_indirect_call, 0
	.section	.AMDGPU.csdata,"",@progbits
; Kernel info:
; codeLenInByte = 4684
; TotalNumSgprs: 106
; NumVgprs: 102
; NumAgprs: 0
; TotalNumVgprs: 102
; ScratchSize: 0
; MemoryBound: 0
; FloatMode: 240
; IeeeMode: 1
; LDSByteSize: 0 bytes/workgroup (compile time only)
; SGPRBlocks: 13
; VGPRBlocks: 12
; NumSGPRsForWavesPerEU: 106
; NumVGPRsForWavesPerEU: 102
; AccumOffset: 104
; Occupancy: 4
; WaveLimiterHint : 1
; COMPUTE_PGM_RSRC2:SCRATCH_EN: 0
; COMPUTE_PGM_RSRC2:USER_SGPR: 2
; COMPUTE_PGM_RSRC2:TRAP_HANDLER: 0
; COMPUTE_PGM_RSRC2:TGID_X_EN: 1
; COMPUTE_PGM_RSRC2:TGID_Y_EN: 1
; COMPUTE_PGM_RSRC2:TGID_Z_EN: 1
; COMPUTE_PGM_RSRC2:TIDIG_COMP_CNT: 1
; COMPUTE_PGM_RSRC3_GFX90A:ACCUM_OFFSET: 25
; COMPUTE_PGM_RSRC3_GFX90A:TG_SPLIT: 0
	.section	.text._ZL9mul_mat_fI15__hip_bfloat162Li64ELi3ELi7ELb1EEvPKT_PKfPKiPfiiiiiiiiiiiiiiii,"axG",@progbits,_ZL9mul_mat_fI15__hip_bfloat162Li64ELi3ELi7ELb1EEvPKT_PKfPKiPfiiiiiiiiiiiiiiii,comdat
	.globl	_ZL9mul_mat_fI15__hip_bfloat162Li64ELi3ELi7ELb1EEvPKT_PKfPKiPfiiiiiiiiiiiiiiii ; -- Begin function _ZL9mul_mat_fI15__hip_bfloat162Li64ELi3ELi7ELb1EEvPKT_PKfPKiPfiiiiiiiiiiiiiiii
	.p2align	8
	.type	_ZL9mul_mat_fI15__hip_bfloat162Li64ELi3ELi7ELb1EEvPKT_PKfPKiPfiiiiiiiiiiiiiiii,@function
_ZL9mul_mat_fI15__hip_bfloat162Li64ELi3ELi7ELb1EEvPKT_PKfPKiPfiiiiiiiiiiiiiiii: ; @_ZL9mul_mat_fI15__hip_bfloat162Li64ELi3ELi7ELb1EEvPKT_PKfPKiPfiiiiiiiiiiiiiiii
; %bb.0:
	s_load_dwordx8 s[12:19], s[0:1], 0x20
	v_and_b32_e32 v16, 0x3ff, v0
	v_bfe_u32 v17, v0, 10, 10
	s_waitcnt lgkmcnt(0)
	s_add_i32 s5, s13, 2
	s_mul_hi_i32 s5, s5, 0x55555556
	s_lshr_b32 s6, s5, 31
	s_add_i32 s5, s5, s6
	v_cvt_f32_u32_e32 v1, s5
	s_load_dwordx4 s[20:23], s[0:1], 0x44
	s_load_dword s6, s[0:1], 0x64
	s_add_u32 s30, s0, 0x60
	s_addc_u32 s31, s1, 0
	v_rcp_iflag_f32_e32 v1, v1
	s_sub_i32 s7, 0, s5
	s_waitcnt lgkmcnt(0)
	s_abs_i32 s33, s23
	v_mul_f32_e32 v1, 0x4f7ffffe, v1
	v_cvt_u32_f32_e32 v1, v1
	v_mul_lo_u32 v2, s7, v1
	v_mul_hi_u32 v2, v1, v2
	v_add_u32_e32 v1, v1, v2
	v_mul_hi_u32 v1, s6, v1
	v_mul_lo_u32 v2, v1, s5
	v_sub_u32_e32 v2, s6, v2
	v_add_u32_e32 v3, 1, v1
	v_subrev_u32_e32 v4, s5, v2
	v_cmp_le_u32_e32 vcc, s5, v2
	s_nop 1
	v_cndmask_b32_e32 v1, v1, v3, vcc
	v_cndmask_b32_e32 v2, v2, v4, vcc
	v_add_u32_e32 v3, 1, v1
	v_cmp_le_u32_e32 vcc, s5, v2
	v_cvt_f32_u32_e32 v4, s33
	s_sub_i32 s5, 0, s33
	v_cndmask_b32_e32 v2, v1, v3, vcc
	v_cvt_f32_u32_e32 v1, v2
	v_rcp_iflag_f32_e32 v3, v4
	v_sub_u32_e32 v5, 0, v2
	v_cmp_eq_u32_e32 vcc, 0, v16
	v_rcp_iflag_f32_e32 v4, v1
	v_mul_f32_e32 v1, 0x4f7ffffe, v3
	v_cvt_u32_f32_e32 v1, v1
	v_mul_f32_e32 v3, 0x4f7ffffe, v4
	v_cvt_u32_f32_e32 v3, v3
	v_mul_lo_u32 v4, s5, v1
	v_mul_hi_u32 v4, v1, v4
	v_mul_lo_u32 v5, v5, v3
	v_mul_hi_u32 v5, v3, v5
	v_add_u32_e32 v3, v3, v5
	v_mul_hi_u32 v3, s3, v3
	s_and_saveexec_b64 s[6:7], vcc
; %bb.1:
	v_mov_b32_e32 v5, 0x100
	v_lshl_add_u32 v5, v17, 2, v5
	v_mov_b32_e32 v6, -1
	ds_write_b32 v5, v6
; %bb.2:
	s_or_b64 exec, exec, s[6:7]
	v_add_u32_e32 v1, v1, v4
	v_mul_lo_u32 v4, v3, v2
	v_sub_u32_e32 v4, s3, v4
	v_add_u32_e32 v5, 1, v3
	v_sub_u32_e32 v6, v4, v2
	v_cmp_ge_u32_e32 vcc, v4, v2
	s_load_dwordx4 s[24:27], s[0:1], 0x54
	s_waitcnt lgkmcnt(0)
	s_abs_i32 s27, s4
	v_cndmask_b32_e32 v3, v3, v5, vcc
	v_cndmask_b32_e32 v4, v4, v6, vcc
	v_add_u32_e32 v5, 1, v3
	v_cmp_ge_u32_e32 vcc, v4, v2
	v_mov_b32_e32 v6, 0
	s_nop 0
	v_cndmask_b32_e32 v3, v3, v5, vcc
	v_mul_lo_u32 v2, v3, v2
	v_mul_lo_u32 v94, v3, 3
	v_sub_u32_e32 v18, s3, v2
	v_add_u32_e32 v2, v17, v94
	v_cmp_gt_i32_e64 s[8:9], s13, v2
	s_and_saveexec_b64 s[10:11], s[8:9]
	s_cbranch_execz .LBB142_10
; %bb.3:
	v_cmp_gt_i32_e32 vcc, s14, v16
	v_mov_b32_e32 v6, 0
	s_and_saveexec_b64 s[28:29], vcc
	s_cbranch_execz .LBB142_9
; %bb.4:
	s_load_dwordx2 s[6:7], s[0:1], 0x10
	v_mul_hi_i32 v3, v94, s19
	v_mul_lo_u32 v2, v94, s19
	v_mul_lo_u32 v4, v17, s19
	v_lshlrev_b64 v[2:3], 2, v[2:3]
	s_waitcnt lgkmcnt(0)
	v_lshl_add_u64 v[2:3], s[6:7], 0, v[2:3]
	v_ashrrev_i32_e32 v5, 31, v4
	v_lshl_add_u64 v[2:3], v[4:5], 2, v[2:3]
	v_mov_b32_e32 v4, 0x100
	v_lshl_add_u32 v7, v17, 2, v4
	v_mul_lo_u32 v4, v16, s18
	s_lshl_b32 s3, s18, 6
	v_mov_b32_e32 v6, 0
	s_mov_b64 s[18:19], 0
	v_mov_b32_e32 v8, v16
	s_branch .LBB142_6
.LBB142_5:                              ;   in Loop: Header=BB142_6 Depth=1
	s_or_b64 exec, exec, s[34:35]
	v_add_u32_e32 v8, 64, v8
	v_cmp_le_i32_e64 s[6:7], s14, v8
	s_xor_b64 s[34:35], vcc, -1
	s_or_b64 s[6:7], s[34:35], s[6:7]
	s_and_b64 s[6:7], exec, s[6:7]
	s_or_b64 s[18:19], s[6:7], s[18:19]
	v_add_u32_e32 v4, s3, v4
	s_andn2_b64 exec, exec, s[18:19]
	s_cbranch_execz .LBB142_8
.LBB142_6:                              ; =>This Inner Loop Header: Depth=1
	v_ashrrev_i32_e32 v5, 31, v4
	v_lshl_add_u64 v[10:11], v[4:5], 2, v[2:3]
	global_load_dword v5, v[10:11], off
	s_waitcnt vmcnt(0)
	v_cmp_ne_u32_e32 vcc, v5, v18
	v_cmp_eq_u32_e64 s[6:7], v5, v18
	s_and_saveexec_b64 s[34:35], s[6:7]
	s_cbranch_execz .LBB142_5
; %bb.7:                                ;   in Loop: Header=BB142_6 Depth=1
	v_mov_b32_e32 v6, 1
	ds_write_b32 v7, v8
	s_branch .LBB142_5
.LBB142_8:
	s_or_b64 exec, exec, s[18:19]
.LBB142_9:
	s_or_b64 exec, exec, s[28:29]
.LBB142_10:
	s_or_b64 exec, exec, s[10:11]
	s_load_dwordx2 s[18:19], s[30:31], 0xc
	s_load_dwordx2 s[28:29], s[0:1], 0x8
	;; [unrolled: 1-line block ×3, first 2 shown]
	v_mul_hi_u32 v19, s27, v1
	v_or_b32_dpp v1, v6, v6 row_shl:1 row_mask:0xf bank_mask:0xf bound_ctrl:1
	s_waitcnt lgkmcnt(0)
	s_lshr_b32 s6, s18, 16
	s_and_b32 s5, s18, 0xffff
	v_or_b32_dpp v1, v1, v1 row_shl:2 row_mask:0xf bank_mask:0xf bound_ctrl:1
	s_mul_i32 s7, s6, s5
	s_and_b32 s3, s19, 0xffff
	v_or_b32_dpp v1, v1, v1 row_shl:4 row_mask:0xf bank_mask:0xf bound_ctrl:1
	s_bfe_i32 s7, s7, 0x180000
	s_mul_i32 s3, s7, s3
	v_or_b32_dpp v1, v1, v1 row_shl:8 row_mask:0xf bank_mask:0xf bound_ctrl:1
	s_add_i32 s7, s3, 63
	s_bitcmp1_b32 exec_hi, 0
	v_mov_b32_dpp v2, v1 wave_shl:1 row_mask:0xf bank_mask:0xf bound_ctrl:1
	s_nop 1
	v_or_b32_dpp v1, v2, v1 row_mirror row_mask:0xf bank_mask:0xf bound_ctrl:1
	s_nop 0
	v_readlane_b32 s3, v1, 32
	s_cselect_b32 s3, s3, 0
	v_readlane_b32 s14, v1, 0
	s_or_b32 s3, s3, s14
	s_andn2_b32 s7, s7, 63
	s_cmp_lg_u32 s7, 64
	v_mov_b32_e32 v1, s3
	s_cbranch_scc0 .LBB142_17
; %bb.11:
	v_bfe_u32 v0, v0, 20, 10
	v_mbcnt_lo_u32_b32 v1, -1, 0
	v_mad_u32_u24 v0, v0, s6, v17
	v_mbcnt_hi_u32_b32 v2, -1, v1
	v_mad_u64_u32 v[0:1], s[6:7], v0, s5, v[16:17]
	v_lshrrev_b32_e32 v1, 6, v0
	v_or_b32_e32 v1, v2, v1
	v_cmp_eq_u32_e32 vcc, 0, v1
	s_and_saveexec_b64 s[6:7], vcc
; %bb.12:
	v_mov_b32_e32 v1, 0
	v_mov_b32_e32 v3, s3
	ds_write_b32 v1, v3
; %bb.13:
	s_or_b64 exec, exec, s[6:7]
	v_cmp_eq_u32_e32 vcc, 0, v2
	v_cmp_lt_u32_e64 s[6:7], 63, v0
	s_and_b64 s[18:19], s[6:7], vcc
	s_waitcnt lgkmcnt(0)
	s_barrier
	s_and_saveexec_b64 s[6:7], s[18:19]
	s_cbranch_execz .LBB142_16
; %bb.14:
	v_mbcnt_lo_u32_b32 v0, exec_lo, 0
	v_mbcnt_hi_u32_b32 v0, exec_hi, v0
	v_cmp_eq_u32_e32 vcc, 0, v0
	s_and_b64 exec, exec, vcc
; %bb.15:
	v_mov_b32_e32 v0, 0
	v_mov_b32_e32 v1, s3
	ds_or_b32 v0, v1
.LBB142_16:
	s_or_b64 exec, exec, s[6:7]
	v_mov_b32_e32 v0, 0
	s_waitcnt lgkmcnt(0)
	s_barrier
	ds_read_b32 v1, v0
	s_waitcnt lgkmcnt(0)
	s_barrier
.LBB142_17:
	s_load_dwordx2 s[0:1], s[0:1], 0x0
	v_cmp_ne_u32_e32 vcc, 0, v1
	s_ashr_i32 s3, s4, 31
	s_ashr_i32 s14, s23, 31
	s_cbranch_vccz .LBB142_39
; %bb.18:
	v_lshlrev_b32_e32 v95, 6, v17
	v_add_u32_e32 v97, v95, v16
	v_cmp_le_i32_e32 vcc, s12, v97
	v_and_b32_e32 v96, 15, v16
	s_and_saveexec_b64 s[6:7], vcc
	s_xor_b64 s[6:7], exec, s[6:7]
; %bb.19:
	v_and_b32_e32 v96, 15, v16
                                        ; implicit-def: $vgpr97
                                        ; implicit-def: $vgpr19
                                        ; implicit-def: $vgpr18
; %bb.20:
	s_or_saveexec_b64 s[18:19], s[6:7]
	v_mov_b32_e32 v11, 0
	s_lshl_b32 s5, s2, 6
	v_mov_b32_e32 v10, v11
	v_mov_b32_e32 v9, v11
	;; [unrolled: 1-line block ×15, first 2 shown]
	s_xor_b64 exec, exec, s[18:19]
	s_cbranch_execz .LBB142_36
; %bb.21:
	v_mul_lo_u32 v0, v19, s33
	v_sub_u32_e32 v0, s27, v0
	v_add_u32_e32 v1, 1, v19
	v_subrev_u32_e32 v2, s33, v0
	v_cmp_le_u32_e32 vcc, s33, v0
	s_xor_b32 s2, s3, s14
	s_movk_i32 s6, 0x1080
	v_cndmask_b32_e32 v1, v19, v1, vcc
	v_cndmask_b32_e32 v0, v0, v2, vcc
	v_add_u32_e32 v2, 1, v1
	v_cmp_le_u32_e32 vcc, s33, v0
	v_mov_b32_e32 v98, 0x100
	v_mad_u32_u24 v6, v17, s6, v98
	v_cndmask_b32_e32 v0, v1, v2, vcc
	v_xor_b32_e32 v0, s2, v0
	v_subrev_u32_e32 v0, s2, v0
	v_mul_hi_i32 v1, v0, s24
	v_mul_lo_u32 v0, v0, s24
	v_mul_lo_u32 v2, v18, s20
	v_ashrrev_i32_e32 v3, 31, v2
	s_mul_i32 s2, s15, s5
	v_lshlrev_b64 v[0:1], 2, v[0:1]
	s_waitcnt lgkmcnt(0)
	v_lshl_add_u64 v[4:5], s[0:1], 0, v[0:1]
	v_lshlrev_b64 v[2:3], 2, v[2:3]
	s_ashr_i32 s3, s2, 31
	s_mul_hi_i32 s7, s25, s4
	s_mul_i32 s6, s25, s4
	v_lshl_add_u64 v[4:5], v[4:5], 0, v[2:3]
	s_lshl_b64 s[2:3], s[2:3], 2
	s_lshl_b64 s[6:7], s[6:7], 2
	v_lshl_add_u64 v[18:19], v[4:5], 0, s[2:3]
	v_mul_hi_i32 v5, s16, v94
	v_mul_lo_u32 v4, s16, v94
	s_add_u32 s6, s28, s6
	v_lshlrev_b64 v[4:5], 3, v[4:5]
	s_addc_u32 s7, s29, s7
	v_lshl_add_u64 v[0:1], v[0:1], 0, s[2:3]
	v_lshl_add_u64 v[20:21], s[6:7], 0, v[4:5]
	v_lshrrev_b32_e32 v5, 1, v16
	v_lshl_add_u64 v[0:1], v[0:1], 0, v[2:3]
	v_mul_u32_u24_e32 v4, 0x108, v96
	v_and_b32_e32 v5, 0x1f8, v5
	v_add_u32_e32 v26, 1, v94
	v_add_u32_e32 v27, 2, v94
	s_ashr_i32 s7, s15, 31
	s_mov_b32 s6, s15
	v_lshl_add_u64 v[0:1], s[0:1], 0, v[0:1]
	v_lshlrev_b32_e32 v2, 1, v16
	v_lshlrev_b32_e32 v22, 2, v97
	v_mov_b32_e32 v23, 0
	v_lshl_add_u32 v99, v16, 2, v6
	v_add3_u32 v100, v6, v4, v5
	s_lshl_b32 s20, s16, 2
	s_add_i32 s23, s15, s15
	s_mul_i32 s27, s15, 3
	s_lshl_b32 s30, s15, 2
	s_mul_i32 s31, s15, 5
	s_mul_i32 s33, s15, 6
	;; [unrolled: 1-line block ×3, first 2 shown]
	s_lshl_b32 s35, s15, 3
	s_mul_i32 s36, s15, 9
	s_mul_i32 s37, s15, 10
	;; [unrolled: 1-line block ×7, first 2 shown]
	s_lshl_b32 s43, s15, 4
	s_mul_i32 s44, s15, 17
	s_mul_i32 s45, s15, 18
	;; [unrolled: 1-line block ×15, first 2 shown]
	s_lshl_b32 s59, s15, 5
	s_mul_i32 s60, s15, 33
	s_mul_i32 s61, s15, 34
	;; [unrolled: 1-line block ×22, first 2 shown]
	v_cmp_gt_i32_e64 s[2:3], s13, v94
	s_mul_i32 s82, s15, 55
	s_mul_i32 s83, s15, 56
	v_lshl_add_u32 v101, v17, 7, v2
	s_lshl_b64 s[24:25], s[6:7], 2
	v_lshl_add_u64 v[24:25], v[0:1], 0, v[22:23]
	v_mov_b32_e32 v12, 0
	v_mov_b32_e32 v13, v23
	v_mov_b32_e32 v14, v23
	v_mov_b32_e32 v15, v23
	v_mov_b32_e32 v4, 0
	v_mov_b32_e32 v5, v23
	v_mov_b32_e32 v6, v23
	v_mov_b32_e32 v7, v23
	v_mov_b32_e32 v0, 0
	v_mov_b32_e32 v1, v23
	v_mov_b32_e32 v2, v23
	v_mov_b32_e32 v3, v23
	v_mov_b32_e32 v8, 0
	v_mov_b32_e32 v9, v23
	v_mov_b32_e32 v10, v23
	v_mov_b32_e32 v11, v23
	s_mul_i32 s84, s15, 57
	s_mul_i32 s85, s15, 58
	;; [unrolled: 1-line block ×7, first 2 shown]
	s_lshl_b32 s16, s16, 1
	v_cmp_gt_i32_e64 s[0:1], s13, v26
	v_cmp_gt_i32_e64 s[6:7], s13, v27
	s_mov_b64 s[14:15], 0
	s_mov_b64 s[28:29], 0x700
	s_branch .LBB142_24
.LBB142_22:                             ;   in Loop: Header=BB142_24 Depth=1
	v_mul_lo_u32 v22, v22, s21
	v_add_u32_e32 v22, s20, v22
	v_add_u32_e32 v90, v22, v101
	v_ashrrev_i32_e32 v91, 31, v90
	v_lshl_add_u64 v[90:91], v[90:91], 2, v[20:21]
	global_load_dwordx2 v[90:91], v[90:91], off
.LBB142_23:                             ;   in Loop: Header=BB142_24 Depth=1
	s_waitcnt vmcnt(0)
	v_cvt_pk_bf16_f32 v22, v90, v91
	ds_write2_b32 v99, v22, v23 offset0:148 offset1:214
	v_add_u32_e32 v22, 0x400, v99
	ds_write2_b32 v22, v23, v23 offset0:24 offset1:90
	ds_write2_b32 v22, v23, v23 offset0:156 offset1:222
	v_add_u32_e32 v22, 0x800, v99
	ds_write2_b32 v22, v23, v23 offset0:32 offset1:98
	;; [unrolled: 3-line block ×3, first 2 shown]
	ds_write2_b32 v22, v23, v23 offset0:172 offset1:238
	ds_read2_b64 v[90:93], v100 offset0:8 offset1:12
	v_add_u32_e32 v97, 0x1c0, v97
	s_waitcnt lgkmcnt(0)
	v_mfma_f32_16x16x16_bf16 v[0:3], v[58:59], v[90:91], v[0:3]
	v_cmp_le_i32_e32 vcc, s12, v97
	v_add_u32_e32 v101, 0x380, v101
	v_lshl_add_u64 v[24:25], v[24:25], 0, s[28:29]
	v_mfma_f32_16x16x16_bf16 v[8:11], v[42:43], v[90:91], v[8:11]
	s_or_b64 s[14:15], vcc, s[14:15]
	v_mfma_f32_16x16x16_bf16 v[4:7], v[74:75], v[90:91], v[4:7]
	v_mfma_f32_16x16x16_bf16 v[12:15], v[88:89], v[90:91], v[12:15]
	v_mfma_f32_16x16x16_bf16 v[0:3], v[56:57], v[92:93], v[0:3]
	ds_read2_b64 v[56:59], v100 offset0:16 offset1:20
	v_mfma_f32_16x16x16_bf16 v[8:11], v[38:39], v[92:93], v[8:11]
	v_mfma_f32_16x16x16_bf16 v[4:7], v[72:73], v[92:93], v[4:7]
	v_mfma_f32_16x16x16_bf16 v[12:15], v[86:87], v[92:93], v[12:15]
	s_waitcnt lgkmcnt(0)
	v_mfma_f32_16x16x16_bf16 v[8:11], v[36:37], v[56:57], v[8:11]
	v_mfma_f32_16x16x16_bf16 v[0:3], v[52:53], v[56:57], v[0:3]
	v_mfma_f32_16x16x16_bf16 v[4:7], v[70:71], v[56:57], v[4:7]
	v_mfma_f32_16x16x16_bf16 v[12:15], v[84:85], v[56:57], v[12:15]
	v_mfma_f32_16x16x16_bf16 v[8:11], v[34:35], v[58:59], v[8:11]
	ds_read2_b64 v[34:37], v100 offset0:24 offset1:28
	v_mfma_f32_16x16x16_bf16 v[0:3], v[50:51], v[58:59], v[0:3]
	v_mfma_f32_16x16x16_bf16 v[4:7], v[68:69], v[58:59], v[4:7]
	v_mfma_f32_16x16x16_bf16 v[12:15], v[82:83], v[58:59], v[12:15]
	s_waitcnt lgkmcnt(0)
	v_mfma_f32_16x16x16_bf16 v[8:11], v[32:33], v[34:35], v[8:11]
	v_mfma_f32_16x16x16_bf16 v[0:3], v[48:49], v[34:35], v[0:3]
	;; [unrolled: 10-line block ×3, first 2 shown]
	v_mfma_f32_16x16x16_bf16 v[4:7], v[60:61], v[30:31], v[4:7]
	v_mfma_f32_16x16x16_bf16 v[12:15], v[76:77], v[30:31], v[12:15]
	;; [unrolled: 1-line block ×6, first 2 shown]
	s_andn2_b64 exec, exec, s[14:15]
	s_cbranch_execz .LBB142_35
.LBB142_24:                             ; =>This Inner Loop Header: Depth=1
	v_lshl_add_u64 v[26:27], v[24:25], 0, s[24:25]
	global_load_dword v22, v[24:25], off
	global_load_dword v52, v[26:27], off
	v_add_u32_e32 v26, s23, v97
	v_ashrrev_i32_e32 v27, 31, v26
	v_add_u32_e32 v28, s27, v97
	v_add_u32_e32 v30, s30, v97
	;; [unrolled: 1-line block ×5, first 2 shown]
	v_lshl_add_u64 v[26:27], v[26:27], 2, v[18:19]
	v_ashrrev_i32_e32 v29, 31, v28
	v_ashrrev_i32_e32 v31, 31, v30
	;; [unrolled: 1-line block ×5, first 2 shown]
	v_lshl_add_u64 v[28:29], v[28:29], 2, v[18:19]
	v_lshl_add_u64 v[30:31], v[30:31], 2, v[18:19]
	;; [unrolled: 1-line block ×5, first 2 shown]
	global_load_dword v53, v[26:27], off
	global_load_dword v54, v[28:29], off
	global_load_dword v55, v[30:31], off
	global_load_dword v56, v[32:33], off
	global_load_dword v57, v[34:35], off
	global_load_dword v58, v[36:37], off
	v_add_u32_e32 v26, s35, v97
	v_add_u32_e32 v44, s44, v97
	;; [unrolled: 1-line block ×10, first 2 shown]
	v_ashrrev_i32_e32 v27, 31, v26
	v_ashrrev_i32_e32 v45, 31, v44
	v_ashrrev_i32_e32 v29, 31, v28
	v_ashrrev_i32_e32 v31, 31, v30
	v_ashrrev_i32_e32 v33, 31, v32
	v_ashrrev_i32_e32 v35, 31, v34
	v_ashrrev_i32_e32 v37, 31, v36
	v_ashrrev_i32_e32 v39, 31, v38
	v_ashrrev_i32_e32 v41, 31, v40
	v_ashrrev_i32_e32 v43, 31, v42
	v_lshl_add_u64 v[26:27], v[26:27], 2, v[18:19]
	v_lshl_add_u64 v[44:45], v[44:45], 2, v[18:19]
	v_add_u32_e32 v46, s45, v97
	v_add_u32_e32 v48, s46, v97
	;; [unrolled: 1-line block ×3, first 2 shown]
	v_lshl_add_u64 v[28:29], v[28:29], 2, v[18:19]
	v_lshl_add_u64 v[30:31], v[30:31], 2, v[18:19]
	;; [unrolled: 1-line block ×8, first 2 shown]
	global_load_dword v59, v[26:27], off
	global_load_dword v60, v[28:29], off
	;; [unrolled: 1-line block ×9, first 2 shown]
	s_nop 0
	global_load_dword v44, v[44:45], off
	v_add_u32_e32 v26, s48, v97
	v_ashrrev_i32_e32 v47, 31, v46
	v_ashrrev_i32_e32 v49, 31, v48
	;; [unrolled: 1-line block ×4, first 2 shown]
	v_add_u32_e32 v28, s49, v97
	v_add_u32_e32 v30, s50, v97
	;; [unrolled: 1-line block ×4, first 2 shown]
	v_lshl_add_u64 v[46:47], v[46:47], 2, v[18:19]
	v_lshl_add_u64 v[48:49], v[48:49], 2, v[18:19]
	;; [unrolled: 1-line block ×4, first 2 shown]
	v_ashrrev_i32_e32 v29, 31, v28
	v_ashrrev_i32_e32 v31, 31, v30
	;; [unrolled: 1-line block ×4, first 2 shown]
	v_lshl_add_u64 v[28:29], v[28:29], 2, v[18:19]
	v_lshl_add_u64 v[30:31], v[30:31], 2, v[18:19]
	;; [unrolled: 1-line block ×4, first 2 shown]
	v_add_u32_e32 v36, s58, v97
	v_add_u32_e32 v38, s59, v97
	;; [unrolled: 1-line block ×3, first 2 shown]
	v_ashrrev_i32_e32 v37, 31, v36
	v_ashrrev_i32_e32 v39, 31, v38
	;; [unrolled: 1-line block ×3, first 2 shown]
	v_lshl_add_u64 v[36:37], v[36:37], 2, v[18:19]
	s_waitcnt vmcnt(17)
	ds_write_b32 v99, v22 offset:64
	s_waitcnt vmcnt(16)
	ds_write_b32 v99, v52 offset:328
	;; [unrolled: 2-line block ×8, first 2 shown]
	global_load_dword v22, v[46:47], off
	global_load_dword v45, v[48:49], off
	s_nop 0
	global_load_dword v46, v[50:51], off
	global_load_dword v47, v[26:27], off
	;; [unrolled: 1-line block ×4, first 2 shown]
	s_nop 0
	global_load_dword v50, v[32:33], off
	global_load_dword v51, v[34:35], off
	v_add_u32_e32 v26, s53, v97
	v_ashrrev_i32_e32 v27, 31, v26
	v_add_u32_e32 v28, s54, v97
	v_add_u32_e32 v30, s55, v97
	;; [unrolled: 1-line block ×4, first 2 shown]
	v_lshl_add_u64 v[26:27], v[26:27], 2, v[18:19]
	v_ashrrev_i32_e32 v29, 31, v28
	v_ashrrev_i32_e32 v31, 31, v30
	;; [unrolled: 1-line block ×4, first 2 shown]
	v_lshl_add_u64 v[28:29], v[28:29], 2, v[18:19]
	v_lshl_add_u64 v[30:31], v[30:31], 2, v[18:19]
	v_lshl_add_u64 v[32:33], v[32:33], 2, v[18:19]
	v_lshl_add_u64 v[34:35], v[34:35], 2, v[18:19]
	v_lshl_add_u64 v[38:39], v[38:39], 2, v[18:19]
	v_lshl_add_u64 v[40:41], v[40:41], 2, v[18:19]
	global_load_dword v52, v[26:27], off
	global_load_dword v53, v[28:29], off
	global_load_dword v54, v[30:31], off
	global_load_dword v55, v[32:33], off
	global_load_dword v56, v[34:35], off
	global_load_dword v57, v[36:37], off
	global_load_dword v68, v[38:39], off
	global_load_dword v69, v[40:41], off
	v_add_u32_e32 v26, s61, v97
	v_ashrrev_i32_e32 v27, 31, v26
	v_add_u32_e32 v28, s62, v97
	v_add_u32_e32 v30, s63, v97
	v_add_u32_e32 v32, s64, v97
	v_add_u32_e32 v34, s65, v97
	v_add_u32_e32 v36, s66, v97
	v_add_u32_e32 v38, s67, v97
	v_add_u32_e32 v40, s68, v97
	v_lshl_add_u64 v[26:27], v[26:27], 2, v[18:19]
	v_ashrrev_i32_e32 v29, 31, v28
	v_ashrrev_i32_e32 v31, 31, v30
	v_ashrrev_i32_e32 v33, 31, v32
	v_ashrrev_i32_e32 v35, 31, v34
	v_ashrrev_i32_e32 v37, 31, v36
	v_ashrrev_i32_e32 v39, 31, v38
	v_ashrrev_i32_e32 v41, 31, v40
	v_lshl_add_u64 v[28:29], v[28:29], 2, v[18:19]
	v_lshl_add_u64 v[30:31], v[30:31], 2, v[18:19]
	v_lshl_add_u64 v[32:33], v[32:33], 2, v[18:19]
	v_lshl_add_u64 v[34:35], v[34:35], 2, v[18:19]
	v_lshl_add_u64 v[36:37], v[36:37], 2, v[18:19]
	v_lshl_add_u64 v[38:39], v[38:39], 2, v[18:19]
	v_lshl_add_u64 v[40:41], v[40:41], 2, v[18:19]
	global_load_dword v70, v[26:27], off
	global_load_dword v71, v[28:29], off
	global_load_dword v72, v[30:31], off
	global_load_dword v73, v[32:33], off
	global_load_dword v74, v[34:35], off
	global_load_dword v75, v[36:37], off
	global_load_dword v76, v[38:39], off
	global_load_dword v77, v[40:41], off
	v_add_u32_e32 v26, s69, v97
	v_ashrrev_i32_e32 v27, 31, v26
	v_add_u32_e32 v28, s70, v97
	v_add_u32_e32 v30, s71, v97
	v_add_u32_e32 v32, s72, v97
	v_add_u32_e32 v34, s73, v97
	v_add_u32_e32 v36, s74, v97
	v_add_u32_e32 v38, s75, v97
	v_add_u32_e32 v40, s76, v97
	v_lshl_add_u64 v[26:27], v[26:27], 2, v[18:19]
	v_ashrrev_i32_e32 v29, 31, v28
	v_ashrrev_i32_e32 v31, 31, v30
	v_ashrrev_i32_e32 v33, 31, v32
	v_ashrrev_i32_e32 v35, 31, v34
	v_ashrrev_i32_e32 v37, 31, v36
	v_ashrrev_i32_e32 v39, 31, v38
	v_ashrrev_i32_e32 v41, 31, v40
	v_lshl_add_u64 v[28:29], v[28:29], 2, v[18:19]
	;; [unrolled: 32-line block ×3, first 2 shown]
	v_lshl_add_u64 v[30:31], v[30:31], 2, v[18:19]
	v_lshl_add_u64 v[32:33], v[32:33], 2, v[18:19]
	;; [unrolled: 1-line block ×6, first 2 shown]
	global_load_dword v86, v[26:27], off
	global_load_dword v87, v[28:29], off
	;; [unrolled: 1-line block ×8, first 2 shown]
	v_add_u32_e32 v26, s85, v97
	v_ashrrev_i32_e32 v27, 31, v26
	v_add_u32_e32 v28, s86, v97
	v_add_u32_e32 v30, s87, v97
	;; [unrolled: 1-line block ×5, first 2 shown]
	v_lshl_add_u64 v[26:27], v[26:27], 2, v[18:19]
	v_ashrrev_i32_e32 v29, 31, v28
	v_ashrrev_i32_e32 v31, 31, v30
	;; [unrolled: 1-line block ×5, first 2 shown]
	v_lshl_add_u64 v[28:29], v[28:29], 2, v[18:19]
	v_lshl_add_u64 v[30:31], v[30:31], 2, v[18:19]
	v_lshl_add_u64 v[32:33], v[32:33], 2, v[18:19]
	v_lshl_add_u64 v[34:35], v[34:35], 2, v[18:19]
	v_lshl_add_u64 v[36:37], v[36:37], 2, v[18:19]
	global_load_dword v102, v[26:27], off
	global_load_dword v103, v[28:29], off
	;; [unrolled: 1-line block ×6, first 2 shown]
	s_waitcnt vmcnt(55)
	ds_write_b32 v99, v59 offset:2176
	s_waitcnt vmcnt(54)
	ds_write_b32 v99, v60 offset:2440
	s_waitcnt vmcnt(53)
	ds_write_b32 v99, v61 offset:2704
	s_waitcnt vmcnt(52)
	ds_write_b32 v99, v62 offset:2968
	s_waitcnt vmcnt(51)
	ds_write_b32 v99, v63 offset:3232
	s_waitcnt vmcnt(50)
	ds_write_b32 v99, v64 offset:3496
	s_waitcnt vmcnt(49)
	ds_write_b32 v99, v65 offset:3760
	s_waitcnt vmcnt(48)
	ds_write_b32 v99, v66 offset:4024
	ds_read_b64 v[42:43], v100 offset:64
	ds_read_b64 v[38:39], v100 offset:96
	ds_read_b64 v[36:37], v100 offset:128
	ds_read_b64 v[34:35], v100 offset:160
	ds_read_b64 v[32:33], v100 offset:192
	ds_read_b64 v[30:31], v100 offset:224
	ds_read_b64 v[28:29], v100 offset:256
	ds_read_b64 v[26:27], v100 offset:288
	s_waitcnt vmcnt(47)
	ds_write_b32 v99, v67 offset:64
	s_waitcnt vmcnt(46)
	ds_write_b32 v99, v44 offset:328
	s_waitcnt vmcnt(45)
	ds_write_b32 v99, v22 offset:592
	s_waitcnt vmcnt(44)
	ds_write_b32 v99, v45 offset:856
	s_waitcnt vmcnt(43)
	ds_write_b32 v99, v46 offset:1120
	s_waitcnt vmcnt(42)
	ds_write_b32 v99, v47 offset:1384
	s_waitcnt vmcnt(41)
	ds_write_b32 v99, v48 offset:1648
	s_waitcnt vmcnt(40)
	ds_write_b32 v99, v49 offset:1912
	s_waitcnt vmcnt(39)
	ds_write_b32 v99, v50 offset:2176
	s_waitcnt vmcnt(38)
	ds_write_b32 v99, v51 offset:2440
	s_waitcnt vmcnt(37)
	ds_write_b32 v99, v52 offset:2704
	s_waitcnt vmcnt(36)
	ds_write_b32 v99, v53 offset:2968
	s_waitcnt vmcnt(35)
	ds_write_b32 v99, v54 offset:3232
	s_waitcnt vmcnt(34)
	ds_write_b32 v99, v55 offset:3496
	s_waitcnt vmcnt(33)
	ds_write_b32 v99, v56 offset:3760
	s_waitcnt vmcnt(32)
	ds_write_b32 v99, v57 offset:4024
	ds_read_b64 v[58:59], v100 offset:64
	ds_read_b64 v[56:57], v100 offset:96
	ds_read_b64 v[52:53], v100 offset:128
	ds_read_b64 v[50:51], v100 offset:160
	ds_read_b64 v[48:49], v100 offset:192
	ds_read_b64 v[46:47], v100 offset:224
	ds_read_b64 v[44:45], v100 offset:256
	ds_read_b64 v[40:41], v100 offset:288
	s_waitcnt vmcnt(31)
	ds_write_b32 v99, v68 offset:64
	s_waitcnt vmcnt(30)
	ds_write_b32 v99, v69 offset:328
	s_waitcnt vmcnt(29)
	ds_write_b32 v99, v70 offset:592
	s_waitcnt vmcnt(28)
	ds_write_b32 v99, v71 offset:856
	s_waitcnt vmcnt(27)
	ds_write_b32 v99, v72 offset:1120
	s_waitcnt vmcnt(26)
	ds_write_b32 v99, v73 offset:1384
	s_waitcnt vmcnt(25)
	ds_write_b32 v99, v74 offset:1648
	s_waitcnt vmcnt(24)
	ds_write_b32 v99, v75 offset:1912
	;; [unrolled: 40-line block ×3, first 2 shown]
	s_waitcnt vmcnt(7)
	ds_write_b32 v99, v92 offset:2176
	s_waitcnt vmcnt(6)
	ds_write_b32 v99, v93 offset:2440
	s_waitcnt vmcnt(5)
	ds_write_b32 v99, v102 offset:2704
	s_waitcnt vmcnt(4)
	ds_write_b32 v99, v103 offset:2968
	s_waitcnt vmcnt(3)
	ds_write_b32 v99, v104 offset:3232
	s_waitcnt vmcnt(2)
	ds_write_b32 v99, v105 offset:3496
	s_waitcnt vmcnt(1)
	ds_write_b32 v99, v106 offset:3760
	s_waitcnt vmcnt(0)
	ds_write_b32 v99, v107 offset:4024
	ds_read_b64 v[88:89], v100 offset:64
	ds_read_b64 v[86:87], v100 offset:96
	;; [unrolled: 1-line block ×8, first 2 shown]
	s_andn2_b64 vcc, exec, s[2:3]
	v_mov_b32_e32 v90, 0
	v_mov_b32_e32 v91, 0
	s_cbranch_vccnz .LBB142_28
; %bb.25:                               ;   in Loop: Header=BB142_24 Depth=1
	ds_read_b32 v22, v98
	s_waitcnt lgkmcnt(0)
	v_cmp_gt_i32_e32 vcc, 0, v22
	s_cbranch_vccnz .LBB142_27
; %bb.26:                               ;   in Loop: Header=BB142_24 Depth=1
	v_mul_lo_u32 v22, v22, s21
	v_add_u32_e32 v90, v101, v22
	v_ashrrev_i32_e32 v91, 31, v90
	v_lshl_add_u64 v[90:91], v[90:91], 2, v[20:21]
	global_load_dwordx2 v[90:91], v[90:91], off
	s_branch .LBB142_28
.LBB142_27:                             ;   in Loop: Header=BB142_24 Depth=1
	v_mov_b32_e32 v90, 0
	v_mov_b32_e32 v91, 0
.LBB142_28:                             ;   in Loop: Header=BB142_24 Depth=1
	s_waitcnt vmcnt(0)
	v_cvt_pk_bf16_f32 v22, v90, v91
	v_mov_b32_e32 v90, 0
	s_andn2_b64 vcc, exec, s[0:1]
	v_mov_b32_e32 v92, 0
	v_mov_b32_e32 v93, 0
	ds_write_b32 v99, v22 offset:64
	s_cbranch_vccnz .LBB142_32
; %bb.29:                               ;   in Loop: Header=BB142_24 Depth=1
	ds_read_b32 v22, v98 offset:4
	s_waitcnt lgkmcnt(0)
	v_cmp_gt_i32_e32 vcc, 0, v22
	s_cbranch_vccnz .LBB142_31
; %bb.30:                               ;   in Loop: Header=BB142_24 Depth=1
	v_mul_lo_u32 v22, v22, s21
	v_add_u32_e32 v22, s16, v22
	v_add_u32_e32 v92, v22, v101
	v_ashrrev_i32_e32 v93, 31, v92
	v_lshl_add_u64 v[92:93], v[92:93], 2, v[20:21]
	global_load_dwordx2 v[92:93], v[92:93], off
	s_branch .LBB142_32
.LBB142_31:                             ;   in Loop: Header=BB142_24 Depth=1
	v_mov_b32_e32 v92, 0
	v_mov_b32_e32 v93, 0
.LBB142_32:                             ;   in Loop: Header=BB142_24 Depth=1
	s_waitcnt vmcnt(0)
	v_cvt_pk_bf16_f32 v22, v92, v93
	s_andn2_b64 vcc, exec, s[6:7]
	v_mov_b32_e32 v91, 0
	ds_write_b32 v99, v22 offset:328
	s_cbranch_vccnz .LBB142_23
; %bb.33:                               ;   in Loop: Header=BB142_24 Depth=1
	ds_read_b32 v22, v98 offset:8
	s_waitcnt lgkmcnt(0)
	v_cmp_gt_i32_e32 vcc, 0, v22
	s_cbranch_vccz .LBB142_22
; %bb.34:                               ;   in Loop: Header=BB142_24 Depth=1
	v_mov_b32_e32 v90, 0
	v_mov_b32_e32 v91, 0
	s_branch .LBB142_23
.LBB142_35:
	s_or_b64 exec, exec, s[14:15]
.LBB142_36:
	s_or_b64 exec, exec, s[18:19]
	v_mov_b32_e32 v18, 0x100
	v_lshl_add_u32 v18, v95, 2, v18
	v_mul_u32_u24_e32 v19, 0x708, v96
	v_and_b32_e32 v20, 0x3f0, v16
	v_add3_u32 v19, v18, v19, v20
	v_cmp_gt_u32_e32 vcc, 3, v17
	s_waitcnt lgkmcnt(0)
	s_barrier
	ds_write2_b32 v19, v8, v9 offset0:16 offset1:17
	ds_write2_b32 v19, v10, v11 offset0:18 offset1:19
	;; [unrolled: 1-line block ×8, first 2 shown]
	s_waitcnt lgkmcnt(0)
	s_barrier
	s_and_saveexec_b64 s[0:1], vcc
	s_cbranch_execz .LBB142_39
; %bb.37:
	s_movk_i32 s0, 0xff04
	v_mad_i32_i24 v0, v17, s0, v18
	ds_read_b32 v0, v0
	s_waitcnt lgkmcnt(0)
	v_cmp_lt_i32_e32 vcc, -1, v0
	s_and_b64 s[0:1], vcc, s[8:9]
	s_and_b64 exec, exec, s[0:1]
	s_cbranch_execz .LBB142_39
; %bb.38:
	v_lshlrev_b32_e32 v4, 2, v16
	s_movk_i32 s2, 0x100
	v_mul_u32_u24_e32 v5, 0x708, v17
	v_add3_u32 v10, s2, v4, v5
	ds_read2_b32 v[4:5], v10 offset0:16 offset1:80
	ds_read2_b32 v[6:7], v10 offset0:144 offset1:208
	v_add_u32_e32 v8, 64, v10
	ds_read2st64_b32 v[8:9], v8 offset0:4 offset1:5
	s_mul_hi_i32 s1, s26, s4
	s_waitcnt lgkmcnt(2)
	v_add_f32_e32 v4, 0, v4
	v_add_f32_e32 v4, v4, v5
	ds_read_b32 v5, v10 offset:1600
	s_waitcnt lgkmcnt(2)
	v_add_f32_e32 v4, v4, v6
	s_mul_i32 s0, s26, s4
	v_add_f32_e32 v4, v4, v7
	s_lshl_b64 s[0:1], s[0:1], 2
	s_waitcnt lgkmcnt(1)
	v_add_f32_e32 v4, v4, v8
	v_mul_hi_i32 v3, v94, s17
	v_mul_lo_u32 v2, v94, s17
	s_add_u32 s0, s10, s0
	v_add_f32_e32 v4, v4, v9
	v_add_u32_e32 v1, s5, v16
	s_addc_u32 s1, s11, s1
	v_lshlrev_b64 v[2:3], 2, v[2:3]
	s_waitcnt lgkmcnt(0)
	v_add_f32_e32 v4, v4, v5
	v_mul_lo_u32 v0, v0, s22
	v_mul_lo_u32 v5, v17, s17
	v_lshl_add_u64 v[2:3], s[0:1], 0, v[2:3]
	v_add3_u32 v0, v1, v5, v0
	v_mov_b32_e32 v1, 0
	v_lshl_add_u64 v[0:1], v[0:1], 2, v[2:3]
	global_store_dword v[0:1], v4, off
.LBB142_39:
	s_endpgm
	.section	.rodata,"a",@progbits
	.p2align	6, 0x0
	.amdhsa_kernel _ZL9mul_mat_fI15__hip_bfloat162Li64ELi3ELi7ELb1EEvPKT_PKfPKiPfiiiiiiiiiiiiiiii
		.amdhsa_group_segment_fixed_size 256
		.amdhsa_private_segment_fixed_size 0
		.amdhsa_kernarg_size 352
		.amdhsa_user_sgpr_count 2
		.amdhsa_user_sgpr_dispatch_ptr 0
		.amdhsa_user_sgpr_queue_ptr 0
		.amdhsa_user_sgpr_kernarg_segment_ptr 1
		.amdhsa_user_sgpr_dispatch_id 0
		.amdhsa_user_sgpr_kernarg_preload_length 0
		.amdhsa_user_sgpr_kernarg_preload_offset 0
		.amdhsa_user_sgpr_private_segment_size 0
		.amdhsa_uses_dynamic_stack 0
		.amdhsa_enable_private_segment 0
		.amdhsa_system_sgpr_workgroup_id_x 1
		.amdhsa_system_sgpr_workgroup_id_y 1
		.amdhsa_system_sgpr_workgroup_id_z 1
		.amdhsa_system_sgpr_workgroup_info 0
		.amdhsa_system_vgpr_workitem_id 2
		.amdhsa_next_free_vgpr 108
		.amdhsa_next_free_sgpr 91
		.amdhsa_accum_offset 108
		.amdhsa_reserve_vcc 1
		.amdhsa_float_round_mode_32 0
		.amdhsa_float_round_mode_16_64 0
		.amdhsa_float_denorm_mode_32 3
		.amdhsa_float_denorm_mode_16_64 3
		.amdhsa_dx10_clamp 1
		.amdhsa_ieee_mode 1
		.amdhsa_fp16_overflow 0
		.amdhsa_tg_split 0
		.amdhsa_exception_fp_ieee_invalid_op 0
		.amdhsa_exception_fp_denorm_src 0
		.amdhsa_exception_fp_ieee_div_zero 0
		.amdhsa_exception_fp_ieee_overflow 0
		.amdhsa_exception_fp_ieee_underflow 0
		.amdhsa_exception_fp_ieee_inexact 0
		.amdhsa_exception_int_div_zero 0
	.end_amdhsa_kernel
	.section	.text._ZL9mul_mat_fI15__hip_bfloat162Li64ELi3ELi7ELb1EEvPKT_PKfPKiPfiiiiiiiiiiiiiiii,"axG",@progbits,_ZL9mul_mat_fI15__hip_bfloat162Li64ELi3ELi7ELb1EEvPKT_PKfPKiPfiiiiiiiiiiiiiiii,comdat
.Lfunc_end142:
	.size	_ZL9mul_mat_fI15__hip_bfloat162Li64ELi3ELi7ELb1EEvPKT_PKfPKiPfiiiiiiiiiiiiiiii, .Lfunc_end142-_ZL9mul_mat_fI15__hip_bfloat162Li64ELi3ELi7ELb1EEvPKT_PKfPKiPfiiiiiiiiiiiiiiii
                                        ; -- End function
	.set _ZL9mul_mat_fI15__hip_bfloat162Li64ELi3ELi7ELb1EEvPKT_PKfPKiPfiiiiiiiiiiiiiiii.num_vgpr, 108
	.set _ZL9mul_mat_fI15__hip_bfloat162Li64ELi3ELi7ELb1EEvPKT_PKfPKiPfiiiiiiiiiiiiiiii.num_agpr, 0
	.set _ZL9mul_mat_fI15__hip_bfloat162Li64ELi3ELi7ELb1EEvPKT_PKfPKiPfiiiiiiiiiiiiiiii.numbered_sgpr, 91
	.set _ZL9mul_mat_fI15__hip_bfloat162Li64ELi3ELi7ELb1EEvPKT_PKfPKiPfiiiiiiiiiiiiiiii.num_named_barrier, 0
	.set _ZL9mul_mat_fI15__hip_bfloat162Li64ELi3ELi7ELb1EEvPKT_PKfPKiPfiiiiiiiiiiiiiiii.private_seg_size, 0
	.set _ZL9mul_mat_fI15__hip_bfloat162Li64ELi3ELi7ELb1EEvPKT_PKfPKiPfiiiiiiiiiiiiiiii.uses_vcc, 1
	.set _ZL9mul_mat_fI15__hip_bfloat162Li64ELi3ELi7ELb1EEvPKT_PKfPKiPfiiiiiiiiiiiiiiii.uses_flat_scratch, 0
	.set _ZL9mul_mat_fI15__hip_bfloat162Li64ELi3ELi7ELb1EEvPKT_PKfPKiPfiiiiiiiiiiiiiiii.has_dyn_sized_stack, 0
	.set _ZL9mul_mat_fI15__hip_bfloat162Li64ELi3ELi7ELb1EEvPKT_PKfPKiPfiiiiiiiiiiiiiiii.has_recursion, 0
	.set _ZL9mul_mat_fI15__hip_bfloat162Li64ELi3ELi7ELb1EEvPKT_PKfPKiPfiiiiiiiiiiiiiiii.has_indirect_call, 0
	.section	.AMDGPU.csdata,"",@progbits
; Kernel info:
; codeLenInByte = 5496
; TotalNumSgprs: 97
; NumVgprs: 108
; NumAgprs: 0
; TotalNumVgprs: 108
; ScratchSize: 0
; MemoryBound: 0
; FloatMode: 240
; IeeeMode: 1
; LDSByteSize: 256 bytes/workgroup (compile time only)
; SGPRBlocks: 12
; VGPRBlocks: 13
; NumSGPRsForWavesPerEU: 97
; NumVGPRsForWavesPerEU: 108
; AccumOffset: 108
; Occupancy: 4
; WaveLimiterHint : 0
; COMPUTE_PGM_RSRC2:SCRATCH_EN: 0
; COMPUTE_PGM_RSRC2:USER_SGPR: 2
; COMPUTE_PGM_RSRC2:TRAP_HANDLER: 0
; COMPUTE_PGM_RSRC2:TGID_X_EN: 1
; COMPUTE_PGM_RSRC2:TGID_Y_EN: 1
; COMPUTE_PGM_RSRC2:TGID_Z_EN: 1
; COMPUTE_PGM_RSRC2:TIDIG_COMP_CNT: 2
; COMPUTE_PGM_RSRC3_GFX90A:ACCUM_OFFSET: 26
; COMPUTE_PGM_RSRC3_GFX90A:TG_SPLIT: 0
	.section	.text._ZL9mul_mat_fI15__hip_bfloat162Li64ELi3ELi7ELb0EEvPKT_PKfPKiPfiiiiiiiiiiiiiiii,"axG",@progbits,_ZL9mul_mat_fI15__hip_bfloat162Li64ELi3ELi7ELb0EEvPKT_PKfPKiPfiiiiiiiiiiiiiiii,comdat
	.globl	_ZL9mul_mat_fI15__hip_bfloat162Li64ELi3ELi7ELb0EEvPKT_PKfPKiPfiiiiiiiiiiiiiiii ; -- Begin function _ZL9mul_mat_fI15__hip_bfloat162Li64ELi3ELi7ELb0EEvPKT_PKfPKiPfiiiiiiiiiiiiiiii
	.p2align	8
	.type	_ZL9mul_mat_fI15__hip_bfloat162Li64ELi3ELi7ELb0EEvPKT_PKfPKiPfiiiiiiiiiiiiiiii,@function
_ZL9mul_mat_fI15__hip_bfloat162Li64ELi3ELi7ELb0EEvPKT_PKfPKiPfiiiiiiiiiiiiiiii: ; @_ZL9mul_mat_fI15__hip_bfloat162Li64ELi3ELi7ELb0EEvPKT_PKfPKiPfiiiiiiiiiiiiiiii
; %bb.0:
	s_load_dword s5, s[0:1], 0x20
	s_load_dwordx4 s[16:19], s[0:1], 0x2c
	v_bfe_u32 v84, v0, 10, 10
	v_lshlrev_b32_e32 v86, 6, v84
	v_and_b32_e32 v85, 0x3ff, v0
	v_add_u32_e32 v88, v86, v85
	s_waitcnt lgkmcnt(0)
	s_ashr_i32 s19, s4, 31
	v_cmp_le_i32_e32 vcc, s5, v88
	v_and_b32_e32 v87, 15, v85
	s_and_saveexec_b64 s[6:7], vcc
	s_xor_b64 s[6:7], exec, s[6:7]
; %bb.1:
	v_and_b32_e32 v87, 15, v85
                                        ; implicit-def: $vgpr88
; %bb.2:
	s_or_saveexec_b64 s[24:25], s[6:7]
	s_load_dwordx8 s[8:15], s[0:1], 0x40
	s_load_dwordx2 s[6:7], s[0:1], 0x18
	v_mov_b32_e32 v11, 0
	s_lshl_b32 s2, s2, 6
	v_lshlrev_b32_e32 v16, 2, v85
	v_mov_b32_e32 v10, v11
	v_mov_b32_e32 v9, v11
	;; [unrolled: 1-line block ×15, first 2 shown]
	s_xor_b64 exec, exec, s[24:25]
	s_cbranch_execz .LBB143_6
; %bb.3:
	s_waitcnt lgkmcnt(0)
	s_abs_i32 s26, s8
	v_cvt_f32_u32_e32 v0, s26
	s_abs_i32 s27, s12
	v_cvt_f32_u32_e32 v1, s27
	s_sub_i32 s20, 0, s26
	v_rcp_iflag_f32_e32 v0, v0
	s_abs_i32 s28, s3
	v_rcp_iflag_f32_e32 v1, v1
	s_sub_i32 s21, 0, s27
	v_mul_f32_e32 v0, 0x4f7ffffe, v0
	v_cvt_u32_f32_e32 v0, v0
	v_mul_f32_e32 v1, 0x4f7ffffe, v1
	v_cvt_u32_f32_e32 v1, v1
	s_abs_i32 s29, s4
	v_mul_lo_u32 v2, s20, v0
	v_mul_hi_u32 v2, v0, v2
	v_add_u32_e32 v0, v0, v2
	v_mul_hi_u32 v0, s28, v0
	v_mul_lo_u32 v3, s21, v1
	v_mul_lo_u32 v2, v0, s26
	v_mul_hi_u32 v3, v1, v3
	v_sub_u32_e32 v2, s28, v2
	v_add_u32_e32 v1, v1, v3
	v_add_u32_e32 v3, 1, v0
	v_subrev_u32_e32 v4, s26, v2
	v_cmp_le_u32_e32 vcc, s26, v2
	s_load_dwordx4 s[20:23], s[0:1], 0x0
	s_ashr_i32 s0, s3, 31
	v_cndmask_b32_e32 v0, v0, v3, vcc
	v_cndmask_b32_e32 v2, v2, v4, vcc
	s_ashr_i32 s1, s8, 31
	v_add_u32_e32 v3, 1, v0
	v_cmp_le_u32_e32 vcc, s26, v2
	s_xor_b32 s0, s0, s1
	v_mul_hi_u32 v1, s29, v1
	v_cndmask_b32_e32 v0, v0, v3, vcc
	v_xor_b32_e32 v0, s0, v0
	v_subrev_u32_e32 v2, s0, v0
	v_mul_lo_u32 v0, v1, s27
	v_sub_u32_e32 v0, s29, v0
	v_add_u32_e32 v3, 1, v1
	v_subrev_u32_e32 v4, s27, v0
	v_cmp_le_u32_e32 vcc, s27, v0
	s_ashr_i32 s8, s12, 31
	s_xor_b32 s0, s19, s8
	v_cndmask_b32_e32 v1, v1, v3, vcc
	v_cndmask_b32_e32 v0, v0, v4, vcc
	v_add_u32_e32 v3, 1, v1
	v_cmp_le_u32_e32 vcc, s27, v0
	v_mul_lo_u32 v2, v2, s9
	s_mul_hi_i32 s9, s14, s4
	v_cndmask_b32_e32 v0, v1, v3, vcc
	v_xor_b32_e32 v0, s0, v0
	s_mul_i32 s8, s14, s4
	v_subrev_u32_e32 v0, s0, v0
	s_lshl_b64 s[26:27], s[8:9], 2
	v_mul_hi_i32 v1, v0, s13
	v_mul_lo_u32 v0, v0, s13
	s_mul_i32 s0, s16, s2
	s_waitcnt lgkmcnt(0)
	s_add_u32 s8, s22, s26
	v_ashrrev_i32_e32 v3, 31, v2
	v_lshlrev_b64 v[0:1], 2, v[0:1]
	s_mul_i32 s12, s10, s3
	s_addc_u32 s9, s23, s27
	s_ashr_i32 s1, s0, 31
	v_lshl_add_u64 v[4:5], s[20:21], 0, v[0:1]
	v_lshlrev_b64 v[2:3], 2, v[2:3]
	s_lshl_b64 s[74:75], s[0:1], 2
	s_ashr_i32 s13, s12, 31
	v_lshl_add_u64 v[4:5], v[4:5], 0, v[2:3]
	s_lshl_b64 s[28:29], s[12:13], 2
	v_lshl_add_u64 v[2:3], v[2:3], 0, s[74:75]
	s_add_u32 s0, s8, s28
	s_movk_i32 s8, 0x1080
	v_mov_b32_e32 v21, 0
	v_lshlrev_b32_e32 v20, 8, v84
	v_lshl_add_u64 v[0:1], v[2:3], 0, v[0:1]
	v_lshl_add_u64 v[18:19], v[4:5], 0, s[74:75]
	s_addc_u32 s1, s9, s29
	v_mad_u32_u24 v4, v84, s8, 0
	s_ashr_i32 s9, s16, 31
	s_mov_b32 s8, s16
	s_ashr_i32 s13, s17, 31
	s_mov_b32 s12, s17
	v_lshl_add_u64 v[0:1], v[0:1], 0, v[20:21]
	v_mov_b32_e32 v17, v21
	s_add_i32 s10, s16, s16
	s_add_i32 s14, s17, s17
	s_lshl_b32 s30, s16, 2
	s_lshl_b32 s35, s16, 3
	;; [unrolled: 1-line block ×4, first 2 shown]
	s_lshl_b64 s[8:9], s[8:9], 2
	s_lshl_b64 s[12:13], s[12:13], 3
	v_lshl_add_u64 v[0:1], v[0:1], 0, v[16:17]
	v_lshlrev_b32_e32 v20, 9, v84
	v_lshrrev_b32_e32 v6, 1, v85
	s_add_u32 s22, s22, s28
	v_lshl_add_u64 v[22:23], s[20:21], 0, v[0:1]
	v_lshl_add_u64 v[0:1], s[26:27], 0, v[20:21]
	v_lshlrev_b32_e32 v20, 3, v85
	v_mul_u32_u24_e32 v5, 0x108, v87
	v_and_b32_e32 v6, 0x1f8, v6
	s_addc_u32 s23, s23, s29
	v_lshl_add_u64 v[0:1], v[0:1], 0, v[20:21]
	v_add_u32_e32 v89, v4, v16
	v_add3_u32 v90, v4, v5, v6
	s_mul_i32 s19, s16, 3
	s_mul_i32 s31, s16, 5
	;; [unrolled: 1-line block ×47, first 2 shown]
	v_lshl_add_u64 v[24:25], s[22:23], 0, v[0:1]
	s_mul_i32 s77, s16, 54
	s_mul_i32 s78, s16, 55
	v_mov_b32_e32 v12, 0
	v_mov_b32_e32 v13, v21
	;; [unrolled: 1-line block ×16, first 2 shown]
	s_mul_i32 s79, s16, 56
	s_mul_i32 s80, s16, 57
	;; [unrolled: 1-line block ×8, first 2 shown]
	s_mov_b64 s[16:17], 0
	s_mov_b64 s[20:21], 0x700
	;; [unrolled: 1-line block ×3, first 2 shown]
.LBB143_4:                              ; =>This Inner Loop Header: Depth=1
	v_add_u32_e32 v82, s10, v88
	v_add_u32_e32 v74, s19, v88
	;; [unrolled: 1-line block ×8, first 2 shown]
	v_lshl_add_u64 v[80:81], v[22:23], 0, s[8:9]
	v_add_u32_e32 v78, s30, v88
	v_add_u32_e32 v68, s33, v88
	v_add_u32_e32 v56, s35, v88
	v_add_u32_e32 v50, s37, v88
	v_add_u32_e32 v42, s39, v88
	v_add_u32_e32 v26, s42, v88
	v_add_u32_e32 v38, s43, v88
	v_ashrrev_i32_e32 v83, 31, v82
	v_ashrrev_i32_e32 v75, 31, v74
	v_ashrrev_i32_e32 v63, 31, v62
	v_ashrrev_i32_e32 v49, 31, v48
	v_ashrrev_i32_e32 v41, 31, v40
	v_ashrrev_i32_e32 v33, 31, v32
	v_ashrrev_i32_e32 v31, 31, v30
	v_ashrrev_i32_e32 v35, 31, v34
	v_add_u32_e32 v28, s44, v88
	v_add_u32_e32 v44, s45, v88
	global_load_dword v91, v[80:81], off
	v_lshl_add_u64 v[80:81], v[82:83], 2, v[18:19]
	v_ashrrev_i32_e32 v79, 31, v78
	v_lshl_add_u64 v[74:75], v[74:75], 2, v[18:19]
	v_ashrrev_i32_e32 v69, 31, v68
	;; [unrolled: 2-line block ×5, first 2 shown]
	v_lshl_add_u64 v[32:33], v[32:33], 2, v[18:19]
	v_lshl_add_u64 v[30:31], v[30:31], 2, v[18:19]
	;; [unrolled: 1-line block ×3, first 2 shown]
	v_ashrrev_i32_e32 v27, 31, v26
	v_ashrrev_i32_e32 v39, 31, v38
	v_add_u32_e32 v36, s46, v88
	v_add_u32_e32 v52, s47, v88
	global_load_dword v82, v[80:81], off
	v_lshl_add_u64 v[92:93], v[78:79], 2, v[18:19]
	global_load_dword v78, v[74:75], off
	global_load_dword v79, v[92:93], off
	v_lshl_add_u64 v[68:69], v[68:69], 2, v[18:19]
	global_load_dword v62, v[62:63], off
	s_nop 0
	global_load_dword v63, v[68:69], off
	v_lshl_add_u64 v[56:57], v[56:57], 2, v[18:19]
	global_load_dword v48, v[48:49], off
	s_nop 0
	;; [unrolled: 4-line block ×4, first 2 shown]
	global_load_dword v32, v[42:43], off
	s_nop 0
	global_load_dword v30, v[30:31], off
	s_nop 0
	global_load_dword v31, v[34:35], off
	v_lshl_add_u64 v[26:27], v[26:27], 2, v[18:19]
	v_lshl_add_u64 v[34:35], v[38:39], 2, v[18:19]
	v_ashrrev_i32_e32 v29, 31, v28
	v_ashrrev_i32_e32 v45, 31, v44
	v_add_u32_e32 v46, s48, v88
	v_add_u32_e32 v58, s49, v88
	global_load_dword v27, v[26:27], off
	s_nop 0
	global_load_dword v26, v[34:35], off
	v_lshl_add_u64 v[28:29], v[28:29], 2, v[18:19]
	v_lshl_add_u64 v[34:35], v[44:45], 2, v[18:19]
	v_ashrrev_i32_e32 v37, 31, v36
	v_ashrrev_i32_e32 v53, 31, v52
	v_add_u32_e32 v54, s50, v88
	v_add_u32_e32 v64, s51, v88
	;; [unrolled: 9-line block ×6, first 2 shown]
	global_load_dword v39, v[42:43], off
	global_load_dword v41, v[44:45], off
	v_lshl_add_u64 v[42:43], v[66:67], 2, v[18:19]
	v_lshl_add_u64 v[44:45], v[76:77], 2, v[18:19]
	v_ashrrev_i32_e32 v73, 31, v72
	v_ashrrev_i32_e32 v81, 31, v80
	v_add_u32_e32 v56, s60, v88
	v_add_u32_e32 v50, s61, v88
	global_load_dword v42, v[42:43], off
	s_nop 0
	global_load_dword v43, v[44:45], off
	v_lshl_add_u64 v[44:45], v[72:73], 2, v[18:19]
	v_lshl_add_u64 v[46:47], v[80:81], 2, v[18:19]
	v_ashrrev_i32_e32 v75, 31, v74
	v_ashrrev_i32_e32 v69, 31, v68
	v_add_u32_e32 v92, s62, v88
	v_add_u32_e32 v94, s63, v88
	global_load_dword v44, v[44:45], off
	s_nop 0
	;; [unrolled: 9-line block ×3, first 2 shown]
	global_load_dword v46, v[52:53], off
	v_lshl_add_u64 v[52:53], v[56:57], 2, v[18:19]
	v_lshl_add_u64 v[54:55], v[50:51], 2, v[18:19]
	v_ashrrev_i32_e32 v93, 31, v92
	v_ashrrev_i32_e32 v95, 31, v94
	v_add_u32_e32 v100, s66, v88
	v_add_u32_e32 v58, s67, v88
	;; [unrolled: 1-line block ×3, first 2 shown]
	global_load_dword v50, v[52:53], off
	global_load_dword v51, v[54:55], off
	v_lshl_add_u64 v[52:53], v[92:93], 2, v[18:19]
	v_lshl_add_u64 v[54:55], v[94:95], 2, v[18:19]
	v_ashrrev_i32_e32 v97, 31, v96
	v_ashrrev_i32_e32 v99, 31, v98
	v_add_u32_e32 v60, s69, v88
	v_add_u32_e32 v66, s70, v88
	;; [unrolled: 1-line block ×3, first 2 shown]
	global_load_dword v52, v[52:53], off
	s_nop 0
	global_load_dword v53, v[54:55], off
	v_lshl_add_u64 v[54:55], v[96:97], 2, v[18:19]
	v_lshl_add_u64 v[56:57], v[98:99], 2, v[18:19]
	v_ashrrev_i32_e32 v101, 31, v100
	v_ashrrev_i32_e32 v59, 31, v58
	;; [unrolled: 1-line block ×3, first 2 shown]
	v_add_u32_e32 v68, s72, v88
	v_add_u32_e32 v72, s28, v88
	global_load_dword v54, v[54:55], off
	s_nop 0
	global_load_dword v55, v[56:57], off
	v_lshl_add_u64 v[56:57], v[100:101], 2, v[18:19]
	v_lshl_add_u64 v[58:59], v[58:59], 2, v[18:19]
	v_ashrrev_i32_e32 v61, 31, v60
	v_lshl_add_u64 v[64:65], v[64:65], 2, v[18:19]
	v_ashrrev_i32_e32 v67, 31, v66
	v_ashrrev_i32_e32 v71, 31, v70
	v_add_u32_e32 v74, s29, v88
	global_load_dword v56, v[56:57], off
	s_nop 0
	global_load_dword v57, v[58:59], off
	v_add_u32_e32 v58, s74, v88
	v_lshl_add_u64 v[60:61], v[60:61], 2, v[18:19]
	global_load_dword v80, v[64:65], off
	global_load_dword v81, v[60:61], off
	v_lshl_add_u64 v[64:65], v[66:67], 2, v[18:19]
	v_lshl_add_u64 v[66:67], v[70:71], 2, v[18:19]
	v_ashrrev_i32_e32 v69, 31, v68
	v_ashrrev_i32_e32 v73, 31, v72
	v_add_u32_e32 v76, s73, v88
	v_add_u32_e32 v60, s75, v88
	global_load_dword v83, v[64:65], off
	global_load_dword v92, v[66:67], off
	v_lshl_add_u64 v[66:67], v[68:69], 2, v[18:19]
	v_lshl_add_u64 v[68:69], v[72:73], 2, v[18:19]
	v_ashrrev_i32_e32 v75, 31, v74
	v_ashrrev_i32_e32 v59, 31, v58
	v_add_u32_e32 v64, s76, v88
	global_load_dword v72, v[66:67], off
	global_load_dword v73, v[68:69], off
	v_add_u32_e32 v66, s26, v88
	v_ashrrev_i32_e32 v77, 31, v76
	v_lshl_add_u64 v[68:69], v[74:75], 2, v[18:19]
	v_ashrrev_i32_e32 v61, 31, v60
	v_lshl_add_u64 v[58:59], v[58:59], 2, v[18:19]
	v_lshl_add_u64 v[70:71], v[76:77], 2, v[18:19]
	global_load_dword v74, v[68:69], off
	global_load_dword v75, v[70:71], off
	v_add_u32_e32 v68, s27, v88
	v_lshl_add_u64 v[60:61], v[60:61], 2, v[18:19]
	global_load_dword v76, v[58:59], off
	global_load_dword v77, v[60:61], off
	v_add_u32_e32 v58, s77, v88
	v_ashrrev_i32_e32 v65, 31, v64
	v_ashrrev_i32_e32 v67, 31, v66
	v_lshl_add_u64 v[60:61], v[64:65], 2, v[18:19]
	v_lshl_add_u64 v[64:65], v[66:67], 2, v[18:19]
	v_ashrrev_i32_e32 v69, 31, v68
	v_ashrrev_i32_e32 v59, 31, v58
	global_load_dword v93, v[60:61], off
	global_load_dword v94, v[64:65], off
	v_lshl_add_u64 v[64:65], v[68:69], 2, v[18:19]
	v_lshl_add_u64 v[58:59], v[58:59], 2, v[18:19]
	v_add_u32_e32 v60, s78, v88
	global_load_dword v95, v[64:65], off
	global_load_dword v96, v[58:59], off
	v_add_u32_e32 v58, s79, v88
	v_ashrrev_i32_e32 v61, 31, v60
	v_ashrrev_i32_e32 v59, 31, v58
	v_lshl_add_u64 v[60:61], v[60:61], 2, v[18:19]
	v_lshl_add_u64 v[58:59], v[58:59], 2, v[18:19]
	global_load_dword v97, v[60:61], off
	global_load_dword v98, v[58:59], off
	v_add_u32_e32 v58, s80, v88
	v_ashrrev_i32_e32 v59, 31, v58
	v_lshl_add_u64 v[58:59], v[58:59], 2, v[18:19]
	global_load_dword v99, v[58:59], off
	v_add_u32_e32 v58, s81, v88
	v_ashrrev_i32_e32 v59, 31, v58
	v_lshl_add_u64 v[58:59], v[58:59], 2, v[18:19]
	;; [unrolled: 4-line block ×7, first 2 shown]
	global_load_dword v105, v[58:59], off
	s_nop 0
	global_load_dword v58, v[22:23], off
	s_waitcnt vmcnt(62)
	ds_write_b32 v89, v91 offset:264
	v_lshl_add_u64 v[22:23], v[22:23], 0, s[20:21]
	s_waitcnt vmcnt(0)
	ds_write_b32 v89, v58
	global_load_dwordx2 v[58:59], v[24:25], off
	s_waitcnt vmcnt(0)
	v_cvt_pk_bf16_f32 v106, v58, v59
	v_lshl_add_u64 v[58:59], v[24:25], 0, s[12:13]
	global_load_dwordx2 v[58:59], v[58:59], off
	ds_write_b32 v89, v82 offset:528
	ds_write_b32 v89, v78 offset:792
	;; [unrolled: 1-line block ×8, first 2 shown]
	v_add_u32_e32 v48, s14, v88
	v_ashrrev_i32_e32 v49, 31, v48
	v_lshl_add_u64 v[48:49], v[48:49], 3, s[0:1]
	global_load_dwordx2 v[48:49], v[48:49], off
	ds_write_b32 v89, v17 offset:2640
	ds_write_b32 v89, v20 offset:2904
	;; [unrolled: 1-line block ×6, first 2 shown]
	v_add_u32_e32 v88, 0x1c0, v88
	v_cmp_le_i32_e32 vcc, s5, v88
	s_or_b64 s[16:17], vcc, s[16:17]
	v_lshl_add_u64 v[24:25], v[24:25], 0, s[22:23]
	s_waitcnt vmcnt(1)
	v_cvt_pk_bf16_f32 v91, v58, v59
	s_waitcnt vmcnt(0)
	v_cvt_pk_bf16_f32 v17, v48, v49
	ds_read_b64 v[30:31], v90
	ds_read_b64 v[48:49], v90 offset:32
	ds_read_b64 v[58:59], v90 offset:64
	ds_read_b64 v[60:61], v90 offset:96
	ds_read_b64 v[62:63], v90 offset:128
	ds_read_b64 v[64:65], v90 offset:160
	ds_read_b64 v[66:67], v90 offset:192
	ds_read_b64 v[68:69], v90 offset:224
	ds_write_b32 v89, v26
	ds_write_b32 v89, v28 offset:264
	ds_write_b32 v89, v29 offset:528
	ds_write_b32 v89, v33 offset:792
	ds_write_b32 v89, v34 offset:1056
	ds_write_b32 v89, v35 offset:1320
	ds_write_b32 v89, v36 offset:1584
	ds_write_b32 v89, v37 offset:1848
	ds_write_b32 v89, v38 offset:2112
	ds_write_b32 v89, v39 offset:2376
	ds_write_b32 v89, v41 offset:2640
	ds_write_b32 v89, v42 offset:2904
	ds_write_b32 v89, v43 offset:3168
	ds_write_b32 v89, v44 offset:3432
	ds_write_b32 v89, v45 offset:3696
	ds_write_b32 v89, v47 offset:3960
	ds_read_b64 v[26:27], v90
	ds_read_b64 v[28:29], v90 offset:32
	ds_read_b64 v[32:33], v90 offset:64
	ds_read_b64 v[34:35], v90 offset:96
	ds_read_b64 v[36:37], v90 offset:128
	ds_read_b64 v[38:39], v90 offset:160
	ds_read_b64 v[40:41], v90 offset:192
	ds_read_b64 v[42:43], v90 offset:224
	ds_write_b32 v89, v46
	ds_write_b32 v89, v50 offset:264
	ds_write_b32 v89, v51 offset:528
	ds_write_b32 v89, v52 offset:792
	ds_write_b32 v89, v53 offset:1056
	ds_write_b32 v89, v54 offset:1320
	ds_write_b32 v89, v55 offset:1584
	ds_write_b32 v89, v56 offset:1848
	ds_write_b32 v89, v57 offset:2112
	ds_write_b32 v89, v80 offset:2376
	ds_write_b32 v89, v81 offset:2640
	ds_write_b32 v89, v83 offset:2904
	ds_write_b32 v89, v92 offset:3168
	ds_write_b32 v89, v72 offset:3432
	ds_write_b32 v89, v73 offset:3696
	ds_write_b32 v89, v74 offset:3960
	;; [unrolled: 24-line block ×4, first 2 shown]
	ds_read_b64 v[98:99], v90
	s_waitcnt lgkmcnt(0)
	v_mfma_f32_16x16x16_bf16 v[4:7], v[26:27], v[98:99], v[4:7]
	ds_read_b64 v[26:27], v90 offset:32
	v_mfma_f32_16x16x16_bf16 v[8:11], v[30:31], v[98:99], v[8:11]
	v_mfma_f32_16x16x16_bf16 v[0:3], v[44:45], v[98:99], v[0:3]
	;; [unrolled: 1-line block ×3, first 2 shown]
	s_waitcnt lgkmcnt(0)
	v_mfma_f32_16x16x16_bf16 v[8:11], v[48:49], v[26:27], v[8:11]
	v_mfma_f32_16x16x16_bf16 v[4:7], v[28:29], v[26:27], v[4:7]
	v_mfma_f32_16x16x16_bf16 v[0:3], v[46:47], v[26:27], v[0:3]
	v_mfma_f32_16x16x16_bf16 v[12:15], v[76:77], v[26:27], v[12:15]
	ds_read_b64 v[26:27], v90 offset:64
	s_waitcnt lgkmcnt(0)
	v_mfma_f32_16x16x16_bf16 v[8:11], v[58:59], v[26:27], v[8:11]
	v_mfma_f32_16x16x16_bf16 v[4:7], v[32:33], v[26:27], v[4:7]
	v_mfma_f32_16x16x16_bf16 v[0:3], v[50:51], v[26:27], v[0:3]
	v_mfma_f32_16x16x16_bf16 v[12:15], v[78:79], v[26:27], v[12:15]
	ds_read_b64 v[26:27], v90 offset:96
	;; [unrolled: 6-line block ×6, first 2 shown]
	s_waitcnt lgkmcnt(0)
	v_mfma_f32_16x16x16_bf16 v[8:11], v[68:69], v[26:27], v[8:11]
	v_mfma_f32_16x16x16_bf16 v[4:7], v[42:43], v[26:27], v[4:7]
	;; [unrolled: 1-line block ×4, first 2 shown]
	s_andn2_b64 exec, exec, s[16:17]
	s_cbranch_execnz .LBB143_4
; %bb.5:
	s_or_b64 exec, exec, s[16:17]
.LBB143_6:
	s_or_b64 exec, exec, s[24:25]
	v_lshl_add_u32 v17, v86, 2, 0
	v_mul_u32_u24_e32 v18, 0x708, v87
	v_and_b32_e32 v19, 0x3f0, v85
	v_add3_u32 v17, v17, v18, v19
	v_cmp_gt_u32_e32 vcc, 3, v84
	s_waitcnt lgkmcnt(0)
	s_barrier
	ds_write2_b32 v17, v8, v9 offset1:1
	ds_write2_b32 v17, v10, v11 offset0:2 offset1:3
	ds_write2_b32 v17, v4, v5 offset0:16 offset1:17
	;; [unrolled: 1-line block ×7, first 2 shown]
	s_waitcnt lgkmcnt(0)
	s_barrier
	s_and_saveexec_b64 s[0:1], vcc
	s_cbranch_execz .LBB143_8
; %bb.7:
	v_mul_u32_u24_e32 v0, 0x708, v84
	v_add3_u32 v6, 0, v16, v0
	ds_read2st64_b32 v[0:1], v6 offset1:1
	ds_read2st64_b32 v[2:3], v6 offset0:2 offset1:3
	ds_read2st64_b32 v[4:5], v6 offset0:4 offset1:5
	ds_read_b32 v6, v6 offset:1536
	s_mul_hi_i32 s1, s15, s4
	s_mul_i32 s0, s15, s4
	s_lshl_b64 s[0:1], s[0:1], 2
	s_waitcnt lgkmcnt(3)
	v_add_f32_e32 v0, 0, v0
	v_add_f32_e32 v0, v0, v1
	s_waitcnt lgkmcnt(2)
	v_add_f32_e32 v0, v0, v2
	s_mul_i32 s4, s11, s3
	s_add_u32 s3, s6, s0
	v_add_f32_e32 v0, v0, v3
	s_addc_u32 s6, s7, s1
	s_ashr_i32 s5, s4, 31
	s_waitcnt lgkmcnt(1)
	v_add_f32_e32 v0, v0, v4
	s_lshl_b64 s[0:1], s[4:5], 2
	v_add_f32_e32 v0, v0, v5
	s_add_u32 s0, s3, s0
	s_waitcnt lgkmcnt(0)
	v_add_f32_e32 v2, v0, v6
	v_mul_lo_u32 v0, v84, s18
	s_addc_u32 s1, s6, s1
	v_add3_u32 v0, s2, v85, v0
	v_mov_b32_e32 v1, 0
	v_lshl_add_u64 v[0:1], v[0:1], 2, s[0:1]
	global_store_dword v[0:1], v2, off
.LBB143_8:
	s_endpgm
	.section	.rodata,"a",@progbits
	.p2align	6, 0x0
	.amdhsa_kernel _ZL9mul_mat_fI15__hip_bfloat162Li64ELi3ELi7ELb0EEvPKT_PKfPKiPfiiiiiiiiiiiiiiii
		.amdhsa_group_segment_fixed_size 0
		.amdhsa_private_segment_fixed_size 0
		.amdhsa_kernarg_size 96
		.amdhsa_user_sgpr_count 2
		.amdhsa_user_sgpr_dispatch_ptr 0
		.amdhsa_user_sgpr_queue_ptr 0
		.amdhsa_user_sgpr_kernarg_segment_ptr 1
		.amdhsa_user_sgpr_dispatch_id 0
		.amdhsa_user_sgpr_kernarg_preload_length 0
		.amdhsa_user_sgpr_kernarg_preload_offset 0
		.amdhsa_user_sgpr_private_segment_size 0
		.amdhsa_uses_dynamic_stack 0
		.amdhsa_enable_private_segment 0
		.amdhsa_system_sgpr_workgroup_id_x 1
		.amdhsa_system_sgpr_workgroup_id_y 1
		.amdhsa_system_sgpr_workgroup_id_z 1
		.amdhsa_system_sgpr_workgroup_info 0
		.amdhsa_system_vgpr_workitem_id 1
		.amdhsa_next_free_vgpr 107
		.amdhsa_next_free_sgpr 87
		.amdhsa_accum_offset 108
		.amdhsa_reserve_vcc 1
		.amdhsa_float_round_mode_32 0
		.amdhsa_float_round_mode_16_64 0
		.amdhsa_float_denorm_mode_32 3
		.amdhsa_float_denorm_mode_16_64 3
		.amdhsa_dx10_clamp 1
		.amdhsa_ieee_mode 1
		.amdhsa_fp16_overflow 0
		.amdhsa_tg_split 0
		.amdhsa_exception_fp_ieee_invalid_op 0
		.amdhsa_exception_fp_denorm_src 0
		.amdhsa_exception_fp_ieee_div_zero 0
		.amdhsa_exception_fp_ieee_overflow 0
		.amdhsa_exception_fp_ieee_underflow 0
		.amdhsa_exception_fp_ieee_inexact 0
		.amdhsa_exception_int_div_zero 0
	.end_amdhsa_kernel
	.section	.text._ZL9mul_mat_fI15__hip_bfloat162Li64ELi3ELi7ELb0EEvPKT_PKfPKiPfiiiiiiiiiiiiiiii,"axG",@progbits,_ZL9mul_mat_fI15__hip_bfloat162Li64ELi3ELi7ELb0EEvPKT_PKfPKiPfiiiiiiiiiiiiiiii,comdat
.Lfunc_end143:
	.size	_ZL9mul_mat_fI15__hip_bfloat162Li64ELi3ELi7ELb0EEvPKT_PKfPKiPfiiiiiiiiiiiiiiii, .Lfunc_end143-_ZL9mul_mat_fI15__hip_bfloat162Li64ELi3ELi7ELb0EEvPKT_PKfPKiPfiiiiiiiiiiiiiiii
                                        ; -- End function
	.set _ZL9mul_mat_fI15__hip_bfloat162Li64ELi3ELi7ELb0EEvPKT_PKfPKiPfiiiiiiiiiiiiiiii.num_vgpr, 107
	.set _ZL9mul_mat_fI15__hip_bfloat162Li64ELi3ELi7ELb0EEvPKT_PKfPKiPfiiiiiiiiiiiiiiii.num_agpr, 0
	.set _ZL9mul_mat_fI15__hip_bfloat162Li64ELi3ELi7ELb0EEvPKT_PKfPKiPfiiiiiiiiiiiiiiii.numbered_sgpr, 87
	.set _ZL9mul_mat_fI15__hip_bfloat162Li64ELi3ELi7ELb0EEvPKT_PKfPKiPfiiiiiiiiiiiiiiii.num_named_barrier, 0
	.set _ZL9mul_mat_fI15__hip_bfloat162Li64ELi3ELi7ELb0EEvPKT_PKfPKiPfiiiiiiiiiiiiiiii.private_seg_size, 0
	.set _ZL9mul_mat_fI15__hip_bfloat162Li64ELi3ELi7ELb0EEvPKT_PKfPKiPfiiiiiiiiiiiiiiii.uses_vcc, 1
	.set _ZL9mul_mat_fI15__hip_bfloat162Li64ELi3ELi7ELb0EEvPKT_PKfPKiPfiiiiiiiiiiiiiiii.uses_flat_scratch, 0
	.set _ZL9mul_mat_fI15__hip_bfloat162Li64ELi3ELi7ELb0EEvPKT_PKfPKiPfiiiiiiiiiiiiiiii.has_dyn_sized_stack, 0
	.set _ZL9mul_mat_fI15__hip_bfloat162Li64ELi3ELi7ELb0EEvPKT_PKfPKiPfiiiiiiiiiiiiiiii.has_recursion, 0
	.set _ZL9mul_mat_fI15__hip_bfloat162Li64ELi3ELi7ELb0EEvPKT_PKfPKiPfiiiiiiiiiiiiiiii.has_indirect_call, 0
	.section	.AMDGPU.csdata,"",@progbits
; Kernel info:
; codeLenInByte = 4312
; TotalNumSgprs: 93
; NumVgprs: 107
; NumAgprs: 0
; TotalNumVgprs: 107
; ScratchSize: 0
; MemoryBound: 0
; FloatMode: 240
; IeeeMode: 1
; LDSByteSize: 0 bytes/workgroup (compile time only)
; SGPRBlocks: 11
; VGPRBlocks: 13
; NumSGPRsForWavesPerEU: 93
; NumVGPRsForWavesPerEU: 107
; AccumOffset: 108
; Occupancy: 4
; WaveLimiterHint : 0
; COMPUTE_PGM_RSRC2:SCRATCH_EN: 0
; COMPUTE_PGM_RSRC2:USER_SGPR: 2
; COMPUTE_PGM_RSRC2:TRAP_HANDLER: 0
; COMPUTE_PGM_RSRC2:TGID_X_EN: 1
; COMPUTE_PGM_RSRC2:TGID_Y_EN: 1
; COMPUTE_PGM_RSRC2:TGID_Z_EN: 1
; COMPUTE_PGM_RSRC2:TIDIG_COMP_CNT: 1
; COMPUTE_PGM_RSRC3_GFX90A:ACCUM_OFFSET: 26
; COMPUTE_PGM_RSRC3_GFX90A:TG_SPLIT: 0
	.section	.text._ZL13mul_mat_f_idsI15__hip_bfloat162Li64ELi3ELi8EEvPKT_PKfPKiS7_S7_Pfiiiiiiiiiiiiii15HIP_vector_typeIjLj3EESA_,"axG",@progbits,_ZL13mul_mat_f_idsI15__hip_bfloat162Li64ELi3ELi8EEvPKT_PKfPKiS7_S7_Pfiiiiiiiiiiiiii15HIP_vector_typeIjLj3EESA_,comdat
	.globl	_ZL13mul_mat_f_idsI15__hip_bfloat162Li64ELi3ELi8EEvPKT_PKfPKiS7_S7_Pfiiiiiiiiiiiiii15HIP_vector_typeIjLj3EESA_ ; -- Begin function _ZL13mul_mat_f_idsI15__hip_bfloat162Li64ELi3ELi8EEvPKT_PKfPKiS7_S7_Pfiiiiiiiiiiiiii15HIP_vector_typeIjLj3EESA_
	.p2align	8
	.type	_ZL13mul_mat_f_idsI15__hip_bfloat162Li64ELi3ELi8EEvPKT_PKfPKiS7_S7_Pfiiiiiiiiiiiiii15HIP_vector_typeIjLj3EESA_,@function
_ZL13mul_mat_f_idsI15__hip_bfloat162Li64ELi3ELi8EEvPKT_PKfPKiS7_S7_Pfiiiiiiiiiiiiii15HIP_vector_typeIjLj3EESA_: ; @_ZL13mul_mat_f_idsI15__hip_bfloat162Li64ELi3ELi8EEvPKT_PKfPKiS7_S7_Pfiiiiiiiiiiiiii15HIP_vector_typeIjLj3EESA_
; %bb.0:
	s_load_dwordx2 s[6:7], s[0:1], 0x20
	s_mov_b32 s34, s3
	s_ashr_i32 s35, s3, 31
	s_lshl_b64 s[8:9], s[34:35], 2
	s_waitcnt lgkmcnt(0)
	s_add_u32 s6, s6, s8
	s_addc_u32 s7, s7, s9
	s_load_dwordx2 s[26:27], s[6:7], 0x0
	s_waitcnt lgkmcnt(0)
	s_sub_i32 s33, s27, s26
	s_add_i32 s3, s33, 2
	s_mul_hi_i32 s3, s3, 0x55555556
	s_lshr_b32 s5, s3, 31
	s_add_i32 s3, s3, s5
	s_cmp_ge_i32 s4, s3
	s_cbranch_scc1 .LBB144_20
; %bb.1:
	v_bfe_u32 v85, v0, 10, 10
	v_lshlrev_b32_e32 v86, 6, v85
	v_and_b32_e32 v84, 0x3ff, v0
	s_load_dwordx4 s[12:15], s[0:1], 0x30
	s_load_dwordx2 s[20:21], s[0:1], 0x40
	s_load_dwordx4 s[8:11], s[0:1], 0x4c
	s_load_dwordx4 s[16:19], s[0:1], 0x68
	s_load_dwordx2 s[24:25], s[0:1], 0x78
	v_add_u32_e32 v88, v86, v84
	s_ashr_i32 s27, s26, 31
	s_waitcnt lgkmcnt(0)
	v_cmp_le_i32_e32 vcc, s12, v88
	v_and_b32_e32 v87, 15, v84
	s_and_saveexec_b64 s[6:7], vcc
	s_xor_b64 s[6:7], exec, s[6:7]
; %bb.2:
	v_and_b32_e32 v87, 15, v84
                                        ; implicit-def: $vgpr88
; %bb.3:
	s_or_saveexec_b64 s[30:31], s[6:7]
	s_load_dwordx2 s[6:7], s[0:1], 0x18
                                        ; implicit-def: $vgpr101 : SGPR spill to VGPR lane
	v_mov_b32_e32 v15, 0
	s_lshl_b32 s11, s2, 6
	s_mul_i32 s2, s4, 3
	v_mov_b32_e32 v14, v15
	s_waitcnt lgkmcnt(0)
	v_writelane_b32 v101, s6, 0
	v_mov_b32_e32 v13, v15
	v_mov_b32_e32 v12, v15
	v_writelane_b32 v101, s7, 1
	s_load_dwordx2 s[6:7], s[0:1], 0x28
	v_mov_b32_e32 v7, v15
	v_mov_b32_e32 v6, v15
	;; [unrolled: 1-line block ×4, first 2 shown]
	s_waitcnt lgkmcnt(0)
	v_writelane_b32 v101, s6, 2
	v_mov_b32_e32 v3, v15
	v_mov_b32_e32 v2, v15
	;; [unrolled: 1-line block ×8, first 2 shown]
	v_writelane_b32 v101, s7, 3
	s_xor_b64 exec, exec, s[30:31]
	s_cbranch_execz .LBB144_16
; %bb.4:
	s_load_dwordx4 s[4:7], s[0:1], 0x0
	s_load_dwordx2 s[22:23], s[0:1], 0x10
	s_mul_i32 s0, s8, s34
	s_ashr_i32 s1, s0, 31
	v_writelane_b32 v101, s24, 4
	s_lshl_b64 s[44:45], s[0:1], 2
	s_waitcnt lgkmcnt(0)
	s_add_u32 s0, s4, s44
	v_writelane_b32 v101, s25, 5
	s_mul_i32 s24, s15, s11
	s_addc_u32 s1, s5, s45
	s_ashr_i32 s25, s24, 31
	s_lshl_b64 s[46:47], s[24:25], 2
	s_add_u32 s0, s0, s46
	s_addc_u32 s1, s1, s47
	s_lshl_b64 s[24:25], s[26:27], 2
	s_add_u32 s8, s22, s24
	s_addc_u32 s24, s23, s25
	s_movk_i32 s3, 0x1080
	s_cmp_lt_i32 s2, s33
	v_mad_u32_u24 v1, v85, s3, 0
	s_cselect_b64 s[34:35], -1, 0
	s_ashr_i32 s3, s2, 31
	s_lshl_b64 s[22:23], s[2:3], 2
	s_add_u32 s36, s8, s22
	s_addc_u32 s37, s24, s23
	s_add_i32 s3, s2, 1
	s_cmp_lt_i32 s3, s33
	s_cselect_b64 s[38:39], -1, 0
	s_add_i32 s3, s2, 2
	s_cmp_lt_i32 s3, s33
	s_cselect_b64 s[40:41], -1, 0
	s_ashr_i32 s23, s15, 31
	s_mov_b32 s22, s15
	s_add_i32 s3, s15, s15
	s_lshl_b32 s48, s15, 2
	s_lshl_b32 s52, s15, 3
	;; [unrolled: 1-line block ×4, first 2 shown]
	s_lshl_b64 s[42:43], s[22:23], 2
	v_lshrrev_b32_e32 v3, 1, v84
	s_add_u32 s22, s44, s46
	v_mov_b32_e32 v17, 0
	v_lshlrev_b32_e32 v0, 2, v84
	v_mul_u32_u24_e32 v2, 0x108, v87
	v_and_b32_e32 v3, 0x1f8, v3
	s_addc_u32 s23, s45, s47
	v_lshlrev_b32_e32 v16, 8, v85
	v_add_u32_e32 v89, v1, v0
	v_add3_u32 v90, v1, v2, v3
	v_lshl_add_u64 v[2:3], s[22:23], 0, v[16:17]
	v_mov_b32_e32 v1, v17
	v_lshl_add_u64 v[0:1], v[2:3], 0, v[0:1]
	s_mul_i32 s8, s15, 3
	s_mul_i32 s49, s15, 5
	;; [unrolled: 1-line block ×43, first 2 shown]
	v_lshl_add_u64 v[18:19], s[4:5], 0, v[0:1]
	v_mov_b32_e32 v8, 0
	v_mov_b32_e32 v9, v17
	;; [unrolled: 1-line block ×16, first 2 shown]
	s_mul_i32 s90, s15, 50
	s_mul_i32 s91, s15, 51
	;; [unrolled: 1-line block ×14, first 2 shown]
	s_mov_b32 s23, 0x5040100
	s_mov_b64 s[4:5], 0
	s_branch .LBB144_6
.LBB144_5:                              ;   in Loop: Header=BB144_6 Depth=1
	v_perm_b32 v16, v16, v91, s23
	v_perm_b32 v91, v93, v94, s23
	ds_write2_b32 v89, v16, v91 offset1:66
	v_perm_b32 v16, v95, v92, s23
	ds_write2_b32 v89, v16, v17 offset0:132 offset1:198
	v_add_u32_e32 v16, 0x400, v89
	ds_write2_b32 v16, v17, v17 offset0:8 offset1:74
	ds_write2_b32 v16, v17, v17 offset0:140 offset1:206
	v_add_u32_e32 v16, 0x800, v89
	ds_write2_b32 v16, v17, v17 offset0:16 offset1:82
	;; [unrolled: 3-line block ×3, first 2 shown]
	ds_write2_b32 v16, v17, v17 offset0:156 offset1:222
	ds_read2_b64 v[92:95], v90 offset1:4
	s_waitcnt lgkmcnt(0)
	v_mfma_f32_16x16x16_bf16 v[0:3], v[52:53], v[92:93], v[0:3]
	v_add_u32_e32 v88, 0x200, v88
	s_mov_b64 vcc, 0x800
	v_lshl_add_u64 v[18:19], v[18:19], 0, vcc
	v_mfma_f32_16x16x16_bf16 v[8:11], v[36:37], v[92:93], v[8:11]
	v_cmp_le_i32_e32 vcc, s12, v88
	s_or_b64 s[4:5], vcc, s[4:5]
	v_mfma_f32_16x16x16_bf16 v[4:7], v[68:69], v[92:93], v[4:7]
	v_mfma_f32_16x16x16_bf16 v[12:15], v[82:83], v[92:93], v[12:15]
	v_mfma_f32_16x16x16_bf16 v[0:3], v[50:51], v[94:95], v[0:3]
	ds_read2_b64 v[50:53], v90 offset0:8 offset1:12
	v_mfma_f32_16x16x16_bf16 v[8:11], v[32:33], v[94:95], v[8:11]
	v_mfma_f32_16x16x16_bf16 v[4:7], v[66:67], v[94:95], v[4:7]
	v_mfma_f32_16x16x16_bf16 v[12:15], v[80:81], v[94:95], v[12:15]
	s_waitcnt lgkmcnt(0)
	v_mfma_f32_16x16x16_bf16 v[8:11], v[30:31], v[50:51], v[8:11]
	v_mfma_f32_16x16x16_bf16 v[0:3], v[46:47], v[50:51], v[0:3]
	v_mfma_f32_16x16x16_bf16 v[4:7], v[64:65], v[50:51], v[4:7]
	v_mfma_f32_16x16x16_bf16 v[12:15], v[76:77], v[50:51], v[12:15]
	v_mfma_f32_16x16x16_bf16 v[8:11], v[28:29], v[52:53], v[8:11]
	ds_read2_b64 v[28:31], v90 offset0:16 offset1:20
	v_mfma_f32_16x16x16_bf16 v[0:3], v[44:45], v[52:53], v[0:3]
	v_mfma_f32_16x16x16_bf16 v[4:7], v[62:63], v[52:53], v[4:7]
	v_mfma_f32_16x16x16_bf16 v[12:15], v[72:73], v[52:53], v[12:15]
	s_waitcnt lgkmcnt(0)
	v_mfma_f32_16x16x16_bf16 v[8:11], v[26:27], v[28:29], v[8:11]
	v_mfma_f32_16x16x16_bf16 v[0:3], v[42:43], v[28:29], v[0:3]
	;; [unrolled: 10-line block ×3, first 2 shown]
	v_mfma_f32_16x16x16_bf16 v[4:7], v[54:55], v[24:25], v[4:7]
	v_mfma_f32_16x16x16_bf16 v[12:15], v[70:71], v[24:25], v[12:15]
	;; [unrolled: 1-line block ×6, first 2 shown]
	s_andn2_b64 exec, exec, s[4:5]
	s_cbranch_execz .LBB144_15
.LBB144_6:                              ; =>This Inner Loop Header: Depth=1
	v_lshl_add_u64 v[20:21], v[18:19], 0, s[42:43]
	global_load_dword v16, v[18:19], off
	global_load_dword v46, v[20:21], off
	v_add_u32_e32 v20, s3, v88
	v_ashrrev_i32_e32 v21, 31, v20
	v_add_u32_e32 v22, s8, v88
	v_add_u32_e32 v24, s48, v88
	v_add_u32_e32 v26, s49, v88
	v_add_u32_e32 v28, s50, v88
	v_add_u32_e32 v30, s51, v88
	v_lshl_add_u64 v[20:21], v[20:21], 2, s[0:1]
	v_ashrrev_i32_e32 v23, 31, v22
	v_ashrrev_i32_e32 v25, 31, v24
	;; [unrolled: 1-line block ×5, first 2 shown]
	v_lshl_add_u64 v[22:23], v[22:23], 2, s[0:1]
	v_lshl_add_u64 v[24:25], v[24:25], 2, s[0:1]
	;; [unrolled: 1-line block ×5, first 2 shown]
	global_load_dword v47, v[20:21], off
	global_load_dword v48, v[22:23], off
	;; [unrolled: 1-line block ×6, first 2 shown]
	v_add_u32_e32 v20, s52, v88
	v_add_u32_e32 v38, s61, v88
	;; [unrolled: 1-line block ×10, first 2 shown]
	v_ashrrev_i32_e32 v21, 31, v20
	v_ashrrev_i32_e32 v39, 31, v38
	;; [unrolled: 1-line block ×10, first 2 shown]
	v_lshl_add_u64 v[20:21], v[20:21], 2, s[0:1]
	v_lshl_add_u64 v[38:39], v[38:39], 2, s[0:1]
	v_add_u32_e32 v40, s62, v88
	v_add_u32_e32 v42, s63, v88
	;; [unrolled: 1-line block ×3, first 2 shown]
	v_lshl_add_u64 v[22:23], v[22:23], 2, s[0:1]
	v_lshl_add_u64 v[24:25], v[24:25], 2, s[0:1]
	v_lshl_add_u64 v[26:27], v[26:27], 2, s[0:1]
	v_lshl_add_u64 v[28:29], v[28:29], 2, s[0:1]
	v_lshl_add_u64 v[30:31], v[30:31], 2, s[0:1]
	v_lshl_add_u64 v[32:33], v[32:33], 2, s[0:1]
	v_lshl_add_u64 v[34:35], v[34:35], 2, s[0:1]
	v_lshl_add_u64 v[36:37], v[36:37], 2, s[0:1]
	global_load_dword v53, v[20:21], off
	global_load_dword v54, v[22:23], off
	;; [unrolled: 1-line block ×9, first 2 shown]
	s_nop 0
	global_load_dword v38, v[38:39], off
	v_add_u32_e32 v20, s65, v88
	v_ashrrev_i32_e32 v41, 31, v40
	v_ashrrev_i32_e32 v43, 31, v42
	;; [unrolled: 1-line block ×4, first 2 shown]
	v_add_u32_e32 v22, s66, v88
	v_add_u32_e32 v24, s67, v88
	;; [unrolled: 1-line block ×4, first 2 shown]
	v_lshl_add_u64 v[40:41], v[40:41], 2, s[0:1]
	v_lshl_add_u64 v[42:43], v[42:43], 2, s[0:1]
	;; [unrolled: 1-line block ×4, first 2 shown]
	v_ashrrev_i32_e32 v23, 31, v22
	v_ashrrev_i32_e32 v25, 31, v24
	;; [unrolled: 1-line block ×4, first 2 shown]
	v_lshl_add_u64 v[22:23], v[22:23], 2, s[0:1]
	v_lshl_add_u64 v[24:25], v[24:25], 2, s[0:1]
	;; [unrolled: 1-line block ×4, first 2 shown]
	v_add_u32_e32 v30, s75, v88
	v_add_u32_e32 v32, s76, v88
	;; [unrolled: 1-line block ×3, first 2 shown]
	v_ashrrev_i32_e32 v31, 31, v30
	v_ashrrev_i32_e32 v33, 31, v32
	;; [unrolled: 1-line block ×3, first 2 shown]
	v_lshl_add_u64 v[30:31], v[30:31], 2, s[0:1]
	s_waitcnt vmcnt(17)
	ds_write_b32 v89, v16
	s_waitcnt vmcnt(16)
	ds_write_b32 v89, v46 offset:264
	s_waitcnt vmcnt(15)
	ds_write_b32 v89, v47 offset:528
	;; [unrolled: 2-line block ×7, first 2 shown]
	global_load_dword v16, v[40:41], off
	global_load_dword v39, v[42:43], off
	s_nop 0
	global_load_dword v40, v[44:45], off
	global_load_dword v41, v[20:21], off
	;; [unrolled: 1-line block ×4, first 2 shown]
	s_nop 0
	global_load_dword v44, v[26:27], off
	global_load_dword v45, v[28:29], off
	v_add_u32_e32 v20, s70, v88
	v_ashrrev_i32_e32 v21, 31, v20
	v_add_u32_e32 v22, s71, v88
	v_add_u32_e32 v24, s72, v88
	;; [unrolled: 1-line block ×4, first 2 shown]
	v_lshl_add_u64 v[20:21], v[20:21], 2, s[0:1]
	v_ashrrev_i32_e32 v23, 31, v22
	v_ashrrev_i32_e32 v25, 31, v24
	;; [unrolled: 1-line block ×4, first 2 shown]
	v_lshl_add_u64 v[22:23], v[22:23], 2, s[0:1]
	v_lshl_add_u64 v[24:25], v[24:25], 2, s[0:1]
	v_lshl_add_u64 v[26:27], v[26:27], 2, s[0:1]
	v_lshl_add_u64 v[28:29], v[28:29], 2, s[0:1]
	v_lshl_add_u64 v[32:33], v[32:33], 2, s[0:1]
	v_lshl_add_u64 v[34:35], v[34:35], 2, s[0:1]
	global_load_dword v46, v[20:21], off
	global_load_dword v47, v[22:23], off
	global_load_dword v48, v[24:25], off
	global_load_dword v49, v[26:27], off
	global_load_dword v50, v[28:29], off
	global_load_dword v51, v[30:31], off
	global_load_dword v62, v[32:33], off
	global_load_dword v63, v[34:35], off
	v_add_u32_e32 v20, s78, v88
	v_ashrrev_i32_e32 v21, 31, v20
	v_add_u32_e32 v22, s79, v88
	v_add_u32_e32 v24, s80, v88
	v_add_u32_e32 v26, s81, v88
	v_add_u32_e32 v28, s82, v88
	v_add_u32_e32 v30, s83, v88
	v_add_u32_e32 v32, s84, v88
	v_add_u32_e32 v34, s85, v88
	v_lshl_add_u64 v[20:21], v[20:21], 2, s[0:1]
	v_ashrrev_i32_e32 v23, 31, v22
	v_ashrrev_i32_e32 v25, 31, v24
	v_ashrrev_i32_e32 v27, 31, v26
	v_ashrrev_i32_e32 v29, 31, v28
	v_ashrrev_i32_e32 v31, 31, v30
	v_ashrrev_i32_e32 v33, 31, v32
	v_ashrrev_i32_e32 v35, 31, v34
	v_lshl_add_u64 v[22:23], v[22:23], 2, s[0:1]
	v_lshl_add_u64 v[24:25], v[24:25], 2, s[0:1]
	v_lshl_add_u64 v[26:27], v[26:27], 2, s[0:1]
	v_lshl_add_u64 v[28:29], v[28:29], 2, s[0:1]
	v_lshl_add_u64 v[30:31], v[30:31], 2, s[0:1]
	v_lshl_add_u64 v[32:33], v[32:33], 2, s[0:1]
	v_lshl_add_u64 v[34:35], v[34:35], 2, s[0:1]
	global_load_dword v64, v[20:21], off
	global_load_dword v65, v[22:23], off
	global_load_dword v66, v[24:25], off
	global_load_dword v67, v[26:27], off
	global_load_dword v68, v[28:29], off
	global_load_dword v69, v[30:31], off
	global_load_dword v70, v[32:33], off
	global_load_dword v71, v[34:35], off
	v_add_u32_e32 v20, s44, v88
	v_ashrrev_i32_e32 v21, 31, v20
	v_add_u32_e32 v22, s45, v88
	v_add_u32_e32 v24, s46, v88
	v_add_u32_e32 v26, s47, v88
	v_add_u32_e32 v28, s86, v88
	v_add_u32_e32 v30, s87, v88
	v_add_u32_e32 v32, s88, v88
	v_add_u32_e32 v34, s89, v88
	v_lshl_add_u64 v[20:21], v[20:21], 2, s[0:1]
	v_ashrrev_i32_e32 v23, 31, v22
	v_ashrrev_i32_e32 v25, 31, v24
	v_ashrrev_i32_e32 v27, 31, v26
	v_ashrrev_i32_e32 v29, 31, v28
	v_ashrrev_i32_e32 v31, 31, v30
	v_ashrrev_i32_e32 v33, 31, v32
	v_ashrrev_i32_e32 v35, 31, v34
	v_lshl_add_u64 v[22:23], v[22:23], 2, s[0:1]
	;; [unrolled: 32-line block ×3, first 2 shown]
	v_lshl_add_u64 v[24:25], v[24:25], 2, s[0:1]
	v_lshl_add_u64 v[26:27], v[26:27], 2, s[0:1]
	;; [unrolled: 1-line block ×6, first 2 shown]
	global_load_dword v80, v[20:21], off
	global_load_dword v81, v[22:23], off
	;; [unrolled: 1-line block ×8, first 2 shown]
	v_add_u32_e32 v20, s98, v88
	v_ashrrev_i32_e32 v21, 31, v20
	v_add_u32_e32 v22, s99, v88
	v_add_u32_e32 v24, s24, v88
	;; [unrolled: 1-line block ×5, first 2 shown]
	v_lshl_add_u64 v[20:21], v[20:21], 2, s[0:1]
	v_ashrrev_i32_e32 v23, 31, v22
	v_ashrrev_i32_e32 v25, 31, v24
	;; [unrolled: 1-line block ×5, first 2 shown]
	v_lshl_add_u64 v[22:23], v[22:23], 2, s[0:1]
	v_lshl_add_u64 v[24:25], v[24:25], 2, s[0:1]
	;; [unrolled: 1-line block ×5, first 2 shown]
	global_load_dword v95, v[20:21], off
	global_load_dword v96, v[22:23], off
	;; [unrolled: 1-line block ×6, first 2 shown]
	s_waitcnt vmcnt(55)
	ds_write_b32 v89, v53 offset:2112
	s_waitcnt vmcnt(54)
	ds_write_b32 v89, v54 offset:2376
	s_waitcnt vmcnt(53)
	ds_write_b32 v89, v55 offset:2640
	s_waitcnt vmcnt(52)
	ds_write_b32 v89, v56 offset:2904
	s_waitcnt vmcnt(51)
	ds_write_b32 v89, v57 offset:3168
	s_waitcnt vmcnt(50)
	ds_write_b32 v89, v58 offset:3432
	s_waitcnt vmcnt(49)
	ds_write_b32 v89, v59 offset:3696
	s_waitcnt vmcnt(48)
	ds_write_b32 v89, v60 offset:3960
	ds_read_b64 v[36:37], v90
	ds_read_b64 v[32:33], v90 offset:32
	ds_read_b64 v[30:31], v90 offset:64
	ds_read_b64 v[28:29], v90 offset:96
	ds_read_b64 v[26:27], v90 offset:128
	ds_read_b64 v[24:25], v90 offset:160
	ds_read_b64 v[22:23], v90 offset:192
	ds_read_b64 v[20:21], v90 offset:224
	s_waitcnt vmcnt(47)
	ds_write_b32 v89, v61
	s_waitcnt vmcnt(46)
	ds_write_b32 v89, v38 offset:264
	s_waitcnt vmcnt(45)
	ds_write_b32 v89, v16 offset:528
	s_waitcnt vmcnt(44)
	ds_write_b32 v89, v39 offset:792
	s_waitcnt vmcnt(43)
	ds_write_b32 v89, v40 offset:1056
	s_waitcnt vmcnt(42)
	ds_write_b32 v89, v41 offset:1320
	s_waitcnt vmcnt(41)
	ds_write_b32 v89, v42 offset:1584
	s_waitcnt vmcnt(40)
	ds_write_b32 v89, v43 offset:1848
	s_waitcnt vmcnt(39)
	ds_write_b32 v89, v44 offset:2112
	s_waitcnt vmcnt(38)
	ds_write_b32 v89, v45 offset:2376
	s_waitcnt vmcnt(37)
	ds_write_b32 v89, v46 offset:2640
	s_waitcnt vmcnt(36)
	ds_write_b32 v89, v47 offset:2904
	s_waitcnt vmcnt(35)
	ds_write_b32 v89, v48 offset:3168
	s_waitcnt vmcnt(34)
	ds_write_b32 v89, v49 offset:3432
	s_waitcnt vmcnt(33)
	ds_write_b32 v89, v50 offset:3696
	s_waitcnt vmcnt(32)
	ds_write_b32 v89, v51 offset:3960
	ds_read_b64 v[52:53], v90
	ds_read_b64 v[50:51], v90 offset:32
	ds_read_b64 v[46:47], v90 offset:64
	ds_read_b64 v[44:45], v90 offset:96
	ds_read_b64 v[42:43], v90 offset:128
	ds_read_b64 v[40:41], v90 offset:160
	ds_read_b64 v[38:39], v90 offset:192
	ds_read_b64 v[34:35], v90 offset:224
	s_waitcnt vmcnt(31)
	ds_write_b32 v89, v62
	s_waitcnt vmcnt(30)
	ds_write_b32 v89, v63 offset:264
	s_waitcnt vmcnt(29)
	ds_write_b32 v89, v64 offset:528
	s_waitcnt vmcnt(28)
	ds_write_b32 v89, v65 offset:792
	s_waitcnt vmcnt(27)
	ds_write_b32 v89, v66 offset:1056
	s_waitcnt vmcnt(26)
	ds_write_b32 v89, v67 offset:1320
	s_waitcnt vmcnt(25)
	ds_write_b32 v89, v68 offset:1584
	s_waitcnt vmcnt(24)
	ds_write_b32 v89, v69 offset:1848
	;; [unrolled: 40-line block ×3, first 2 shown]
	s_waitcnt vmcnt(7)
	ds_write_b32 v89, v93 offset:2112
	s_waitcnt vmcnt(6)
	ds_write_b32 v89, v94 offset:2376
	;; [unrolled: 2-line block ×8, first 2 shown]
	ds_read_b64 v[82:83], v90
	ds_read_b64 v[80:81], v90 offset:32
	ds_read_b64 v[76:77], v90 offset:64
	;; [unrolled: 1-line block ×7, first 2 shown]
	s_andn2_b64 vcc, exec, s[34:35]
	v_mov_b32_e32 v91, 0
	v_mov_b32_e32 v16, 0
	s_cbranch_vccnz .LBB144_9
; %bb.7:                                ;   in Loop: Header=BB144_6 Depth=1
	s_load_dword vcc_lo, s[36:37], 0x0
	v_mov_b32_e32 v16, 0
	v_mov_b32_e32 v91, 0
	s_waitcnt lgkmcnt(0)
	s_mul_hi_u32 vcc_hi, vcc_lo, s16
	s_add_i32 vcc_hi, vcc_lo, vcc_hi
	s_lshr_b32 s28, vcc_hi, s17
	s_cmp_ge_i32 s28, s13
	s_cbranch_scc1 .LBB144_9
; %bb.8:                                ;   in Loop: Header=BB144_6 Depth=1
	s_mul_i32 vcc_hi, s28, s18
	s_sub_i32 s29, vcc_lo, vcc_hi
	s_mul_i32 s28, s28, s20
	s_mul_i32 s29, s29, s9
	v_add_u32_e32 v16, s28, v88
	v_lshl_add_u32 v92, v16, 1, s29
	v_ashrrev_i32_e32 v93, 31, v92
	v_lshl_add_u64 v[92:93], v[92:93], 2, s[6:7]
	global_load_dwordx2 v[92:93], v[92:93], off
	s_waitcnt vmcnt(0)
	v_cvt_pk_bf16_f32 v91, v92, s0
	v_cvt_pk_bf16_f32 v16, v93, s0
.LBB144_9:                              ;   in Loop: Header=BB144_6 Depth=1
	v_mov_b32_e32 v92, 0
	s_andn2_b64 vcc, exec, s[38:39]
	v_mov_b32_e32 v94, 0
	v_mov_b32_e32 v93, 0
	s_cbranch_vccnz .LBB144_12
; %bb.10:                               ;   in Loop: Header=BB144_6 Depth=1
	s_load_dword vcc_lo, s[36:37], 0x4
	v_mov_b32_e32 v93, 0
	v_mov_b32_e32 v94, 0
	s_waitcnt lgkmcnt(0)
	s_mul_hi_u32 s28, vcc_lo, s16
	s_add_i32 s28, vcc_lo, s28
	s_lshr_b32 vcc_hi, s28, s17
	s_cmp_ge_i32 vcc_hi, s13
	s_cbranch_scc1 .LBB144_12
; %bb.11:                               ;   in Loop: Header=BB144_6 Depth=1
	s_mul_i32 s28, vcc_hi, s18
	s_sub_i32 s28, vcc_lo, s28
	s_mul_i32 vcc_hi, vcc_hi, s20
	s_mul_i32 s28, s28, s9
	v_add_u32_e32 v93, vcc_hi, v88
	v_lshl_add_u32 v94, v93, 1, s28
	v_ashrrev_i32_e32 v95, 31, v94
	v_lshl_add_u64 v[94:95], v[94:95], 2, s[6:7]
	global_load_dwordx2 v[94:95], v[94:95], off
	s_waitcnt vmcnt(0)
	v_cvt_pk_bf16_f32 v94, v94, s0
	v_cvt_pk_bf16_f32 v93, v95, s0
.LBB144_12:                             ;   in Loop: Header=BB144_6 Depth=1
	s_andn2_b64 vcc, exec, s[40:41]
	v_mov_b32_e32 v95, 0
	s_cbranch_vccnz .LBB144_5
; %bb.13:                               ;   in Loop: Header=BB144_6 Depth=1
	s_load_dword vcc_lo, s[36:37], 0x8
	v_mov_b32_e32 v95, 0
	v_mov_b32_e32 v92, 0
	s_waitcnt lgkmcnt(0)
	s_mul_hi_u32 s28, vcc_lo, s16
	s_add_i32 s28, vcc_lo, s28
	s_lshr_b32 vcc_hi, s28, s17
	s_cmp_ge_i32 vcc_hi, s13
	s_cbranch_scc1 .LBB144_5
; %bb.14:                               ;   in Loop: Header=BB144_6 Depth=1
	s_mul_i32 s28, vcc_hi, s18
	s_sub_i32 s28, vcc_lo, s28
	s_mul_i32 vcc_hi, vcc_hi, s20
	s_mul_i32 s28, s28, s9
	v_add_u32_e32 v92, vcc_hi, v88
	v_lshl_add_u32 v96, v92, 1, s28
	v_ashrrev_i32_e32 v97, 31, v96
	v_lshl_add_u64 v[96:97], v[96:97], 2, s[6:7]
	global_load_dwordx2 v[96:97], v[96:97], off
	s_waitcnt vmcnt(0)
	v_cvt_pk_bf16_f32 v92, v96, s0
	v_cvt_pk_bf16_f32 v95, v97, s0
	s_branch .LBB144_5
.LBB144_15:
	s_or_b64 exec, exec, s[4:5]
	v_readlane_b32 s24, v101, 4
	v_readlane_b32 s25, v101, 5
.LBB144_16:
	s_or_b64 exec, exec, s[30:31]
	v_lshl_add_u32 v16, v86, 2, 0
	v_mul_u32_u24_e32 v17, 0x808, v87
	v_and_b32_e32 v18, 0x3f0, v84
	v_add3_u32 v16, v16, v17, v18
	v_cmp_gt_u32_e32 vcc, 3, v85
	s_barrier
	ds_write2_b32 v16, v8, v9 offset1:1
	ds_write2_b32 v16, v10, v11 offset0:2 offset1:3
	ds_write2_b32 v16, v0, v1 offset0:16 offset1:17
	;; [unrolled: 1-line block ×7, first 2 shown]
	s_waitcnt lgkmcnt(0)
	s_barrier
	s_and_saveexec_b64 s[0:1], vcc
	s_cbranch_execz .LBB144_20
; %bb.17:
	v_add_u32_e32 v0, s2, v85
	s_cmp_gt_i32 s14, 0
	v_cmp_gt_i32_e32 vcc, s33, v0
	s_cselect_b64 s[0:1], -1, 0
	s_and_b64 s[0:1], s[0:1], vcc
	s_and_b64 exec, exec, s[0:1]
	s_cbranch_execz .LBB144_20
; %bb.18:
	s_lshl_b64 s[0:1], s[26:27], 2
	v_readlane_b32 s2, v101, 0
	v_readlane_b32 s3, v101, 1
	s_add_u32 s0, s2, s0
	s_addc_u32 s1, s3, s1
	v_ashrrev_i32_e32 v1, 31, v0
	v_lshl_add_u64 v[0:1], v[0:1], 2, s[0:1]
	global_load_dword v0, v[0:1], off
	s_waitcnt vmcnt(0)
	v_mul_hi_u32 v1, v0, s19
	v_add_u32_e32 v1, v0, v1
	v_lshrrev_b32_e32 v1, s24, v1
	v_cmp_gt_i32_e32 vcc, s13, v1
	s_and_b64 exec, exec, vcc
	s_cbranch_execz .LBB144_20
; %bb.19:
	v_lshlrev_b32_e32 v2, 2, v84
	v_mul_u32_u24_e32 v3, 0x808, v85
	v_add3_u32 v8, 0, v2, v3
	ds_read2st64_b32 v[2:3], v8 offset1:1
	ds_read2st64_b32 v[4:5], v8 offset0:2 offset1:3
	ds_read2st64_b32 v[6:7], v8 offset0:4 offset1:5
	;; [unrolled: 1-line block ×3, first 2 shown]
	v_add_u32_e32 v10, s11, v84
	s_waitcnt lgkmcnt(3)
	v_add_f32_e32 v2, 0, v2
	v_add_f32_e32 v2, v2, v3
	s_waitcnt lgkmcnt(2)
	v_add_f32_e32 v2, v2, v4
	v_add_f32_e32 v2, v2, v5
	v_mul_lo_u32 v3, v1, s25
	s_waitcnt lgkmcnt(1)
	v_add_f32_e32 v2, v2, v6
	v_sub_u32_e32 v0, v0, v3
	v_add_f32_e32 v2, v2, v7
	v_mul_lo_u32 v0, v0, s10
	v_mul_lo_u32 v1, v1, s21
	v_readlane_b32 s0, v101, 2
	s_waitcnt lgkmcnt(0)
	v_add_f32_e32 v2, v2, v8
	v_add3_u32 v0, v10, v1, v0
	v_mov_b32_e32 v1, 0
	v_readlane_b32 s1, v101, 3
	v_add_f32_e32 v2, v2, v9
	s_nop 0
	v_lshl_add_u64 v[0:1], v[0:1], 2, s[0:1]
	global_store_dword v[0:1], v2, off
.LBB144_20:
	s_endpgm
	.section	.rodata,"a",@progbits
	.p2align	6, 0x0
	.amdhsa_kernel _ZL13mul_mat_f_idsI15__hip_bfloat162Li64ELi3ELi8EEvPKT_PKfPKiS7_S7_Pfiiiiiiiiiiiiii15HIP_vector_typeIjLj3EESA_
		.amdhsa_group_segment_fixed_size 0
		.amdhsa_private_segment_fixed_size 0
		.amdhsa_kernarg_size 128
		.amdhsa_user_sgpr_count 2
		.amdhsa_user_sgpr_dispatch_ptr 0
		.amdhsa_user_sgpr_queue_ptr 0
		.amdhsa_user_sgpr_kernarg_segment_ptr 1
		.amdhsa_user_sgpr_dispatch_id 0
		.amdhsa_user_sgpr_kernarg_preload_length 0
		.amdhsa_user_sgpr_kernarg_preload_offset 0
		.amdhsa_user_sgpr_private_segment_size 0
		.amdhsa_uses_dynamic_stack 0
		.amdhsa_enable_private_segment 0
		.amdhsa_system_sgpr_workgroup_id_x 1
		.amdhsa_system_sgpr_workgroup_id_y 1
		.amdhsa_system_sgpr_workgroup_id_z 1
		.amdhsa_system_sgpr_workgroup_info 0
		.amdhsa_system_vgpr_workitem_id 1
		.amdhsa_next_free_vgpr 102
		.amdhsa_next_free_sgpr 100
		.amdhsa_accum_offset 104
		.amdhsa_reserve_vcc 1
		.amdhsa_float_round_mode_32 0
		.amdhsa_float_round_mode_16_64 0
		.amdhsa_float_denorm_mode_32 3
		.amdhsa_float_denorm_mode_16_64 3
		.amdhsa_dx10_clamp 1
		.amdhsa_ieee_mode 1
		.amdhsa_fp16_overflow 0
		.amdhsa_tg_split 0
		.amdhsa_exception_fp_ieee_invalid_op 0
		.amdhsa_exception_fp_denorm_src 0
		.amdhsa_exception_fp_ieee_div_zero 0
		.amdhsa_exception_fp_ieee_overflow 0
		.amdhsa_exception_fp_ieee_underflow 0
		.amdhsa_exception_fp_ieee_inexact 0
		.amdhsa_exception_int_div_zero 0
	.end_amdhsa_kernel
	.section	.text._ZL13mul_mat_f_idsI15__hip_bfloat162Li64ELi3ELi8EEvPKT_PKfPKiS7_S7_Pfiiiiiiiiiiiiii15HIP_vector_typeIjLj3EESA_,"axG",@progbits,_ZL13mul_mat_f_idsI15__hip_bfloat162Li64ELi3ELi8EEvPKT_PKfPKiS7_S7_Pfiiiiiiiiiiiiii15HIP_vector_typeIjLj3EESA_,comdat
.Lfunc_end144:
	.size	_ZL13mul_mat_f_idsI15__hip_bfloat162Li64ELi3ELi8EEvPKT_PKfPKiS7_S7_Pfiiiiiiiiiiiiii15HIP_vector_typeIjLj3EESA_, .Lfunc_end144-_ZL13mul_mat_f_idsI15__hip_bfloat162Li64ELi3ELi8EEvPKT_PKfPKiS7_S7_Pfiiiiiiiiiiiiii15HIP_vector_typeIjLj3EESA_
                                        ; -- End function
	.set _ZL13mul_mat_f_idsI15__hip_bfloat162Li64ELi3ELi8EEvPKT_PKfPKiS7_S7_Pfiiiiiiiiiiiiii15HIP_vector_typeIjLj3EESA_.num_vgpr, 102
	.set _ZL13mul_mat_f_idsI15__hip_bfloat162Li64ELi3ELi8EEvPKT_PKfPKiS7_S7_Pfiiiiiiiiiiiiii15HIP_vector_typeIjLj3EESA_.num_agpr, 0
	.set _ZL13mul_mat_f_idsI15__hip_bfloat162Li64ELi3ELi8EEvPKT_PKfPKiS7_S7_Pfiiiiiiiiiiiiii15HIP_vector_typeIjLj3EESA_.numbered_sgpr, 100
	.set _ZL13mul_mat_f_idsI15__hip_bfloat162Li64ELi3ELi8EEvPKT_PKfPKiS7_S7_Pfiiiiiiiiiiiiii15HIP_vector_typeIjLj3EESA_.num_named_barrier, 0
	.set _ZL13mul_mat_f_idsI15__hip_bfloat162Li64ELi3ELi8EEvPKT_PKfPKiS7_S7_Pfiiiiiiiiiiiiii15HIP_vector_typeIjLj3EESA_.private_seg_size, 0
	.set _ZL13mul_mat_f_idsI15__hip_bfloat162Li64ELi3ELi8EEvPKT_PKfPKiS7_S7_Pfiiiiiiiiiiiiii15HIP_vector_typeIjLj3EESA_.uses_vcc, 1
	.set _ZL13mul_mat_f_idsI15__hip_bfloat162Li64ELi3ELi8EEvPKT_PKfPKiS7_S7_Pfiiiiiiiiiiiiii15HIP_vector_typeIjLj3EESA_.uses_flat_scratch, 0
	.set _ZL13mul_mat_f_idsI15__hip_bfloat162Li64ELi3ELi8EEvPKT_PKfPKiS7_S7_Pfiiiiiiiiiiiiii15HIP_vector_typeIjLj3EESA_.has_dyn_sized_stack, 0
	.set _ZL13mul_mat_f_idsI15__hip_bfloat162Li64ELi3ELi8EEvPKT_PKfPKiS7_S7_Pfiiiiiiiiiiiiii15HIP_vector_typeIjLj3EESA_.has_recursion, 0
	.set _ZL13mul_mat_f_idsI15__hip_bfloat162Li64ELi3ELi8EEvPKT_PKfPKiS7_S7_Pfiiiiiiiiiiiiii15HIP_vector_typeIjLj3EESA_.has_indirect_call, 0
	.section	.AMDGPU.csdata,"",@progbits
; Kernel info:
; codeLenInByte = 4692
; TotalNumSgprs: 106
; NumVgprs: 102
; NumAgprs: 0
; TotalNumVgprs: 102
; ScratchSize: 0
; MemoryBound: 0
; FloatMode: 240
; IeeeMode: 1
; LDSByteSize: 0 bytes/workgroup (compile time only)
; SGPRBlocks: 13
; VGPRBlocks: 12
; NumSGPRsForWavesPerEU: 106
; NumVGPRsForWavesPerEU: 102
; AccumOffset: 104
; Occupancy: 4
; WaveLimiterHint : 1
; COMPUTE_PGM_RSRC2:SCRATCH_EN: 0
; COMPUTE_PGM_RSRC2:USER_SGPR: 2
; COMPUTE_PGM_RSRC2:TRAP_HANDLER: 0
; COMPUTE_PGM_RSRC2:TGID_X_EN: 1
; COMPUTE_PGM_RSRC2:TGID_Y_EN: 1
; COMPUTE_PGM_RSRC2:TGID_Z_EN: 1
; COMPUTE_PGM_RSRC2:TIDIG_COMP_CNT: 1
; COMPUTE_PGM_RSRC3_GFX90A:ACCUM_OFFSET: 25
; COMPUTE_PGM_RSRC3_GFX90A:TG_SPLIT: 0
	.section	.text._ZL9mul_mat_fI15__hip_bfloat162Li64ELi3ELi8ELb1EEvPKT_PKfPKiPfiiiiiiiiiiiiiiii,"axG",@progbits,_ZL9mul_mat_fI15__hip_bfloat162Li64ELi3ELi8ELb1EEvPKT_PKfPKiPfiiiiiiiiiiiiiiii,comdat
	.globl	_ZL9mul_mat_fI15__hip_bfloat162Li64ELi3ELi8ELb1EEvPKT_PKfPKiPfiiiiiiiiiiiiiiii ; -- Begin function _ZL9mul_mat_fI15__hip_bfloat162Li64ELi3ELi8ELb1EEvPKT_PKfPKiPfiiiiiiiiiiiiiiii
	.p2align	8
	.type	_ZL9mul_mat_fI15__hip_bfloat162Li64ELi3ELi8ELb1EEvPKT_PKfPKiPfiiiiiiiiiiiiiiii,@function
_ZL9mul_mat_fI15__hip_bfloat162Li64ELi3ELi8ELb1EEvPKT_PKfPKiPfiiiiiiiiiiiiiiii: ; @_ZL9mul_mat_fI15__hip_bfloat162Li64ELi3ELi8ELb1EEvPKT_PKfPKiPfiiiiiiiiiiiiiiii
; %bb.0:
	s_load_dwordx8 s[8:15], s[0:1], 0x20
	v_bfe_u32 v17, v0, 10, 10
	v_and_b32_e32 v16, 0x3ff, v0
	v_mul_i32_i24_e32 v95, 0xffffef84, v17
	s_waitcnt lgkmcnt(0)
	s_add_i32 s5, s9, 2
	s_mul_hi_i32 s5, s5, 0x55555556
	s_lshr_b32 s6, s5, 31
	s_add_i32 s5, s5, s6
	v_cvt_f32_u32_e32 v1, s5
	s_load_dwordx8 s[16:23], s[0:1], 0x44
	s_load_dword s6, s[0:1], 0x64
	s_add_u32 s28, s0, 0x60
	s_addc_u32 s29, s1, 0
	v_rcp_iflag_f32_e32 v1, v1
	s_sub_i32 s7, 0, s5
	s_waitcnt lgkmcnt(0)
	s_abs_i32 s23, s19
	s_abs_i32 s33, s4
	v_mul_f32_e32 v1, 0x4f7ffffe, v1
	v_cvt_u32_f32_e32 v1, v1
	v_mul_lo_u32 v2, s7, v1
	v_mul_hi_u32 v2, v1, v2
	v_add_u32_e32 v1, v1, v2
	v_mul_hi_u32 v1, s6, v1
	v_mul_lo_u32 v2, v1, s5
	v_sub_u32_e32 v2, s6, v2
	v_add_u32_e32 v3, 1, v1
	v_subrev_u32_e32 v4, s5, v2
	v_cmp_le_u32_e32 vcc, s5, v2
	s_nop 1
	v_cndmask_b32_e32 v1, v1, v3, vcc
	v_cndmask_b32_e32 v2, v2, v4, vcc
	v_add_u32_e32 v3, 1, v1
	v_cmp_le_u32_e32 vcc, s5, v2
	s_sub_i32 s5, 0, s23
	s_nop 0
	v_cndmask_b32_e32 v1, v1, v3, vcc
	v_cvt_f32_u32_e32 v2, v1
	v_cvt_f32_u32_e32 v3, s23
	v_sub_u32_e32 v4, 0, v1
	v_cmp_eq_u32_e32 vcc, 0, v16
	v_rcp_iflag_f32_e32 v2, v2
	v_rcp_iflag_f32_e32 v3, v3
	v_mul_f32_e32 v2, 0x4f7ffffe, v2
	v_cvt_u32_f32_e32 v2, v2
	v_mul_f32_e32 v3, 0x4f7ffffe, v3
	v_cvt_u32_f32_e32 v3, v3
	v_mul_lo_u32 v4, v4, v2
	v_mul_hi_u32 v4, v2, v4
	v_add_u32_e32 v2, v2, v4
	v_mul_lo_u32 v4, s5, v3
	v_mul_hi_u32 v4, v3, v4
	v_add_u32_e32 v3, v3, v4
	s_movk_i32 s5, 0x1080
	v_mov_b32_e32 v4, 0x100
	v_mul_hi_u32 v2, s3, v2
	v_mad_u32_u24 v94, v17, s5, v4
	s_and_saveexec_b64 s[6:7], vcc
; %bb.1:
	v_add_u32_e32 v4, v94, v95
	v_mov_b32_e32 v5, -1
	ds_write_b32 v4, v5
; %bb.2:
	s_or_b64 exec, exec, s[6:7]
	v_mul_hi_u32 v18, s33, v3
	v_mul_lo_u32 v3, v2, v1
	v_sub_u32_e32 v3, s3, v3
	v_add_u32_e32 v4, 1, v2
	v_sub_u32_e32 v5, v3, v1
	v_cmp_ge_u32_e32 vcc, v3, v1
	s_load_dwordx2 s[26:27], s[0:1], 0x8
	s_load_dwordx2 s[24:25], s[0:1], 0x18
	v_cndmask_b32_e32 v2, v2, v4, vcc
	v_cndmask_b32_e32 v3, v3, v5, vcc
	v_add_u32_e32 v4, 1, v2
	v_cmp_ge_u32_e32 vcc, v3, v1
	v_cmp_gt_i32_e64 s[6:7], s10, v16
	s_nop 0
	v_cndmask_b32_e32 v2, v2, v4, vcc
	v_mul_lo_u32 v96, v2, 3
	v_add_u32_e32 v97, v96, v17
	v_mul_lo_u32 v1, v2, v1
	v_cmp_gt_i32_e32 vcc, s9, v97
	v_sub_u32_e32 v19, s3, v1
	s_and_b64 s[6:7], vcc, s[6:7]
	v_mov_b32_e32 v1, 0
	s_and_saveexec_b64 s[30:31], s[6:7]
	s_cbranch_execz .LBB145_8
; %bb.3:
	s_load_dwordx2 s[6:7], s[0:1], 0x10
	v_mul_hi_i32 v3, v96, s15
	v_mul_lo_u32 v2, v96, s15
	v_mul_lo_u32 v4, s15, v17
	v_lshlrev_b64 v[2:3], 2, v[2:3]
	s_waitcnt lgkmcnt(0)
	v_lshl_add_u64 v[2:3], s[6:7], 0, v[2:3]
	v_ashrrev_i32_e32 v5, 31, v4
	v_lshl_add_u64 v[2:3], v[4:5], 2, v[2:3]
	v_mul_lo_u32 v4, v16, s14
	s_lshl_b32 s3, s14, 6
	v_mov_b32_e32 v1, 0
	s_mov_b64 s[14:15], 0
	v_add_u32_e32 v6, v94, v95
	v_mov_b32_e32 v7, v16
	s_branch .LBB145_5
.LBB145_4:                              ;   in Loop: Header=BB145_5 Depth=1
	s_or_b64 exec, exec, s[34:35]
	v_add_u32_e32 v7, 64, v7
	v_cmp_le_i32_e64 s[6:7], s10, v7
	s_xor_b64 s[34:35], vcc, -1
	s_or_b64 s[6:7], s[34:35], s[6:7]
	s_and_b64 s[6:7], exec, s[6:7]
	s_or_b64 s[14:15], s[6:7], s[14:15]
	v_add_u32_e32 v4, s3, v4
	s_andn2_b64 exec, exec, s[14:15]
	s_cbranch_execz .LBB145_7
.LBB145_5:                              ; =>This Inner Loop Header: Depth=1
	v_ashrrev_i32_e32 v5, 31, v4
	v_lshl_add_u64 v[8:9], v[4:5], 2, v[2:3]
	global_load_dword v5, v[8:9], off
	s_waitcnt vmcnt(0)
	v_cmp_ne_u32_e32 vcc, v5, v19
	v_cmp_eq_u32_e64 s[6:7], v5, v19
	s_and_saveexec_b64 s[34:35], s[6:7]
	s_cbranch_execz .LBB145_4
; %bb.6:                                ;   in Loop: Header=BB145_5 Depth=1
	v_mov_b32_e32 v1, 1
	ds_write_b32 v6, v7
	s_branch .LBB145_4
.LBB145_7:
	s_or_b64 exec, exec, s[14:15]
.LBB145_8:
	s_or_b64 exec, exec, s[30:31]
	s_load_dwordx2 s[6:7], s[0:1], 0x0
	v_or_b32_dpp v1, v1, v1 row_shl:1 row_mask:0xf bank_mask:0xf bound_ctrl:1
	s_load_dwordx2 s[0:1], s[28:29], 0xc
	s_ashr_i32 s3, s4, 31
	v_or_b32_dpp v1, v1, v1 row_shl:2 row_mask:0xf bank_mask:0xf bound_ctrl:1
	s_ashr_i32 s10, s19, 31
	s_waitcnt lgkmcnt(0)
	s_and_b32 s5, s1, 0xffff
	s_lshr_b32 s1, s0, 16
	s_and_b32 s0, s0, 0xffff
	s_mul_i32 s14, s1, s0
	v_or_b32_dpp v1, v1, v1 row_shl:4 row_mask:0xf bank_mask:0xf bound_ctrl:1
	s_bfe_i32 s14, s14, 0x180000
	s_mul_i32 s5, s14, s5
	v_or_b32_dpp v1, v1, v1 row_shl:8 row_mask:0xf bank_mask:0xf bound_ctrl:1
	s_add_i32 s14, s5, 63
	s_bitcmp1_b32 exec_hi, 0
	v_mov_b32_dpp v2, v1 wave_shl:1 row_mask:0xf bank_mask:0xf bound_ctrl:1
	s_nop 1
	v_or_b32_dpp v1, v2, v1 row_mirror row_mask:0xf bank_mask:0xf bound_ctrl:1
	s_nop 0
	v_readlane_b32 s5, v1, 32
	s_cselect_b32 s5, s5, 0
	v_readlane_b32 s15, v1, 0
	s_or_b32 s5, s5, s15
	s_andn2_b32 s14, s14, 63
	s_cmp_lg_u32 s14, 64
	v_mov_b32_e32 v1, s5
	s_cbranch_scc0 .LBB145_15
; %bb.9:
	v_bfe_u32 v0, v0, 20, 10
	v_mbcnt_lo_u32_b32 v1, -1, 0
	v_mad_u32_u24 v0, v0, s1, v17
	v_mbcnt_hi_u32_b32 v2, -1, v1
	v_mad_u64_u32 v[0:1], s[0:1], v0, s0, v[16:17]
	v_lshrrev_b32_e32 v1, 6, v0
	v_or_b32_e32 v1, v2, v1
	v_cmp_eq_u32_e32 vcc, 0, v1
	s_and_saveexec_b64 s[0:1], vcc
; %bb.10:
	v_mov_b32_e32 v1, 0
	v_mov_b32_e32 v3, s5
	ds_write_b32 v1, v3
; %bb.11:
	s_or_b64 exec, exec, s[0:1]
	v_cmp_eq_u32_e32 vcc, 0, v2
	v_cmp_lt_u32_e64 s[0:1], 63, v0
	s_and_b64 s[14:15], s[0:1], vcc
	s_waitcnt lgkmcnt(0)
	s_barrier
	s_and_saveexec_b64 s[0:1], s[14:15]
	s_cbranch_execz .LBB145_14
; %bb.12:
	v_mbcnt_lo_u32_b32 v0, exec_lo, 0
	v_mbcnt_hi_u32_b32 v0, exec_hi, v0
	v_cmp_eq_u32_e32 vcc, 0, v0
	s_and_b64 exec, exec, vcc
; %bb.13:
	v_mov_b32_e32 v0, 0
	v_mov_b32_e32 v1, s5
	ds_or_b32 v0, v1
.LBB145_14:
	s_or_b64 exec, exec, s[0:1]
	v_mov_b32_e32 v0, 0
	s_waitcnt lgkmcnt(0)
	s_barrier
	ds_read_b32 v1, v0
	s_waitcnt lgkmcnt(0)
	s_barrier
.LBB145_15:
	v_cmp_ne_u32_e32 vcc, 0, v1
	s_cbranch_vccz .LBB145_37
; %bb.16:
	v_lshlrev_b32_e32 v98, 6, v17
	v_add_u32_e32 v100, v98, v16
	v_cmp_le_i32_e32 vcc, s8, v100
	v_and_b32_e32 v99, 15, v16
	s_and_saveexec_b64 s[0:1], vcc
	s_xor_b64 s[0:1], exec, s[0:1]
; %bb.17:
	v_and_b32_e32 v99, 15, v16
                                        ; implicit-def: $vgpr100
                                        ; implicit-def: $vgpr18
                                        ; implicit-def: $vgpr19
; %bb.18:
	s_or_saveexec_b64 s[14:15], s[0:1]
	v_mov_b32_e32 v11, 0
	s_lshl_b32 s5, s2, 6
	v_mov_b32_e32 v10, v11
	v_mov_b32_e32 v9, v11
	;; [unrolled: 1-line block ×15, first 2 shown]
	s_xor_b64 exec, exec, s[14:15]
	s_cbranch_execz .LBB145_34
; %bb.19:
	v_mul_lo_u32 v0, v18, s23
	v_sub_u32_e32 v0, s33, v0
	v_add_u32_e32 v1, 1, v18
	v_subrev_u32_e32 v2, s23, v0
	v_cmp_le_u32_e32 vcc, s23, v0
	s_xor_b32 s0, s3, s10
	s_mul_hi_i32 s3, s21, s4
	v_cndmask_b32_e32 v1, v18, v1, vcc
	v_cndmask_b32_e32 v0, v0, v2, vcc
	v_add_u32_e32 v2, 1, v1
	v_cmp_le_u32_e32 vcc, s23, v0
	s_mul_i32 s2, s21, s4
	s_lshl_b64 s[2:3], s[2:3], 2
	v_cndmask_b32_e32 v0, v1, v2, vcc
	v_xor_b32_e32 v0, s0, v0
	v_subrev_u32_e32 v0, s0, v0
	v_mul_hi_i32 v1, v0, s20
	v_mul_lo_u32 v0, v0, s20
	v_mul_lo_u32 v2, v19, s16
	s_mul_i32 s0, s11, s5
	v_ashrrev_i32_e32 v3, 31, v2
	v_lshlrev_b64 v[0:1], 2, v[0:1]
	s_ashr_i32 s1, s0, 31
	v_lshl_add_u64 v[4:5], s[6:7], 0, v[0:1]
	v_lshlrev_b64 v[2:3], 2, v[2:3]
	s_lshl_b64 s[0:1], s[0:1], 2
	v_lshl_add_u64 v[4:5], v[4:5], 0, v[2:3]
	v_mul_hi_i32 v7, s12, v96
	v_mul_lo_u32 v6, s12, v96
	s_add_u32 s2, s26, s2
	v_lshl_add_u64 v[0:1], v[0:1], 0, s[0:1]
	v_lshlrev_b64 v[6:7], 3, v[6:7]
	v_lshl_add_u64 v[18:19], v[4:5], 0, s[0:1]
	s_addc_u32 s3, s27, s3
	v_lshrrev_b32_e32 v5, 1, v16
	v_lshl_add_u64 v[0:1], v[0:1], 0, v[2:3]
	v_lshl_add_u64 v[20:21], s[2:3], 0, v[6:7]
	v_mul_u32_u24_e32 v4, 0x108, v99
	v_and_b32_e32 v5, 0x1f8, v5
	v_add_u32_e32 v26, 1, v96
	v_add_u32_e32 v27, 2, v96
	s_ashr_i32 s3, s11, 31
	s_mov_b32 s2, s11
	v_lshl_add_u64 v[0:1], s[6:7], 0, v[0:1]
	v_lshlrev_b32_e32 v2, 1, v16
	v_lshlrev_b32_e32 v22, 2, v100
	v_mov_b32_e32 v23, 0
	v_lshl_add_u32 v101, v16, 2, v94
	v_add3_u32 v102, v94, v4, v5
	s_lshl_b32 s16, s12, 2
	s_add_i32 s19, s11, s11
	s_mul_i32 s23, s11, 3
	s_lshl_b32 s28, s11, 2
	s_mul_i32 s29, s11, 5
	s_mul_i32 s30, s11, 6
	;; [unrolled: 1-line block ×3, first 2 shown]
	s_lshl_b32 s33, s11, 3
	s_mul_i32 s34, s11, 9
	s_mul_i32 s35, s11, 10
	;; [unrolled: 1-line block ×7, first 2 shown]
	s_lshl_b32 s41, s11, 4
	s_mul_i32 s42, s11, 17
	s_mul_i32 s43, s11, 18
	;; [unrolled: 1-line block ×15, first 2 shown]
	s_lshl_b32 s57, s11, 5
	s_mul_i32 s58, s11, 33
	s_mul_i32 s59, s11, 34
	;; [unrolled: 1-line block ×22, first 2 shown]
	v_cmp_gt_i32_e64 s[0:1], s9, v96
	s_mul_i32 s80, s11, 55
	s_mul_i32 s81, s11, 56
	v_lshl_add_u32 v103, v17, 7, v2
	s_lshl_b64 s[20:21], s[2:3], 2
	v_lshl_add_u64 v[24:25], v[0:1], 0, v[22:23]
	v_mov_b32_e32 v22, 0x100
	v_mov_b32_e32 v12, 0
	;; [unrolled: 1-line block ×17, first 2 shown]
	s_mul_i32 s82, s11, 57
	s_mul_i32 s83, s11, 58
	;; [unrolled: 1-line block ×7, first 2 shown]
	s_lshl_b32 s12, s12, 1
	v_cmp_gt_i32_e64 s[2:3], s9, v26
	v_cmp_gt_i32_e64 s[6:7], s9, v27
	s_mov_b64 s[10:11], 0
	s_mov_b64 s[26:27], 0x800
	s_branch .LBB145_22
.LBB145_20:                             ;   in Loop: Header=BB145_22 Depth=1
	v_mul_lo_u32 v90, v90, s17
	v_add_u32_e32 v90, s16, v90
	v_add_u32_e32 v90, v90, v103
	v_ashrrev_i32_e32 v91, 31, v90
	v_lshl_add_u64 v[90:91], v[90:91], 2, v[20:21]
	global_load_dwordx2 v[90:91], v[90:91], off
.LBB145_21:                             ;   in Loop: Header=BB145_22 Depth=1
	s_waitcnt vmcnt(0)
	v_cvt_pk_bf16_f32 v90, v90, v91
	ds_write2_b32 v101, v90, v23 offset0:148 offset1:214
	v_add_u32_e32 v90, 0x400, v101
	ds_write2_b32 v90, v23, v23 offset0:24 offset1:90
	ds_write2_b32 v90, v23, v23 offset0:156 offset1:222
	v_add_u32_e32 v90, 0x800, v101
	ds_write2_b32 v90, v23, v23 offset0:32 offset1:98
	ds_write2_b32 v90, v23, v23 offset0:164 offset1:230
	v_add_u32_e32 v90, 0xc00, v101
	ds_write2_b32 v90, v23, v23 offset0:40 offset1:106
	ds_write2_b32 v90, v23, v23 offset0:172 offset1:238
	ds_read2_b64 v[90:93], v102 offset0:8 offset1:12
	v_add_u32_e32 v100, 0x200, v100
	s_waitcnt lgkmcnt(0)
	v_mfma_f32_16x16x16_bf16 v[0:3], v[58:59], v[90:91], v[0:3]
	v_cmp_le_i32_e32 vcc, s8, v100
	v_add_u32_e32 v103, 0x400, v103
	v_lshl_add_u64 v[24:25], v[24:25], 0, s[26:27]
	v_mfma_f32_16x16x16_bf16 v[8:11], v[42:43], v[90:91], v[8:11]
	s_or_b64 s[10:11], vcc, s[10:11]
	v_mfma_f32_16x16x16_bf16 v[4:7], v[74:75], v[90:91], v[4:7]
	v_mfma_f32_16x16x16_bf16 v[12:15], v[88:89], v[90:91], v[12:15]
	v_mfma_f32_16x16x16_bf16 v[0:3], v[56:57], v[92:93], v[0:3]
	ds_read2_b64 v[56:59], v102 offset0:16 offset1:20
	v_mfma_f32_16x16x16_bf16 v[8:11], v[38:39], v[92:93], v[8:11]
	v_mfma_f32_16x16x16_bf16 v[4:7], v[72:73], v[92:93], v[4:7]
	v_mfma_f32_16x16x16_bf16 v[12:15], v[86:87], v[92:93], v[12:15]
	s_waitcnt lgkmcnt(0)
	v_mfma_f32_16x16x16_bf16 v[8:11], v[36:37], v[56:57], v[8:11]
	v_mfma_f32_16x16x16_bf16 v[0:3], v[52:53], v[56:57], v[0:3]
	v_mfma_f32_16x16x16_bf16 v[4:7], v[70:71], v[56:57], v[4:7]
	v_mfma_f32_16x16x16_bf16 v[12:15], v[84:85], v[56:57], v[12:15]
	v_mfma_f32_16x16x16_bf16 v[8:11], v[34:35], v[58:59], v[8:11]
	ds_read2_b64 v[34:37], v102 offset0:24 offset1:28
	v_mfma_f32_16x16x16_bf16 v[0:3], v[50:51], v[58:59], v[0:3]
	v_mfma_f32_16x16x16_bf16 v[4:7], v[68:69], v[58:59], v[4:7]
	v_mfma_f32_16x16x16_bf16 v[12:15], v[82:83], v[58:59], v[12:15]
	s_waitcnt lgkmcnt(0)
	v_mfma_f32_16x16x16_bf16 v[8:11], v[32:33], v[34:35], v[8:11]
	v_mfma_f32_16x16x16_bf16 v[0:3], v[48:49], v[34:35], v[0:3]
	;; [unrolled: 10-line block ×3, first 2 shown]
	v_mfma_f32_16x16x16_bf16 v[4:7], v[60:61], v[30:31], v[4:7]
	v_mfma_f32_16x16x16_bf16 v[12:15], v[76:77], v[30:31], v[12:15]
	;; [unrolled: 1-line block ×6, first 2 shown]
	s_andn2_b64 exec, exec, s[10:11]
	s_cbranch_execz .LBB145_33
.LBB145_22:                             ; =>This Inner Loop Header: Depth=1
	v_lshl_add_u64 v[26:27], v[24:25], 0, s[20:21]
	global_load_dword v52, v[24:25], off
	global_load_dword v53, v[26:27], off
	v_add_u32_e32 v26, s19, v100
	v_ashrrev_i32_e32 v27, 31, v26
	v_add_u32_e32 v28, s23, v100
	v_add_u32_e32 v30, s28, v100
	;; [unrolled: 1-line block ×5, first 2 shown]
	v_lshl_add_u64 v[26:27], v[26:27], 2, v[18:19]
	v_ashrrev_i32_e32 v29, 31, v28
	v_ashrrev_i32_e32 v31, 31, v30
	v_ashrrev_i32_e32 v33, 31, v32
	v_ashrrev_i32_e32 v35, 31, v34
	v_ashrrev_i32_e32 v37, 31, v36
	v_lshl_add_u64 v[28:29], v[28:29], 2, v[18:19]
	v_lshl_add_u64 v[30:31], v[30:31], 2, v[18:19]
	v_lshl_add_u64 v[32:33], v[32:33], 2, v[18:19]
	v_lshl_add_u64 v[34:35], v[34:35], 2, v[18:19]
	v_lshl_add_u64 v[36:37], v[36:37], 2, v[18:19]
	global_load_dword v54, v[26:27], off
	global_load_dword v55, v[28:29], off
	;; [unrolled: 1-line block ×6, first 2 shown]
	v_add_u32_e32 v26, s33, v100
	v_add_u32_e32 v44, s42, v100
	;; [unrolled: 1-line block ×10, first 2 shown]
	v_ashrrev_i32_e32 v27, 31, v26
	v_ashrrev_i32_e32 v45, 31, v44
	;; [unrolled: 1-line block ×10, first 2 shown]
	v_lshl_add_u64 v[26:27], v[26:27], 2, v[18:19]
	v_lshl_add_u64 v[44:45], v[44:45], 2, v[18:19]
	v_add_u32_e32 v46, s43, v100
	v_add_u32_e32 v48, s44, v100
	;; [unrolled: 1-line block ×3, first 2 shown]
	v_lshl_add_u64 v[28:29], v[28:29], 2, v[18:19]
	v_lshl_add_u64 v[30:31], v[30:31], 2, v[18:19]
	;; [unrolled: 1-line block ×8, first 2 shown]
	global_load_dword v60, v[26:27], off
	global_load_dword v61, v[28:29], off
	;; [unrolled: 1-line block ×9, first 2 shown]
	s_nop 0
	global_load_dword v44, v[44:45], off
	v_add_u32_e32 v26, s46, v100
	v_ashrrev_i32_e32 v47, 31, v46
	v_ashrrev_i32_e32 v49, 31, v48
	v_ashrrev_i32_e32 v51, 31, v50
	v_ashrrev_i32_e32 v27, 31, v26
	v_add_u32_e32 v28, s47, v100
	v_add_u32_e32 v30, s48, v100
	;; [unrolled: 1-line block ×4, first 2 shown]
	v_lshl_add_u64 v[46:47], v[46:47], 2, v[18:19]
	v_lshl_add_u64 v[48:49], v[48:49], 2, v[18:19]
	;; [unrolled: 1-line block ×4, first 2 shown]
	v_ashrrev_i32_e32 v29, 31, v28
	v_ashrrev_i32_e32 v31, 31, v30
	;; [unrolled: 1-line block ×4, first 2 shown]
	v_lshl_add_u64 v[28:29], v[28:29], 2, v[18:19]
	v_lshl_add_u64 v[30:31], v[30:31], 2, v[18:19]
	;; [unrolled: 1-line block ×4, first 2 shown]
	v_add_u32_e32 v36, s56, v100
	v_add_u32_e32 v38, s57, v100
	;; [unrolled: 1-line block ×3, first 2 shown]
	v_ashrrev_i32_e32 v37, 31, v36
	v_ashrrev_i32_e32 v39, 31, v38
	;; [unrolled: 1-line block ×3, first 2 shown]
	v_lshl_add_u64 v[36:37], v[36:37], 2, v[18:19]
	s_waitcnt vmcnt(17)
	ds_write_b32 v101, v52 offset:64
	s_waitcnt vmcnt(16)
	ds_write_b32 v101, v53 offset:328
	;; [unrolled: 2-line block ×8, first 2 shown]
	global_load_dword v45, v[46:47], off
	s_nop 0
	global_load_dword v46, v[48:49], off
	global_load_dword v47, v[50:51], off
	s_nop 0
	global_load_dword v48, v[26:27], off
	global_load_dword v49, v[28:29], off
	;; [unrolled: 1-line block ×5, first 2 shown]
	v_add_u32_e32 v26, s51, v100
	v_ashrrev_i32_e32 v27, 31, v26
	v_add_u32_e32 v28, s52, v100
	v_add_u32_e32 v30, s53, v100
	;; [unrolled: 1-line block ×4, first 2 shown]
	v_lshl_add_u64 v[26:27], v[26:27], 2, v[18:19]
	v_ashrrev_i32_e32 v29, 31, v28
	v_ashrrev_i32_e32 v31, 31, v30
	;; [unrolled: 1-line block ×4, first 2 shown]
	v_lshl_add_u64 v[28:29], v[28:29], 2, v[18:19]
	v_lshl_add_u64 v[30:31], v[30:31], 2, v[18:19]
	v_lshl_add_u64 v[32:33], v[32:33], 2, v[18:19]
	v_lshl_add_u64 v[34:35], v[34:35], 2, v[18:19]
	v_lshl_add_u64 v[38:39], v[38:39], 2, v[18:19]
	v_lshl_add_u64 v[40:41], v[40:41], 2, v[18:19]
	global_load_dword v53, v[26:27], off
	global_load_dword v54, v[28:29], off
	global_load_dword v55, v[30:31], off
	global_load_dword v56, v[32:33], off
	global_load_dword v57, v[34:35], off
	global_load_dword v58, v[36:37], off
	global_load_dword v69, v[38:39], off
	global_load_dword v70, v[40:41], off
	v_add_u32_e32 v26, s59, v100
	v_ashrrev_i32_e32 v27, 31, v26
	v_add_u32_e32 v28, s60, v100
	v_add_u32_e32 v30, s61, v100
	v_add_u32_e32 v32, s62, v100
	v_add_u32_e32 v34, s63, v100
	v_add_u32_e32 v36, s64, v100
	v_add_u32_e32 v38, s65, v100
	v_add_u32_e32 v40, s66, v100
	v_lshl_add_u64 v[26:27], v[26:27], 2, v[18:19]
	v_ashrrev_i32_e32 v29, 31, v28
	v_ashrrev_i32_e32 v31, 31, v30
	v_ashrrev_i32_e32 v33, 31, v32
	v_ashrrev_i32_e32 v35, 31, v34
	v_ashrrev_i32_e32 v37, 31, v36
	v_ashrrev_i32_e32 v39, 31, v38
	v_ashrrev_i32_e32 v41, 31, v40
	v_lshl_add_u64 v[28:29], v[28:29], 2, v[18:19]
	v_lshl_add_u64 v[30:31], v[30:31], 2, v[18:19]
	v_lshl_add_u64 v[32:33], v[32:33], 2, v[18:19]
	v_lshl_add_u64 v[34:35], v[34:35], 2, v[18:19]
	v_lshl_add_u64 v[36:37], v[36:37], 2, v[18:19]
	v_lshl_add_u64 v[38:39], v[38:39], 2, v[18:19]
	v_lshl_add_u64 v[40:41], v[40:41], 2, v[18:19]
	global_load_dword v71, v[26:27], off
	global_load_dword v72, v[28:29], off
	global_load_dword v73, v[30:31], off
	global_load_dword v74, v[32:33], off
	global_load_dword v75, v[34:35], off
	global_load_dword v76, v[36:37], off
	global_load_dword v77, v[38:39], off
	global_load_dword v78, v[40:41], off
	v_add_u32_e32 v26, s67, v100
	v_ashrrev_i32_e32 v27, 31, v26
	v_add_u32_e32 v28, s68, v100
	v_add_u32_e32 v30, s69, v100
	v_add_u32_e32 v32, s70, v100
	v_add_u32_e32 v34, s71, v100
	v_add_u32_e32 v36, s72, v100
	v_add_u32_e32 v38, s73, v100
	v_add_u32_e32 v40, s74, v100
	v_lshl_add_u64 v[26:27], v[26:27], 2, v[18:19]
	v_ashrrev_i32_e32 v29, 31, v28
	v_ashrrev_i32_e32 v31, 31, v30
	v_ashrrev_i32_e32 v33, 31, v32
	v_ashrrev_i32_e32 v35, 31, v34
	v_ashrrev_i32_e32 v37, 31, v36
	v_ashrrev_i32_e32 v39, 31, v38
	v_ashrrev_i32_e32 v41, 31, v40
	v_lshl_add_u64 v[28:29], v[28:29], 2, v[18:19]
	;; [unrolled: 32-line block ×3, first 2 shown]
	v_lshl_add_u64 v[30:31], v[30:31], 2, v[18:19]
	v_lshl_add_u64 v[32:33], v[32:33], 2, v[18:19]
	;; [unrolled: 1-line block ×6, first 2 shown]
	global_load_dword v87, v[26:27], off
	global_load_dword v88, v[28:29], off
	;; [unrolled: 1-line block ×8, first 2 shown]
	v_add_u32_e32 v26, s83, v100
	v_ashrrev_i32_e32 v27, 31, v26
	v_add_u32_e32 v28, s84, v100
	v_add_u32_e32 v30, s85, v100
	;; [unrolled: 1-line block ×5, first 2 shown]
	v_lshl_add_u64 v[26:27], v[26:27], 2, v[18:19]
	v_ashrrev_i32_e32 v29, 31, v28
	v_ashrrev_i32_e32 v31, 31, v30
	;; [unrolled: 1-line block ×5, first 2 shown]
	v_lshl_add_u64 v[28:29], v[28:29], 2, v[18:19]
	v_lshl_add_u64 v[30:31], v[30:31], 2, v[18:19]
	;; [unrolled: 1-line block ×5, first 2 shown]
	global_load_dword v105, v[26:27], off
	global_load_dword v106, v[28:29], off
	;; [unrolled: 1-line block ×6, first 2 shown]
	s_waitcnt vmcnt(55)
	ds_write_b32 v101, v60 offset:2176
	s_waitcnt vmcnt(54)
	ds_write_b32 v101, v61 offset:2440
	s_waitcnt vmcnt(53)
	ds_write_b32 v101, v62 offset:2704
	s_waitcnt vmcnt(52)
	ds_write_b32 v101, v63 offset:2968
	s_waitcnt vmcnt(51)
	ds_write_b32 v101, v64 offset:3232
	s_waitcnt vmcnt(50)
	ds_write_b32 v101, v65 offset:3496
	s_waitcnt vmcnt(49)
	ds_write_b32 v101, v66 offset:3760
	s_waitcnt vmcnt(48)
	ds_write_b32 v101, v67 offset:4024
	ds_read_b64 v[42:43], v102 offset:64
	ds_read_b64 v[38:39], v102 offset:96
	ds_read_b64 v[36:37], v102 offset:128
	ds_read_b64 v[34:35], v102 offset:160
	ds_read_b64 v[32:33], v102 offset:192
	ds_read_b64 v[30:31], v102 offset:224
	ds_read_b64 v[28:29], v102 offset:256
	ds_read_b64 v[26:27], v102 offset:288
	s_waitcnt vmcnt(47)
	ds_write_b32 v101, v68 offset:64
	s_waitcnt vmcnt(46)
	ds_write_b32 v101, v44 offset:328
	s_waitcnt vmcnt(45)
	ds_write_b32 v101, v45 offset:592
	s_waitcnt vmcnt(44)
	ds_write_b32 v101, v46 offset:856
	s_waitcnt vmcnt(43)
	ds_write_b32 v101, v47 offset:1120
	s_waitcnt vmcnt(42)
	ds_write_b32 v101, v48 offset:1384
	s_waitcnt vmcnt(41)
	ds_write_b32 v101, v49 offset:1648
	s_waitcnt vmcnt(40)
	ds_write_b32 v101, v50 offset:1912
	s_waitcnt vmcnt(39)
	ds_write_b32 v101, v51 offset:2176
	s_waitcnt vmcnt(38)
	ds_write_b32 v101, v52 offset:2440
	s_waitcnt vmcnt(37)
	ds_write_b32 v101, v53 offset:2704
	s_waitcnt vmcnt(36)
	ds_write_b32 v101, v54 offset:2968
	s_waitcnt vmcnt(35)
	ds_write_b32 v101, v55 offset:3232
	s_waitcnt vmcnt(34)
	ds_write_b32 v101, v56 offset:3496
	s_waitcnt vmcnt(33)
	ds_write_b32 v101, v57 offset:3760
	s_waitcnt vmcnt(32)
	ds_write_b32 v101, v58 offset:4024
	ds_read_b64 v[58:59], v102 offset:64
	ds_read_b64 v[56:57], v102 offset:96
	ds_read_b64 v[52:53], v102 offset:128
	ds_read_b64 v[50:51], v102 offset:160
	ds_read_b64 v[48:49], v102 offset:192
	ds_read_b64 v[46:47], v102 offset:224
	ds_read_b64 v[44:45], v102 offset:256
	ds_read_b64 v[40:41], v102 offset:288
	s_waitcnt vmcnt(31)
	ds_write_b32 v101, v69 offset:64
	s_waitcnt vmcnt(30)
	ds_write_b32 v101, v70 offset:328
	s_waitcnt vmcnt(29)
	ds_write_b32 v101, v71 offset:592
	s_waitcnt vmcnt(28)
	ds_write_b32 v101, v72 offset:856
	s_waitcnt vmcnt(27)
	ds_write_b32 v101, v73 offset:1120
	s_waitcnt vmcnt(26)
	ds_write_b32 v101, v74 offset:1384
	s_waitcnt vmcnt(25)
	ds_write_b32 v101, v75 offset:1648
	s_waitcnt vmcnt(24)
	ds_write_b32 v101, v76 offset:1912
	;; [unrolled: 40-line block ×3, first 2 shown]
	s_waitcnt vmcnt(7)
	ds_write_b32 v101, v93 offset:2176
	s_waitcnt vmcnt(6)
	ds_write_b32 v101, v104 offset:2440
	;; [unrolled: 2-line block ×8, first 2 shown]
	ds_read_b64 v[88:89], v102 offset:64
	ds_read_b64 v[86:87], v102 offset:96
	;; [unrolled: 1-line block ×8, first 2 shown]
	s_andn2_b64 vcc, exec, s[0:1]
	v_mov_b32_e32 v90, 0
	v_mov_b32_e32 v91, 0
	s_cbranch_vccnz .LBB145_26
; %bb.23:                               ;   in Loop: Header=BB145_22 Depth=1
	ds_read_b32 v90, v22
	s_waitcnt lgkmcnt(0)
	v_cmp_gt_i32_e32 vcc, 0, v90
	s_cbranch_vccnz .LBB145_25
; %bb.24:                               ;   in Loop: Header=BB145_22 Depth=1
	v_mul_lo_u32 v90, v90, s17
	v_add_u32_e32 v90, v103, v90
	v_ashrrev_i32_e32 v91, 31, v90
	v_lshl_add_u64 v[90:91], v[90:91], 2, v[20:21]
	global_load_dwordx2 v[90:91], v[90:91], off
	s_branch .LBB145_26
.LBB145_25:                             ;   in Loop: Header=BB145_22 Depth=1
	v_mov_b32_e32 v90, 0
	v_mov_b32_e32 v91, 0
.LBB145_26:                             ;   in Loop: Header=BB145_22 Depth=1
	s_waitcnt vmcnt(0)
	v_cvt_pk_bf16_f32 v90, v90, v91
	ds_write_b32 v101, v90 offset:64
	v_mov_b32_e32 v90, 0
	s_andn2_b64 vcc, exec, s[2:3]
	v_mov_b32_e32 v92, 0
	v_mov_b32_e32 v93, 0
	s_cbranch_vccnz .LBB145_30
; %bb.27:                               ;   in Loop: Header=BB145_22 Depth=1
	ds_read_b32 v91, v22 offset:4
	s_waitcnt lgkmcnt(0)
	v_cmp_gt_i32_e32 vcc, 0, v91
	s_cbranch_vccnz .LBB145_29
; %bb.28:                               ;   in Loop: Header=BB145_22 Depth=1
	v_mul_lo_u32 v91, v91, s17
	v_add_u32_e32 v91, s12, v91
	v_add_u32_e32 v92, v91, v103
	v_ashrrev_i32_e32 v93, 31, v92
	v_lshl_add_u64 v[92:93], v[92:93], 2, v[20:21]
	global_load_dwordx2 v[92:93], v[92:93], off
	s_branch .LBB145_30
.LBB145_29:                             ;   in Loop: Header=BB145_22 Depth=1
	v_mov_b32_e32 v92, 0
	v_mov_b32_e32 v93, 0
.LBB145_30:                             ;   in Loop: Header=BB145_22 Depth=1
	s_waitcnt vmcnt(0)
	v_cvt_pk_bf16_f32 v91, v92, v93
	ds_write_b32 v101, v91 offset:328
	s_andn2_b64 vcc, exec, s[6:7]
	v_mov_b32_e32 v91, 0
	s_cbranch_vccnz .LBB145_21
; %bb.31:                               ;   in Loop: Header=BB145_22 Depth=1
	ds_read_b32 v90, v22 offset:8
	s_waitcnt lgkmcnt(0)
	v_cmp_gt_i32_e32 vcc, 0, v90
	s_cbranch_vccz .LBB145_20
; %bb.32:                               ;   in Loop: Header=BB145_22 Depth=1
	v_mov_b32_e32 v90, 0
	v_mov_b32_e32 v91, 0
	s_branch .LBB145_21
.LBB145_33:
	s_or_b64 exec, exec, s[10:11]
.LBB145_34:
	s_or_b64 exec, exec, s[14:15]
	v_mov_b32_e32 v18, 0x100
	v_lshl_add_u32 v18, v98, 2, v18
	v_mul_u32_u24_e32 v19, 0x808, v99
	v_and_b32_e32 v20, 0x3f0, v16
	v_add3_u32 v18, v18, v19, v20
	v_cmp_gt_u32_e32 vcc, 3, v17
	s_barrier
	ds_write2_b32 v18, v8, v9 offset0:16 offset1:17
	ds_write2_b32 v18, v10, v11 offset0:18 offset1:19
	;; [unrolled: 1-line block ×8, first 2 shown]
	s_waitcnt lgkmcnt(0)
	s_barrier
	s_and_saveexec_b64 s[0:1], vcc
	s_cbranch_execz .LBB145_37
; %bb.35:
	v_add_u32_e32 v0, v94, v95
	ds_read_b32 v0, v0
	v_cmp_gt_i32_e64 s[0:1], s9, v97
	s_waitcnt lgkmcnt(0)
	v_cmp_lt_i32_e32 vcc, -1, v0
	s_and_b64 s[0:1], vcc, s[0:1]
	s_and_b64 exec, exec, s[0:1]
	s_cbranch_execz .LBB145_37
; %bb.36:
	v_lshlrev_b32_e32 v1, 2, v16
	s_movk_i32 s2, 0x100
	v_mul_u32_u24_e32 v4, 0x808, v17
	v_add3_u32 v1, s2, v1, v4
	ds_read2_b32 v[4:5], v1 offset0:16 offset1:80
	ds_read2_b32 v[6:7], v1 offset0:144 offset1:208
	v_add_u32_e32 v1, 64, v1
	ds_read2st64_b32 v[8:9], v1 offset0:4 offset1:5
	s_mul_hi_i32 s1, s22, s4
	s_waitcnt lgkmcnt(2)
	v_add_f32_e32 v4, 0, v4
	v_add_f32_e32 v10, v4, v5
	ds_read2st64_b32 v[4:5], v1 offset0:6 offset1:7
	s_waitcnt lgkmcnt(2)
	v_add_f32_e32 v1, v10, v6
	v_add_f32_e32 v1, v1, v7
	s_mul_i32 s0, s22, s4
	s_waitcnt lgkmcnt(1)
	v_add_f32_e32 v1, v1, v8
	s_lshl_b64 s[0:1], s[0:1], 2
	v_add_f32_e32 v1, v1, v9
	v_mul_hi_i32 v3, v96, s13
	v_mul_lo_u32 v2, v96, s13
	s_add_u32 s0, s24, s0
	s_waitcnt lgkmcnt(0)
	v_add_f32_e32 v1, v1, v4
	s_addc_u32 s1, s25, s1
	v_lshlrev_b64 v[2:3], 2, v[2:3]
	v_add_f32_e32 v4, v1, v5
	v_add_u32_e32 v1, s5, v16
	v_mul_lo_u32 v5, s13, v17
	v_mul_lo_u32 v0, v0, s18
	v_lshl_add_u64 v[2:3], s[0:1], 0, v[2:3]
	v_add3_u32 v0, v1, v5, v0
	v_mov_b32_e32 v1, 0
	v_lshl_add_u64 v[0:1], v[0:1], 2, v[2:3]
	global_store_dword v[0:1], v4, off
.LBB145_37:
	s_endpgm
	.section	.rodata,"a",@progbits
	.p2align	6, 0x0
	.amdhsa_kernel _ZL9mul_mat_fI15__hip_bfloat162Li64ELi3ELi8ELb1EEvPKT_PKfPKiPfiiiiiiiiiiiiiiii
		.amdhsa_group_segment_fixed_size 256
		.amdhsa_private_segment_fixed_size 0
		.amdhsa_kernarg_size 352
		.amdhsa_user_sgpr_count 2
		.amdhsa_user_sgpr_dispatch_ptr 0
		.amdhsa_user_sgpr_queue_ptr 0
		.amdhsa_user_sgpr_kernarg_segment_ptr 1
		.amdhsa_user_sgpr_dispatch_id 0
		.amdhsa_user_sgpr_kernarg_preload_length 0
		.amdhsa_user_sgpr_kernarg_preload_offset 0
		.amdhsa_user_sgpr_private_segment_size 0
		.amdhsa_uses_dynamic_stack 0
		.amdhsa_enable_private_segment 0
		.amdhsa_system_sgpr_workgroup_id_x 1
		.amdhsa_system_sgpr_workgroup_id_y 1
		.amdhsa_system_sgpr_workgroup_id_z 1
		.amdhsa_system_sgpr_workgroup_info 0
		.amdhsa_system_vgpr_workitem_id 2
		.amdhsa_next_free_vgpr 111
		.amdhsa_next_free_sgpr 89
		.amdhsa_accum_offset 112
		.amdhsa_reserve_vcc 1
		.amdhsa_float_round_mode_32 0
		.amdhsa_float_round_mode_16_64 0
		.amdhsa_float_denorm_mode_32 3
		.amdhsa_float_denorm_mode_16_64 3
		.amdhsa_dx10_clamp 1
		.amdhsa_ieee_mode 1
		.amdhsa_fp16_overflow 0
		.amdhsa_tg_split 0
		.amdhsa_exception_fp_ieee_invalid_op 0
		.amdhsa_exception_fp_denorm_src 0
		.amdhsa_exception_fp_ieee_div_zero 0
		.amdhsa_exception_fp_ieee_overflow 0
		.amdhsa_exception_fp_ieee_underflow 0
		.amdhsa_exception_fp_ieee_inexact 0
		.amdhsa_exception_int_div_zero 0
	.end_amdhsa_kernel
	.section	.text._ZL9mul_mat_fI15__hip_bfloat162Li64ELi3ELi8ELb1EEvPKT_PKfPKiPfiiiiiiiiiiiiiiii,"axG",@progbits,_ZL9mul_mat_fI15__hip_bfloat162Li64ELi3ELi8ELb1EEvPKT_PKfPKiPfiiiiiiiiiiiiiiii,comdat
.Lfunc_end145:
	.size	_ZL9mul_mat_fI15__hip_bfloat162Li64ELi3ELi8ELb1EEvPKT_PKfPKiPfiiiiiiiiiiiiiiii, .Lfunc_end145-_ZL9mul_mat_fI15__hip_bfloat162Li64ELi3ELi8ELb1EEvPKT_PKfPKiPfiiiiiiiiiiiiiiii
                                        ; -- End function
	.set _ZL9mul_mat_fI15__hip_bfloat162Li64ELi3ELi8ELb1EEvPKT_PKfPKiPfiiiiiiiiiiiiiiii.num_vgpr, 111
	.set _ZL9mul_mat_fI15__hip_bfloat162Li64ELi3ELi8ELb1EEvPKT_PKfPKiPfiiiiiiiiiiiiiiii.num_agpr, 0
	.set _ZL9mul_mat_fI15__hip_bfloat162Li64ELi3ELi8ELb1EEvPKT_PKfPKiPfiiiiiiiiiiiiiiii.numbered_sgpr, 89
	.set _ZL9mul_mat_fI15__hip_bfloat162Li64ELi3ELi8ELb1EEvPKT_PKfPKiPfiiiiiiiiiiiiiiii.num_named_barrier, 0
	.set _ZL9mul_mat_fI15__hip_bfloat162Li64ELi3ELi8ELb1EEvPKT_PKfPKiPfiiiiiiiiiiiiiiii.private_seg_size, 0
	.set _ZL9mul_mat_fI15__hip_bfloat162Li64ELi3ELi8ELb1EEvPKT_PKfPKiPfiiiiiiiiiiiiiiii.uses_vcc, 1
	.set _ZL9mul_mat_fI15__hip_bfloat162Li64ELi3ELi8ELb1EEvPKT_PKfPKiPfiiiiiiiiiiiiiiii.uses_flat_scratch, 0
	.set _ZL9mul_mat_fI15__hip_bfloat162Li64ELi3ELi8ELb1EEvPKT_PKfPKiPfiiiiiiiiiiiiiiii.has_dyn_sized_stack, 0
	.set _ZL9mul_mat_fI15__hip_bfloat162Li64ELi3ELi8ELb1EEvPKT_PKfPKiPfiiiiiiiiiiiiiiii.has_recursion, 0
	.set _ZL9mul_mat_fI15__hip_bfloat162Li64ELi3ELi8ELb1EEvPKT_PKfPKiPfiiiiiiiiiiiiiiii.has_indirect_call, 0
	.section	.AMDGPU.csdata,"",@progbits
; Kernel info:
; codeLenInByte = 5464
; TotalNumSgprs: 95
; NumVgprs: 111
; NumAgprs: 0
; TotalNumVgprs: 111
; ScratchSize: 0
; MemoryBound: 0
; FloatMode: 240
; IeeeMode: 1
; LDSByteSize: 256 bytes/workgroup (compile time only)
; SGPRBlocks: 11
; VGPRBlocks: 13
; NumSGPRsForWavesPerEU: 95
; NumVGPRsForWavesPerEU: 111
; AccumOffset: 112
; Occupancy: 4
; WaveLimiterHint : 0
; COMPUTE_PGM_RSRC2:SCRATCH_EN: 0
; COMPUTE_PGM_RSRC2:USER_SGPR: 2
; COMPUTE_PGM_RSRC2:TRAP_HANDLER: 0
; COMPUTE_PGM_RSRC2:TGID_X_EN: 1
; COMPUTE_PGM_RSRC2:TGID_Y_EN: 1
; COMPUTE_PGM_RSRC2:TGID_Z_EN: 1
; COMPUTE_PGM_RSRC2:TIDIG_COMP_CNT: 2
; COMPUTE_PGM_RSRC3_GFX90A:ACCUM_OFFSET: 27
; COMPUTE_PGM_RSRC3_GFX90A:TG_SPLIT: 0
	.section	.text._ZL9mul_mat_fI15__hip_bfloat162Li64ELi3ELi8ELb0EEvPKT_PKfPKiPfiiiiiiiiiiiiiiii,"axG",@progbits,_ZL9mul_mat_fI15__hip_bfloat162Li64ELi3ELi8ELb0EEvPKT_PKfPKiPfiiiiiiiiiiiiiiii,comdat
	.globl	_ZL9mul_mat_fI15__hip_bfloat162Li64ELi3ELi8ELb0EEvPKT_PKfPKiPfiiiiiiiiiiiiiiii ; -- Begin function _ZL9mul_mat_fI15__hip_bfloat162Li64ELi3ELi8ELb0EEvPKT_PKfPKiPfiiiiiiiiiiiiiiii
	.p2align	8
	.type	_ZL9mul_mat_fI15__hip_bfloat162Li64ELi3ELi8ELb0EEvPKT_PKfPKiPfiiiiiiiiiiiiiiii,@function
_ZL9mul_mat_fI15__hip_bfloat162Li64ELi3ELi8ELb0EEvPKT_PKfPKiPfiiiiiiiiiiiiiiii: ; @_ZL9mul_mat_fI15__hip_bfloat162Li64ELi3ELi8ELb0EEvPKT_PKfPKiPfiiiiiiiiiiiiiiii
; %bb.0:
	s_load_dword s5, s[0:1], 0x20
	s_load_dwordx4 s[16:19], s[0:1], 0x2c
	v_bfe_u32 v84, v0, 10, 10
	v_lshlrev_b32_e32 v86, 6, v84
	v_and_b32_e32 v85, 0x3ff, v0
	v_add_u32_e32 v88, v86, v85
	s_waitcnt lgkmcnt(0)
	s_ashr_i32 s19, s4, 31
	v_cmp_le_i32_e32 vcc, s5, v88
	v_and_b32_e32 v87, 15, v85
	s_and_saveexec_b64 s[6:7], vcc
	s_xor_b64 s[6:7], exec, s[6:7]
; %bb.1:
	v_and_b32_e32 v87, 15, v85
                                        ; implicit-def: $vgpr88
; %bb.2:
	s_or_saveexec_b64 s[24:25], s[6:7]
	s_load_dwordx8 s[8:15], s[0:1], 0x40
	s_load_dwordx2 s[6:7], s[0:1], 0x18
	v_mov_b32_e32 v11, 0
	s_lshl_b32 s2, s2, 6
	v_lshlrev_b32_e32 v16, 2, v85
	v_mov_b32_e32 v10, v11
	v_mov_b32_e32 v9, v11
	;; [unrolled: 1-line block ×15, first 2 shown]
	s_xor_b64 exec, exec, s[24:25]
	s_cbranch_execz .LBB146_6
; %bb.3:
	s_waitcnt lgkmcnt(0)
	s_abs_i32 s26, s8
	v_cvt_f32_u32_e32 v0, s26
	s_abs_i32 s27, s12
	v_cvt_f32_u32_e32 v1, s27
	s_sub_i32 s20, 0, s26
	v_rcp_iflag_f32_e32 v0, v0
	s_abs_i32 s28, s3
	v_rcp_iflag_f32_e32 v1, v1
	s_sub_i32 s21, 0, s27
	v_mul_f32_e32 v0, 0x4f7ffffe, v0
	v_cvt_u32_f32_e32 v0, v0
	v_mul_f32_e32 v1, 0x4f7ffffe, v1
	v_cvt_u32_f32_e32 v1, v1
	s_abs_i32 s29, s4
	v_mul_lo_u32 v2, s20, v0
	v_mul_hi_u32 v2, v0, v2
	v_add_u32_e32 v0, v0, v2
	v_mul_hi_u32 v0, s28, v0
	v_mul_lo_u32 v3, s21, v1
	v_mul_lo_u32 v2, v0, s26
	v_mul_hi_u32 v3, v1, v3
	v_sub_u32_e32 v2, s28, v2
	v_add_u32_e32 v1, v1, v3
	v_add_u32_e32 v3, 1, v0
	v_subrev_u32_e32 v4, s26, v2
	v_cmp_le_u32_e32 vcc, s26, v2
	s_load_dwordx4 s[20:23], s[0:1], 0x0
	s_ashr_i32 s0, s3, 31
	v_cndmask_b32_e32 v0, v0, v3, vcc
	v_cndmask_b32_e32 v2, v2, v4, vcc
	s_ashr_i32 s1, s8, 31
	v_add_u32_e32 v3, 1, v0
	v_cmp_le_u32_e32 vcc, s26, v2
	s_xor_b32 s0, s0, s1
	v_mul_hi_u32 v1, s29, v1
	v_cndmask_b32_e32 v0, v0, v3, vcc
	v_xor_b32_e32 v0, s0, v0
	v_subrev_u32_e32 v2, s0, v0
	v_mul_lo_u32 v0, v1, s27
	v_sub_u32_e32 v0, s29, v0
	v_add_u32_e32 v3, 1, v1
	v_subrev_u32_e32 v4, s27, v0
	v_cmp_le_u32_e32 vcc, s27, v0
	s_ashr_i32 s8, s12, 31
	s_xor_b32 s0, s19, s8
	v_cndmask_b32_e32 v1, v1, v3, vcc
	v_cndmask_b32_e32 v0, v0, v4, vcc
	v_add_u32_e32 v3, 1, v1
	v_cmp_le_u32_e32 vcc, s27, v0
	v_mul_lo_u32 v2, v2, s9
	s_mul_hi_i32 s9, s14, s4
	v_cndmask_b32_e32 v0, v1, v3, vcc
	v_xor_b32_e32 v0, s0, v0
	s_mul_i32 s8, s14, s4
	v_subrev_u32_e32 v0, s0, v0
	s_lshl_b64 s[26:27], s[8:9], 2
	v_mul_hi_i32 v1, v0, s13
	v_mul_lo_u32 v0, v0, s13
	s_mul_i32 s0, s16, s2
	s_waitcnt lgkmcnt(0)
	s_add_u32 s8, s22, s26
	v_ashrrev_i32_e32 v3, 31, v2
	v_lshlrev_b64 v[0:1], 2, v[0:1]
	s_mul_i32 s12, s10, s3
	s_addc_u32 s9, s23, s27
	s_ashr_i32 s1, s0, 31
	v_lshl_add_u64 v[4:5], s[20:21], 0, v[0:1]
	v_lshlrev_b64 v[2:3], 2, v[2:3]
	s_lshl_b64 s[74:75], s[0:1], 2
	s_ashr_i32 s13, s12, 31
	v_lshl_add_u64 v[4:5], v[4:5], 0, v[2:3]
	s_lshl_b64 s[28:29], s[12:13], 2
	v_lshl_add_u64 v[2:3], v[2:3], 0, s[74:75]
	s_add_u32 s0, s8, s28
	s_movk_i32 s8, 0x1080
	v_mov_b32_e32 v21, 0
	v_lshlrev_b32_e32 v20, 8, v84
	v_lshl_add_u64 v[0:1], v[2:3], 0, v[0:1]
	v_lshl_add_u64 v[18:19], v[4:5], 0, s[74:75]
	s_addc_u32 s1, s9, s29
	v_mad_u32_u24 v4, v84, s8, 0
	s_ashr_i32 s9, s16, 31
	s_mov_b32 s8, s16
	s_ashr_i32 s13, s17, 31
	s_mov_b32 s12, s17
	v_lshl_add_u64 v[0:1], v[0:1], 0, v[20:21]
	v_mov_b32_e32 v17, v21
	s_add_i32 s10, s16, s16
	s_add_i32 s14, s17, s17
	s_lshl_b32 s30, s16, 2
	s_lshl_b32 s35, s16, 3
	s_lshl_b32 s43, s16, 4
	s_lshl_b32 s59, s16, 5
	s_lshl_b64 s[8:9], s[8:9], 2
	s_lshl_b64 s[12:13], s[12:13], 3
	v_lshl_add_u64 v[0:1], v[0:1], 0, v[16:17]
	v_lshlrev_b32_e32 v20, 9, v84
	v_lshrrev_b32_e32 v6, 1, v85
	s_add_u32 s22, s22, s28
	v_lshl_add_u64 v[22:23], s[20:21], 0, v[0:1]
	v_lshl_add_u64 v[0:1], s[26:27], 0, v[20:21]
	v_lshlrev_b32_e32 v20, 3, v85
	v_mul_u32_u24_e32 v5, 0x108, v87
	v_and_b32_e32 v6, 0x1f8, v6
	s_addc_u32 s23, s23, s29
	v_lshl_add_u64 v[0:1], v[0:1], 0, v[20:21]
	v_add_u32_e32 v89, v4, v16
	v_add3_u32 v90, v4, v5, v6
	s_mul_i32 s19, s16, 3
	s_mul_i32 s31, s16, 5
	;; [unrolled: 1-line block ×47, first 2 shown]
	v_lshl_add_u64 v[24:25], s[22:23], 0, v[0:1]
	s_mul_i32 s77, s16, 54
	s_mul_i32 s78, s16, 55
	v_mov_b32_e32 v12, 0
	v_mov_b32_e32 v13, v21
	;; [unrolled: 1-line block ×16, first 2 shown]
	s_mul_i32 s79, s16, 56
	s_mul_i32 s80, s16, 57
	;; [unrolled: 1-line block ×8, first 2 shown]
	s_mov_b64 s[16:17], 0
	s_mov_b64 s[20:21], 0x800
	;; [unrolled: 1-line block ×3, first 2 shown]
.LBB146_4:                              ; =>This Inner Loop Header: Depth=1
	v_add_u32_e32 v82, s10, v88
	v_add_u32_e32 v74, s19, v88
	;; [unrolled: 1-line block ×8, first 2 shown]
	v_lshl_add_u64 v[80:81], v[22:23], 0, s[8:9]
	v_add_u32_e32 v78, s30, v88
	v_add_u32_e32 v68, s33, v88
	;; [unrolled: 1-line block ×7, first 2 shown]
	v_ashrrev_i32_e32 v83, 31, v82
	v_ashrrev_i32_e32 v75, 31, v74
	;; [unrolled: 1-line block ×8, first 2 shown]
	v_add_u32_e32 v28, s44, v88
	v_add_u32_e32 v44, s45, v88
	global_load_dword v91, v[80:81], off
	v_lshl_add_u64 v[80:81], v[82:83], 2, v[18:19]
	v_ashrrev_i32_e32 v79, 31, v78
	v_lshl_add_u64 v[74:75], v[74:75], 2, v[18:19]
	v_ashrrev_i32_e32 v69, 31, v68
	;; [unrolled: 2-line block ×5, first 2 shown]
	v_lshl_add_u64 v[32:33], v[32:33], 2, v[18:19]
	v_lshl_add_u64 v[30:31], v[30:31], 2, v[18:19]
	;; [unrolled: 1-line block ×3, first 2 shown]
	v_ashrrev_i32_e32 v27, 31, v26
	v_ashrrev_i32_e32 v39, 31, v38
	v_add_u32_e32 v36, s46, v88
	v_add_u32_e32 v52, s47, v88
	global_load_dword v82, v[80:81], off
	v_lshl_add_u64 v[92:93], v[78:79], 2, v[18:19]
	global_load_dword v78, v[74:75], off
	global_load_dword v79, v[92:93], off
	v_lshl_add_u64 v[68:69], v[68:69], 2, v[18:19]
	global_load_dword v62, v[62:63], off
	s_nop 0
	global_load_dword v63, v[68:69], off
	v_lshl_add_u64 v[56:57], v[56:57], 2, v[18:19]
	global_load_dword v48, v[48:49], off
	s_nop 0
	global_load_dword v49, v[56:57], off
	v_lshl_add_u64 v[50:51], v[50:51], 2, v[18:19]
	global_load_dword v40, v[40:41], off
	s_nop 0
	global_load_dword v17, v[50:51], off
	v_lshl_add_u64 v[42:43], v[42:43], 2, v[18:19]
	global_load_dword v20, v[32:33], off
	s_nop 0
	global_load_dword v32, v[42:43], off
	s_nop 0
	global_load_dword v30, v[30:31], off
	s_nop 0
	global_load_dword v31, v[34:35], off
	v_lshl_add_u64 v[26:27], v[26:27], 2, v[18:19]
	v_lshl_add_u64 v[34:35], v[38:39], 2, v[18:19]
	v_ashrrev_i32_e32 v29, 31, v28
	v_ashrrev_i32_e32 v45, 31, v44
	v_add_u32_e32 v46, s48, v88
	v_add_u32_e32 v58, s49, v88
	global_load_dword v27, v[26:27], off
	s_nop 0
	global_load_dword v26, v[34:35], off
	v_lshl_add_u64 v[28:29], v[28:29], 2, v[18:19]
	v_lshl_add_u64 v[34:35], v[44:45], 2, v[18:19]
	v_ashrrev_i32_e32 v37, 31, v36
	v_ashrrev_i32_e32 v53, 31, v52
	v_add_u32_e32 v54, s50, v88
	v_add_u32_e32 v64, s51, v88
	;; [unrolled: 9-line block ×6, first 2 shown]
	global_load_dword v39, v[42:43], off
	global_load_dword v41, v[44:45], off
	v_lshl_add_u64 v[42:43], v[66:67], 2, v[18:19]
	v_lshl_add_u64 v[44:45], v[76:77], 2, v[18:19]
	v_ashrrev_i32_e32 v73, 31, v72
	v_ashrrev_i32_e32 v81, 31, v80
	v_add_u32_e32 v56, s60, v88
	v_add_u32_e32 v50, s61, v88
	global_load_dword v42, v[42:43], off
	s_nop 0
	global_load_dword v43, v[44:45], off
	v_lshl_add_u64 v[44:45], v[72:73], 2, v[18:19]
	v_lshl_add_u64 v[46:47], v[80:81], 2, v[18:19]
	v_ashrrev_i32_e32 v75, 31, v74
	v_ashrrev_i32_e32 v69, 31, v68
	v_add_u32_e32 v92, s62, v88
	v_add_u32_e32 v94, s63, v88
	global_load_dword v44, v[44:45], off
	s_nop 0
	;; [unrolled: 9-line block ×3, first 2 shown]
	global_load_dword v46, v[52:53], off
	v_lshl_add_u64 v[52:53], v[56:57], 2, v[18:19]
	v_lshl_add_u64 v[54:55], v[50:51], 2, v[18:19]
	v_ashrrev_i32_e32 v93, 31, v92
	v_ashrrev_i32_e32 v95, 31, v94
	v_add_u32_e32 v100, s66, v88
	v_add_u32_e32 v58, s67, v88
	;; [unrolled: 1-line block ×3, first 2 shown]
	global_load_dword v50, v[52:53], off
	global_load_dword v51, v[54:55], off
	v_lshl_add_u64 v[52:53], v[92:93], 2, v[18:19]
	v_lshl_add_u64 v[54:55], v[94:95], 2, v[18:19]
	v_ashrrev_i32_e32 v97, 31, v96
	v_ashrrev_i32_e32 v99, 31, v98
	v_add_u32_e32 v60, s69, v88
	v_add_u32_e32 v66, s70, v88
	;; [unrolled: 1-line block ×3, first 2 shown]
	global_load_dword v52, v[52:53], off
	s_nop 0
	global_load_dword v53, v[54:55], off
	v_lshl_add_u64 v[54:55], v[96:97], 2, v[18:19]
	v_lshl_add_u64 v[56:57], v[98:99], 2, v[18:19]
	v_ashrrev_i32_e32 v101, 31, v100
	v_ashrrev_i32_e32 v59, 31, v58
	;; [unrolled: 1-line block ×3, first 2 shown]
	v_add_u32_e32 v68, s72, v88
	v_add_u32_e32 v72, s28, v88
	global_load_dword v54, v[54:55], off
	s_nop 0
	global_load_dword v55, v[56:57], off
	v_lshl_add_u64 v[56:57], v[100:101], 2, v[18:19]
	v_lshl_add_u64 v[58:59], v[58:59], 2, v[18:19]
	v_ashrrev_i32_e32 v61, 31, v60
	v_lshl_add_u64 v[64:65], v[64:65], 2, v[18:19]
	v_ashrrev_i32_e32 v67, 31, v66
	v_ashrrev_i32_e32 v71, 31, v70
	v_add_u32_e32 v74, s29, v88
	global_load_dword v56, v[56:57], off
	s_nop 0
	global_load_dword v57, v[58:59], off
	v_add_u32_e32 v58, s74, v88
	v_lshl_add_u64 v[60:61], v[60:61], 2, v[18:19]
	global_load_dword v80, v[64:65], off
	global_load_dword v81, v[60:61], off
	v_lshl_add_u64 v[64:65], v[66:67], 2, v[18:19]
	v_lshl_add_u64 v[66:67], v[70:71], 2, v[18:19]
	v_ashrrev_i32_e32 v69, 31, v68
	v_ashrrev_i32_e32 v73, 31, v72
	v_add_u32_e32 v76, s73, v88
	v_add_u32_e32 v60, s75, v88
	global_load_dword v83, v[64:65], off
	global_load_dword v92, v[66:67], off
	v_lshl_add_u64 v[66:67], v[68:69], 2, v[18:19]
	v_lshl_add_u64 v[68:69], v[72:73], 2, v[18:19]
	v_ashrrev_i32_e32 v75, 31, v74
	v_ashrrev_i32_e32 v59, 31, v58
	v_add_u32_e32 v64, s76, v88
	global_load_dword v72, v[66:67], off
	global_load_dword v73, v[68:69], off
	v_add_u32_e32 v66, s26, v88
	v_ashrrev_i32_e32 v77, 31, v76
	v_lshl_add_u64 v[68:69], v[74:75], 2, v[18:19]
	v_ashrrev_i32_e32 v61, 31, v60
	v_lshl_add_u64 v[58:59], v[58:59], 2, v[18:19]
	v_lshl_add_u64 v[70:71], v[76:77], 2, v[18:19]
	global_load_dword v74, v[68:69], off
	global_load_dword v75, v[70:71], off
	v_add_u32_e32 v68, s27, v88
	v_lshl_add_u64 v[60:61], v[60:61], 2, v[18:19]
	global_load_dword v76, v[58:59], off
	global_load_dword v77, v[60:61], off
	v_add_u32_e32 v58, s77, v88
	v_ashrrev_i32_e32 v65, 31, v64
	v_ashrrev_i32_e32 v67, 31, v66
	v_lshl_add_u64 v[60:61], v[64:65], 2, v[18:19]
	v_lshl_add_u64 v[64:65], v[66:67], 2, v[18:19]
	v_ashrrev_i32_e32 v69, 31, v68
	v_ashrrev_i32_e32 v59, 31, v58
	global_load_dword v93, v[60:61], off
	global_load_dword v94, v[64:65], off
	v_lshl_add_u64 v[64:65], v[68:69], 2, v[18:19]
	v_lshl_add_u64 v[58:59], v[58:59], 2, v[18:19]
	v_add_u32_e32 v60, s78, v88
	global_load_dword v95, v[64:65], off
	global_load_dword v96, v[58:59], off
	v_add_u32_e32 v58, s79, v88
	v_ashrrev_i32_e32 v61, 31, v60
	v_ashrrev_i32_e32 v59, 31, v58
	v_lshl_add_u64 v[60:61], v[60:61], 2, v[18:19]
	v_lshl_add_u64 v[58:59], v[58:59], 2, v[18:19]
	global_load_dword v97, v[60:61], off
	global_load_dword v98, v[58:59], off
	v_add_u32_e32 v58, s80, v88
	v_ashrrev_i32_e32 v59, 31, v58
	v_lshl_add_u64 v[58:59], v[58:59], 2, v[18:19]
	global_load_dword v99, v[58:59], off
	v_add_u32_e32 v58, s81, v88
	v_ashrrev_i32_e32 v59, 31, v58
	v_lshl_add_u64 v[58:59], v[58:59], 2, v[18:19]
	;; [unrolled: 4-line block ×7, first 2 shown]
	global_load_dword v105, v[58:59], off
	s_nop 0
	global_load_dword v58, v[22:23], off
	s_waitcnt vmcnt(62)
	ds_write_b32 v89, v91 offset:264
	v_lshl_add_u64 v[22:23], v[22:23], 0, s[20:21]
	s_waitcnt vmcnt(0)
	ds_write_b32 v89, v58
	global_load_dwordx2 v[58:59], v[24:25], off
	s_waitcnt vmcnt(0)
	v_cvt_pk_bf16_f32 v106, v58, v59
	v_lshl_add_u64 v[58:59], v[24:25], 0, s[12:13]
	global_load_dwordx2 v[58:59], v[58:59], off
	ds_write_b32 v89, v82 offset:528
	ds_write_b32 v89, v78 offset:792
	;; [unrolled: 1-line block ×8, first 2 shown]
	v_add_u32_e32 v48, s14, v88
	v_ashrrev_i32_e32 v49, 31, v48
	v_lshl_add_u64 v[48:49], v[48:49], 3, s[0:1]
	global_load_dwordx2 v[48:49], v[48:49], off
	ds_write_b32 v89, v17 offset:2640
	ds_write_b32 v89, v20 offset:2904
	;; [unrolled: 1-line block ×6, first 2 shown]
	v_add_u32_e32 v88, 0x200, v88
	v_cmp_le_i32_e32 vcc, s5, v88
	s_or_b64 s[16:17], vcc, s[16:17]
	v_lshl_add_u64 v[24:25], v[24:25], 0, s[22:23]
	s_waitcnt vmcnt(1)
	v_cvt_pk_bf16_f32 v91, v58, v59
	s_waitcnt vmcnt(0)
	v_cvt_pk_bf16_f32 v17, v48, v49
	ds_read_b64 v[30:31], v90
	ds_read_b64 v[48:49], v90 offset:32
	ds_read_b64 v[58:59], v90 offset:64
	ds_read_b64 v[60:61], v90 offset:96
	ds_read_b64 v[62:63], v90 offset:128
	ds_read_b64 v[64:65], v90 offset:160
	ds_read_b64 v[66:67], v90 offset:192
	ds_read_b64 v[68:69], v90 offset:224
	ds_write_b32 v89, v26
	ds_write_b32 v89, v28 offset:264
	ds_write_b32 v89, v29 offset:528
	ds_write_b32 v89, v33 offset:792
	ds_write_b32 v89, v34 offset:1056
	ds_write_b32 v89, v35 offset:1320
	ds_write_b32 v89, v36 offset:1584
	ds_write_b32 v89, v37 offset:1848
	ds_write_b32 v89, v38 offset:2112
	ds_write_b32 v89, v39 offset:2376
	ds_write_b32 v89, v41 offset:2640
	ds_write_b32 v89, v42 offset:2904
	ds_write_b32 v89, v43 offset:3168
	ds_write_b32 v89, v44 offset:3432
	ds_write_b32 v89, v45 offset:3696
	ds_write_b32 v89, v47 offset:3960
	ds_read_b64 v[26:27], v90
	ds_read_b64 v[28:29], v90 offset:32
	ds_read_b64 v[32:33], v90 offset:64
	ds_read_b64 v[34:35], v90 offset:96
	ds_read_b64 v[36:37], v90 offset:128
	ds_read_b64 v[38:39], v90 offset:160
	ds_read_b64 v[40:41], v90 offset:192
	ds_read_b64 v[42:43], v90 offset:224
	ds_write_b32 v89, v46
	ds_write_b32 v89, v50 offset:264
	ds_write_b32 v89, v51 offset:528
	ds_write_b32 v89, v52 offset:792
	ds_write_b32 v89, v53 offset:1056
	ds_write_b32 v89, v54 offset:1320
	ds_write_b32 v89, v55 offset:1584
	ds_write_b32 v89, v56 offset:1848
	ds_write_b32 v89, v57 offset:2112
	ds_write_b32 v89, v80 offset:2376
	ds_write_b32 v89, v81 offset:2640
	ds_write_b32 v89, v83 offset:2904
	ds_write_b32 v89, v92 offset:3168
	ds_write_b32 v89, v72 offset:3432
	ds_write_b32 v89, v73 offset:3696
	ds_write_b32 v89, v74 offset:3960
	;; [unrolled: 24-line block ×4, first 2 shown]
	ds_read_b64 v[98:99], v90
	s_waitcnt lgkmcnt(0)
	v_mfma_f32_16x16x16_bf16 v[4:7], v[26:27], v[98:99], v[4:7]
	ds_read_b64 v[26:27], v90 offset:32
	v_mfma_f32_16x16x16_bf16 v[8:11], v[30:31], v[98:99], v[8:11]
	v_mfma_f32_16x16x16_bf16 v[0:3], v[44:45], v[98:99], v[0:3]
	;; [unrolled: 1-line block ×3, first 2 shown]
	s_waitcnt lgkmcnt(0)
	v_mfma_f32_16x16x16_bf16 v[8:11], v[48:49], v[26:27], v[8:11]
	v_mfma_f32_16x16x16_bf16 v[4:7], v[28:29], v[26:27], v[4:7]
	v_mfma_f32_16x16x16_bf16 v[0:3], v[46:47], v[26:27], v[0:3]
	v_mfma_f32_16x16x16_bf16 v[12:15], v[76:77], v[26:27], v[12:15]
	ds_read_b64 v[26:27], v90 offset:64
	s_waitcnt lgkmcnt(0)
	v_mfma_f32_16x16x16_bf16 v[8:11], v[58:59], v[26:27], v[8:11]
	v_mfma_f32_16x16x16_bf16 v[4:7], v[32:33], v[26:27], v[4:7]
	v_mfma_f32_16x16x16_bf16 v[0:3], v[50:51], v[26:27], v[0:3]
	v_mfma_f32_16x16x16_bf16 v[12:15], v[78:79], v[26:27], v[12:15]
	ds_read_b64 v[26:27], v90 offset:96
	;; [unrolled: 6-line block ×6, first 2 shown]
	s_waitcnt lgkmcnt(0)
	v_mfma_f32_16x16x16_bf16 v[8:11], v[68:69], v[26:27], v[8:11]
	v_mfma_f32_16x16x16_bf16 v[4:7], v[42:43], v[26:27], v[4:7]
	;; [unrolled: 1-line block ×4, first 2 shown]
	s_andn2_b64 exec, exec, s[16:17]
	s_cbranch_execnz .LBB146_4
; %bb.5:
	s_or_b64 exec, exec, s[16:17]
.LBB146_6:
	s_or_b64 exec, exec, s[24:25]
	v_lshl_add_u32 v17, v86, 2, 0
	v_mul_u32_u24_e32 v18, 0x808, v87
	v_and_b32_e32 v19, 0x3f0, v85
	v_add3_u32 v17, v17, v18, v19
	v_cmp_gt_u32_e32 vcc, 3, v84
	s_waitcnt lgkmcnt(0)
	s_barrier
	ds_write2_b32 v17, v8, v9 offset1:1
	ds_write2_b32 v17, v10, v11 offset0:2 offset1:3
	ds_write2_b32 v17, v4, v5 offset0:16 offset1:17
	;; [unrolled: 1-line block ×7, first 2 shown]
	s_waitcnt lgkmcnt(0)
	s_barrier
	s_and_saveexec_b64 s[0:1], vcc
	s_cbranch_execz .LBB146_8
; %bb.7:
	v_mul_u32_u24_e32 v0, 0x808, v84
	v_add3_u32 v8, 0, v16, v0
	ds_read2st64_b32 v[2:3], v8 offset1:1
	ds_read2st64_b32 v[4:5], v8 offset0:2 offset1:3
	ds_read2st64_b32 v[6:7], v8 offset0:4 offset1:5
	;; [unrolled: 1-line block ×3, first 2 shown]
	s_mul_hi_i32 s1, s15, s4
	s_mul_i32 s0, s15, s4
	s_lshl_b64 s[0:1], s[0:1], 2
	s_waitcnt lgkmcnt(3)
	v_add_f32_e32 v2, 0, v2
	v_add_f32_e32 v2, v2, v3
	s_mul_i32 s4, s11, s3
	s_add_u32 s3, s6, s0
	s_waitcnt lgkmcnt(2)
	v_add_f32_e32 v2, v2, v4
	s_addc_u32 s6, s7, s1
	s_ashr_i32 s5, s4, 31
	v_add_f32_e32 v2, v2, v5
	s_lshl_b64 s[0:1], s[4:5], 2
	s_waitcnt lgkmcnt(1)
	v_add_f32_e32 v2, v2, v6
	s_add_u32 s0, s3, s0
	v_mul_lo_u32 v0, s18, v84
	v_add_f32_e32 v2, v2, v7
	s_addc_u32 s1, s6, s1
	v_add3_u32 v0, s2, v85, v0
	v_mov_b32_e32 v1, 0
	s_waitcnt lgkmcnt(0)
	v_add_f32_e32 v2, v2, v8
	v_add_f32_e32 v2, v2, v9
	v_lshl_add_u64 v[0:1], v[0:1], 2, s[0:1]
	global_store_dword v[0:1], v2, off
.LBB146_8:
	s_endpgm
	.section	.rodata,"a",@progbits
	.p2align	6, 0x0
	.amdhsa_kernel _ZL9mul_mat_fI15__hip_bfloat162Li64ELi3ELi8ELb0EEvPKT_PKfPKiPfiiiiiiiiiiiiiiii
		.amdhsa_group_segment_fixed_size 0
		.amdhsa_private_segment_fixed_size 0
		.amdhsa_kernarg_size 96
		.amdhsa_user_sgpr_count 2
		.amdhsa_user_sgpr_dispatch_ptr 0
		.amdhsa_user_sgpr_queue_ptr 0
		.amdhsa_user_sgpr_kernarg_segment_ptr 1
		.amdhsa_user_sgpr_dispatch_id 0
		.amdhsa_user_sgpr_kernarg_preload_length 0
		.amdhsa_user_sgpr_kernarg_preload_offset 0
		.amdhsa_user_sgpr_private_segment_size 0
		.amdhsa_uses_dynamic_stack 0
		.amdhsa_enable_private_segment 0
		.amdhsa_system_sgpr_workgroup_id_x 1
		.amdhsa_system_sgpr_workgroup_id_y 1
		.amdhsa_system_sgpr_workgroup_id_z 1
		.amdhsa_system_sgpr_workgroup_info 0
		.amdhsa_system_vgpr_workitem_id 1
		.amdhsa_next_free_vgpr 107
		.amdhsa_next_free_sgpr 87
		.amdhsa_accum_offset 108
		.amdhsa_reserve_vcc 1
		.amdhsa_float_round_mode_32 0
		.amdhsa_float_round_mode_16_64 0
		.amdhsa_float_denorm_mode_32 3
		.amdhsa_float_denorm_mode_16_64 3
		.amdhsa_dx10_clamp 1
		.amdhsa_ieee_mode 1
		.amdhsa_fp16_overflow 0
		.amdhsa_tg_split 0
		.amdhsa_exception_fp_ieee_invalid_op 0
		.amdhsa_exception_fp_denorm_src 0
		.amdhsa_exception_fp_ieee_div_zero 0
		.amdhsa_exception_fp_ieee_overflow 0
		.amdhsa_exception_fp_ieee_underflow 0
		.amdhsa_exception_fp_ieee_inexact 0
		.amdhsa_exception_int_div_zero 0
	.end_amdhsa_kernel
	.section	.text._ZL9mul_mat_fI15__hip_bfloat162Li64ELi3ELi8ELb0EEvPKT_PKfPKiPfiiiiiiiiiiiiiiii,"axG",@progbits,_ZL9mul_mat_fI15__hip_bfloat162Li64ELi3ELi8ELb0EEvPKT_PKfPKiPfiiiiiiiiiiiiiiii,comdat
.Lfunc_end146:
	.size	_ZL9mul_mat_fI15__hip_bfloat162Li64ELi3ELi8ELb0EEvPKT_PKfPKiPfiiiiiiiiiiiiiiii, .Lfunc_end146-_ZL9mul_mat_fI15__hip_bfloat162Li64ELi3ELi8ELb0EEvPKT_PKfPKiPfiiiiiiiiiiiiiiii
                                        ; -- End function
	.set _ZL9mul_mat_fI15__hip_bfloat162Li64ELi3ELi8ELb0EEvPKT_PKfPKiPfiiiiiiiiiiiiiiii.num_vgpr, 107
	.set _ZL9mul_mat_fI15__hip_bfloat162Li64ELi3ELi8ELb0EEvPKT_PKfPKiPfiiiiiiiiiiiiiiii.num_agpr, 0
	.set _ZL9mul_mat_fI15__hip_bfloat162Li64ELi3ELi8ELb0EEvPKT_PKfPKiPfiiiiiiiiiiiiiiii.numbered_sgpr, 87
	.set _ZL9mul_mat_fI15__hip_bfloat162Li64ELi3ELi8ELb0EEvPKT_PKfPKiPfiiiiiiiiiiiiiiii.num_named_barrier, 0
	.set _ZL9mul_mat_fI15__hip_bfloat162Li64ELi3ELi8ELb0EEvPKT_PKfPKiPfiiiiiiiiiiiiiiii.private_seg_size, 0
	.set _ZL9mul_mat_fI15__hip_bfloat162Li64ELi3ELi8ELb0EEvPKT_PKfPKiPfiiiiiiiiiiiiiiii.uses_vcc, 1
	.set _ZL9mul_mat_fI15__hip_bfloat162Li64ELi3ELi8ELb0EEvPKT_PKfPKiPfiiiiiiiiiiiiiiii.uses_flat_scratch, 0
	.set _ZL9mul_mat_fI15__hip_bfloat162Li64ELi3ELi8ELb0EEvPKT_PKfPKiPfiiiiiiiiiiiiiiii.has_dyn_sized_stack, 0
	.set _ZL9mul_mat_fI15__hip_bfloat162Li64ELi3ELi8ELb0EEvPKT_PKfPKiPfiiiiiiiiiiiiiiii.has_recursion, 0
	.set _ZL9mul_mat_fI15__hip_bfloat162Li64ELi3ELi8ELb0EEvPKT_PKfPKiPfiiiiiiiiiiiiiiii.has_indirect_call, 0
	.section	.AMDGPU.csdata,"",@progbits
; Kernel info:
; codeLenInByte = 4316
; TotalNumSgprs: 93
; NumVgprs: 107
; NumAgprs: 0
; TotalNumVgprs: 107
; ScratchSize: 0
; MemoryBound: 0
; FloatMode: 240
; IeeeMode: 1
; LDSByteSize: 0 bytes/workgroup (compile time only)
; SGPRBlocks: 11
; VGPRBlocks: 13
; NumSGPRsForWavesPerEU: 93
; NumVGPRsForWavesPerEU: 107
; AccumOffset: 108
; Occupancy: 4
; WaveLimiterHint : 0
; COMPUTE_PGM_RSRC2:SCRATCH_EN: 0
; COMPUTE_PGM_RSRC2:USER_SGPR: 2
; COMPUTE_PGM_RSRC2:TRAP_HANDLER: 0
; COMPUTE_PGM_RSRC2:TGID_X_EN: 1
; COMPUTE_PGM_RSRC2:TGID_Y_EN: 1
; COMPUTE_PGM_RSRC2:TGID_Z_EN: 1
; COMPUTE_PGM_RSRC2:TIDIG_COMP_CNT: 1
; COMPUTE_PGM_RSRC3_GFX90A:ACCUM_OFFSET: 26
; COMPUTE_PGM_RSRC3_GFX90A:TG_SPLIT: 0
	.text
	.p2alignl 6, 3212836864
	.fill 256, 4, 3212836864
	.section	.AMDGPU.gpr_maximums,"",@progbits
	.set amdgpu.max_num_vgpr, 38
	.set amdgpu.max_num_agpr, 0
	.set amdgpu.max_num_sgpr, 34
	.text
	.type	.str,@object                    ; @.str
	.section	.rodata.str1.1,"aMS",@progbits,1
.str:
	.asciz	"/root/src/amdgpu-assembly/repos/ggml-org__llama.cpp/ggml/src/ggml-cuda/template-instances/../mmf.cuh"
	.size	.str, 101

	.type	__FUNCTION__._ZL13mul_mat_f_idsIfLi32ELi3ELi1EEvPKT_PKfPKiS6_S6_Pfiiiiiiiiiiiiii15HIP_vector_typeIjLj3EES9_,@object ; @__FUNCTION__._ZL13mul_mat_f_idsIfLi32ELi3ELi1EEvPKT_PKfPKiS6_S6_Pfiiiiiiiiiiiiii15HIP_vector_typeIjLj3EES9_
__FUNCTION__._ZL13mul_mat_f_idsIfLi32ELi3ELi1EEvPKT_PKfPKiS6_S6_Pfiiiiiiiiiiiiii15HIP_vector_typeIjLj3EES9_:
	.asciz	"mul_mat_f_ids"
	.size	__FUNCTION__._ZL13mul_mat_f_idsIfLi32ELi3ELi1EEvPKT_PKfPKiS6_S6_Pfiiiiiiiiiiiiii15HIP_vector_typeIjLj3EES9_, 14

	.type	.str.2,@object                  ; @.str.2
.str.2:
	.asciz	"%s:%d: ERROR: HIP kernel %s has no device code compatible with HIP arch %d.\n"
	.size	.str.2, 77

	.type	__FUNCTION__._ZL9mul_mat_fIfLi32ELi3ELi1ELb1EEvPKT_PKfPKiPfiiiiiiiiiiiiiiii,@object ; @__FUNCTION__._ZL9mul_mat_fIfLi32ELi3ELi1ELb1EEvPKT_PKfPKiPfiiiiiiiiiiiiiiii
__FUNCTION__._ZL9mul_mat_fIfLi32ELi3ELi1ELb1EEvPKT_PKfPKiPfiiiiiiiiiiiiiiii:
	.asciz	"mul_mat_f"
	.size	__FUNCTION__._ZL9mul_mat_fIfLi32ELi3ELi1ELb1EEvPKT_PKfPKiPfiiiiiiiiiiiiiiii, 10

	.type	__hip_cuid_4fa0696f6b7d4653,@object ; @__hip_cuid_4fa0696f6b7d4653
	.section	.bss,"aw",@nobits
	.globl	__hip_cuid_4fa0696f6b7d4653
__hip_cuid_4fa0696f6b7d4653:
	.byte	0                               ; 0x0
	.size	__hip_cuid_4fa0696f6b7d4653, 1

	.ident	"AMD clang version 22.0.0git (https://github.com/RadeonOpenCompute/llvm-project roc-7.2.4 26084 f58b06dce1f9c15707c5f808fd002e18c2accf7e)"
	.section	".note.GNU-stack","",@progbits
	.addrsig
	.addrsig_sym __hip_cuid_4fa0696f6b7d4653
	.amdgpu_metadata
---
amdhsa.kernels:
  - .agpr_count:     0
    .args:
      - .actual_access:  read_only
        .address_space:  global
        .offset:         0
        .size:           8
        .value_kind:     global_buffer
      - .actual_access:  read_only
        .address_space:  global
        .offset:         8
        .size:           8
        .value_kind:     global_buffer
      - .actual_access:  read_only
        .address_space:  global
        .offset:         16
        .size:           8
        .value_kind:     global_buffer
      - .actual_access:  read_only
        .address_space:  global
        .offset:         24
        .size:           8
        .value_kind:     global_buffer
      - .actual_access:  read_only
        .address_space:  global
        .offset:         32
        .size:           8
        .value_kind:     global_buffer
      - .actual_access:  read_only
        .address_space:  global
        .offset:         40
        .size:           8
        .value_kind:     global_buffer
      - .offset:         48
        .size:           4
        .value_kind:     by_value
      - .offset:         52
        .size:           4
        .value_kind:     by_value
      - .offset:         56
        .size:           4
        .value_kind:     by_value
      - .offset:         60
        .size:           4
        .value_kind:     by_value
      - .offset:         64
        .size:           4
        .value_kind:     by_value
      - .offset:         68
        .size:           4
        .value_kind:     by_value
      - .offset:         72
        .size:           4
        .value_kind:     by_value
      - .offset:         76
        .size:           4
        .value_kind:     by_value
      - .offset:         80
        .size:           4
        .value_kind:     by_value
      - .offset:         84
        .size:           4
        .value_kind:     by_value
      - .offset:         88
        .size:           4
        .value_kind:     by_value
      - .offset:         92
        .size:           4
        .value_kind:     by_value
      - .offset:         96
        .size:           4
        .value_kind:     by_value
      - .offset:         100
        .size:           4
        .value_kind:     by_value
      - .offset:         104
        .size:           12
        .value_kind:     by_value
      - .offset:         116
        .size:           12
        .value_kind:     by_value
      - .offset:         128
        .size:           4
        .value_kind:     hidden_block_count_x
      - .offset:         132
        .size:           4
        .value_kind:     hidden_block_count_y
      - .offset:         136
        .size:           4
        .value_kind:     hidden_block_count_z
      - .offset:         140
        .size:           2
        .value_kind:     hidden_group_size_x
      - .offset:         142
        .size:           2
        .value_kind:     hidden_group_size_y
      - .offset:         144
        .size:           2
        .value_kind:     hidden_group_size_z
      - .offset:         146
        .size:           2
        .value_kind:     hidden_remainder_x
      - .offset:         148
        .size:           2
        .value_kind:     hidden_remainder_y
      - .offset:         150
        .size:           2
        .value_kind:     hidden_remainder_z
      - .offset:         168
        .size:           8
        .value_kind:     hidden_global_offset_x
      - .offset:         176
        .size:           8
        .value_kind:     hidden_global_offset_y
      - .offset:         184
        .size:           8
        .value_kind:     hidden_global_offset_z
      - .offset:         192
        .size:           2
        .value_kind:     hidden_grid_dims
      - .offset:         208
        .size:           8
        .value_kind:     hidden_hostcall_buffer
    .group_segment_fixed_size: 0
    .kernarg_segment_align: 8
    .kernarg_segment_size: 384
    .language:       OpenCL C
    .language_version:
      - 2
      - 0
    .max_flat_workgroup_size: 64
    .name:           _ZL13mul_mat_f_idsIfLi32ELi3ELi1EEvPKT_PKfPKiS6_S6_Pfiiiiiiiiiiiiii15HIP_vector_typeIjLj3EES9_
    .private_segment_fixed_size: 16
    .sgpr_count:     40
    .sgpr_spill_count: 0
    .symbol:         _ZL13mul_mat_f_idsIfLi32ELi3ELi1EEvPKT_PKfPKiS6_S6_Pfiiiiiiiiiiiiii15HIP_vector_typeIjLj3EES9_.kd
    .uniform_work_group_size: 1
    .uses_dynamic_stack: false
    .vgpr_count:     38
    .vgpr_spill_count: 0
    .wavefront_size: 64
  - .agpr_count:     0
    .args:
      - .actual_access:  read_only
        .address_space:  global
        .offset:         0
        .size:           8
        .value_kind:     global_buffer
      - .actual_access:  read_only
        .address_space:  global
        .offset:         8
        .size:           8
        .value_kind:     global_buffer
      - .actual_access:  read_only
        .address_space:  global
        .offset:         16
        .size:           8
        .value_kind:     global_buffer
      - .actual_access:  read_only
        .address_space:  global
        .offset:         24
        .size:           8
        .value_kind:     global_buffer
      - .offset:         32
        .size:           4
        .value_kind:     by_value
      - .offset:         36
        .size:           4
        .value_kind:     by_value
      - .offset:         40
        .size:           4
        .value_kind:     by_value
      - .offset:         44
        .size:           4
        .value_kind:     by_value
      - .offset:         48
        .size:           4
        .value_kind:     by_value
      - .offset:         52
        .size:           4
        .value_kind:     by_value
      - .offset:         56
        .size:           4
        .value_kind:     by_value
      - .offset:         60
        .size:           4
        .value_kind:     by_value
      - .offset:         64
        .size:           4
        .value_kind:     by_value
      - .offset:         68
        .size:           4
        .value_kind:     by_value
      - .offset:         72
        .size:           4
        .value_kind:     by_value
      - .offset:         76
        .size:           4
        .value_kind:     by_value
      - .offset:         80
        .size:           4
        .value_kind:     by_value
      - .offset:         84
        .size:           4
        .value_kind:     by_value
      - .offset:         88
        .size:           4
        .value_kind:     by_value
      - .offset:         92
        .size:           4
        .value_kind:     by_value
      - .offset:         96
        .size:           4
        .value_kind:     hidden_block_count_x
      - .offset:         100
        .size:           4
        .value_kind:     hidden_block_count_y
      - .offset:         104
        .size:           4
        .value_kind:     hidden_block_count_z
      - .offset:         108
        .size:           2
        .value_kind:     hidden_group_size_x
      - .offset:         110
        .size:           2
        .value_kind:     hidden_group_size_y
      - .offset:         112
        .size:           2
        .value_kind:     hidden_group_size_z
      - .offset:         114
        .size:           2
        .value_kind:     hidden_remainder_x
      - .offset:         116
        .size:           2
        .value_kind:     hidden_remainder_y
      - .offset:         118
        .size:           2
        .value_kind:     hidden_remainder_z
      - .offset:         136
        .size:           8
        .value_kind:     hidden_global_offset_x
      - .offset:         144
        .size:           8
        .value_kind:     hidden_global_offset_y
      - .offset:         152
        .size:           8
        .value_kind:     hidden_global_offset_z
      - .offset:         160
        .size:           2
        .value_kind:     hidden_grid_dims
      - .offset:         176
        .size:           8
        .value_kind:     hidden_hostcall_buffer
    .group_segment_fixed_size: 0
    .kernarg_segment_align: 8
    .kernarg_segment_size: 352
    .language:       OpenCL C
    .language_version:
      - 2
      - 0
    .max_flat_workgroup_size: 64
    .name:           _ZL9mul_mat_fIfLi32ELi3ELi1ELb1EEvPKT_PKfPKiPfiiiiiiiiiiiiiiii
    .private_segment_fixed_size: 16
    .sgpr_count:     40
    .sgpr_spill_count: 0
    .symbol:         _ZL9mul_mat_fIfLi32ELi3ELi1ELb1EEvPKT_PKfPKiPfiiiiiiiiiiiiiiii.kd
    .uniform_work_group_size: 1
    .uses_dynamic_stack: false
    .vgpr_count:     38
    .vgpr_spill_count: 0
    .wavefront_size: 64
  - .agpr_count:     0
    .args:
      - .actual_access:  read_only
        .address_space:  global
        .offset:         0
        .size:           8
        .value_kind:     global_buffer
      - .actual_access:  read_only
        .address_space:  global
        .offset:         8
        .size:           8
        .value_kind:     global_buffer
      - .actual_access:  read_only
        .address_space:  global
        .offset:         16
        .size:           8
        .value_kind:     global_buffer
      - .actual_access:  read_only
        .address_space:  global
        .offset:         24
        .size:           8
        .value_kind:     global_buffer
      - .offset:         32
        .size:           4
        .value_kind:     by_value
      - .offset:         36
        .size:           4
        .value_kind:     by_value
      - .offset:         40
        .size:           4
        .value_kind:     by_value
      - .offset:         44
        .size:           4
        .value_kind:     by_value
      - .offset:         48
        .size:           4
        .value_kind:     by_value
      - .offset:         52
        .size:           4
        .value_kind:     by_value
      - .offset:         56
        .size:           4
        .value_kind:     by_value
      - .offset:         60
        .size:           4
        .value_kind:     by_value
      - .offset:         64
        .size:           4
        .value_kind:     by_value
      - .offset:         68
        .size:           4
        .value_kind:     by_value
      - .offset:         72
        .size:           4
        .value_kind:     by_value
      - .offset:         76
        .size:           4
        .value_kind:     by_value
      - .offset:         80
        .size:           4
        .value_kind:     by_value
      - .offset:         84
        .size:           4
        .value_kind:     by_value
      - .offset:         88
        .size:           4
        .value_kind:     by_value
      - .offset:         92
        .size:           4
        .value_kind:     by_value
      - .offset:         96
        .size:           4
        .value_kind:     hidden_block_count_x
      - .offset:         100
        .size:           4
        .value_kind:     hidden_block_count_y
      - .offset:         104
        .size:           4
        .value_kind:     hidden_block_count_z
      - .offset:         108
        .size:           2
        .value_kind:     hidden_group_size_x
      - .offset:         110
        .size:           2
        .value_kind:     hidden_group_size_y
      - .offset:         112
        .size:           2
        .value_kind:     hidden_group_size_z
      - .offset:         114
        .size:           2
        .value_kind:     hidden_remainder_x
      - .offset:         116
        .size:           2
        .value_kind:     hidden_remainder_y
      - .offset:         118
        .size:           2
        .value_kind:     hidden_remainder_z
      - .offset:         136
        .size:           8
        .value_kind:     hidden_global_offset_x
      - .offset:         144
        .size:           8
        .value_kind:     hidden_global_offset_y
      - .offset:         152
        .size:           8
        .value_kind:     hidden_global_offset_z
      - .offset:         160
        .size:           2
        .value_kind:     hidden_grid_dims
      - .offset:         176
        .size:           8
        .value_kind:     hidden_hostcall_buffer
    .group_segment_fixed_size: 0
    .kernarg_segment_align: 8
    .kernarg_segment_size: 352
    .language:       OpenCL C
    .language_version:
      - 2
      - 0
    .max_flat_workgroup_size: 64
    .name:           _ZL9mul_mat_fIfLi32ELi3ELi1ELb0EEvPKT_PKfPKiPfiiiiiiiiiiiiiiii
    .private_segment_fixed_size: 16
    .sgpr_count:     40
    .sgpr_spill_count: 0
    .symbol:         _ZL9mul_mat_fIfLi32ELi3ELi1ELb0EEvPKT_PKfPKiPfiiiiiiiiiiiiiiii.kd
    .uniform_work_group_size: 1
    .uses_dynamic_stack: false
    .vgpr_count:     38
    .vgpr_spill_count: 0
    .wavefront_size: 64
  - .agpr_count:     0
    .args:
      - .actual_access:  read_only
        .address_space:  global
        .offset:         0
        .size:           8
        .value_kind:     global_buffer
      - .actual_access:  read_only
        .address_space:  global
        .offset:         8
        .size:           8
        .value_kind:     global_buffer
      - .actual_access:  read_only
        .address_space:  global
        .offset:         16
        .size:           8
        .value_kind:     global_buffer
      - .actual_access:  read_only
        .address_space:  global
        .offset:         24
        .size:           8
        .value_kind:     global_buffer
      - .actual_access:  read_only
        .address_space:  global
        .offset:         32
        .size:           8
        .value_kind:     global_buffer
      - .actual_access:  read_only
        .address_space:  global
        .offset:         40
        .size:           8
        .value_kind:     global_buffer
      - .offset:         48
        .size:           4
        .value_kind:     by_value
      - .offset:         52
        .size:           4
        .value_kind:     by_value
      - .offset:         56
        .size:           4
        .value_kind:     by_value
      - .offset:         60
        .size:           4
        .value_kind:     by_value
      - .offset:         64
        .size:           4
        .value_kind:     by_value
      - .offset:         68
        .size:           4
        .value_kind:     by_value
      - .offset:         72
        .size:           4
        .value_kind:     by_value
      - .offset:         76
        .size:           4
        .value_kind:     by_value
      - .offset:         80
        .size:           4
        .value_kind:     by_value
      - .offset:         84
        .size:           4
        .value_kind:     by_value
      - .offset:         88
        .size:           4
        .value_kind:     by_value
      - .offset:         92
        .size:           4
        .value_kind:     by_value
      - .offset:         96
        .size:           4
        .value_kind:     by_value
      - .offset:         100
        .size:           4
        .value_kind:     by_value
      - .offset:         104
        .size:           12
        .value_kind:     by_value
      - .offset:         116
        .size:           12
        .value_kind:     by_value
      - .offset:         128
        .size:           4
        .value_kind:     hidden_block_count_x
      - .offset:         132
        .size:           4
        .value_kind:     hidden_block_count_y
      - .offset:         136
        .size:           4
        .value_kind:     hidden_block_count_z
      - .offset:         140
        .size:           2
        .value_kind:     hidden_group_size_x
      - .offset:         142
        .size:           2
        .value_kind:     hidden_group_size_y
      - .offset:         144
        .size:           2
        .value_kind:     hidden_group_size_z
      - .offset:         146
        .size:           2
        .value_kind:     hidden_remainder_x
      - .offset:         148
        .size:           2
        .value_kind:     hidden_remainder_y
      - .offset:         150
        .size:           2
        .value_kind:     hidden_remainder_z
      - .offset:         168
        .size:           8
        .value_kind:     hidden_global_offset_x
      - .offset:         176
        .size:           8
        .value_kind:     hidden_global_offset_y
      - .offset:         184
        .size:           8
        .value_kind:     hidden_global_offset_z
      - .offset:         192
        .size:           2
        .value_kind:     hidden_grid_dims
      - .offset:         208
        .size:           8
        .value_kind:     hidden_hostcall_buffer
    .group_segment_fixed_size: 0
    .kernarg_segment_align: 8
    .kernarg_segment_size: 384
    .language:       OpenCL C
    .language_version:
      - 2
      - 0
    .max_flat_workgroup_size: 128
    .name:           _ZL13mul_mat_f_idsIfLi32ELi3ELi2EEvPKT_PKfPKiS6_S6_Pfiiiiiiiiiiiiii15HIP_vector_typeIjLj3EES9_
    .private_segment_fixed_size: 16
    .sgpr_count:     40
    .sgpr_spill_count: 0
    .symbol:         _ZL13mul_mat_f_idsIfLi32ELi3ELi2EEvPKT_PKfPKiS6_S6_Pfiiiiiiiiiiiiii15HIP_vector_typeIjLj3EES9_.kd
    .uniform_work_group_size: 1
    .uses_dynamic_stack: false
    .vgpr_count:     38
    .vgpr_spill_count: 0
    .wavefront_size: 64
  - .agpr_count:     0
    .args:
      - .actual_access:  read_only
        .address_space:  global
        .offset:         0
        .size:           8
        .value_kind:     global_buffer
      - .actual_access:  read_only
        .address_space:  global
        .offset:         8
        .size:           8
        .value_kind:     global_buffer
      - .actual_access:  read_only
        .address_space:  global
        .offset:         16
        .size:           8
        .value_kind:     global_buffer
      - .actual_access:  read_only
        .address_space:  global
        .offset:         24
        .size:           8
        .value_kind:     global_buffer
      - .offset:         32
        .size:           4
        .value_kind:     by_value
      - .offset:         36
        .size:           4
        .value_kind:     by_value
      - .offset:         40
        .size:           4
        .value_kind:     by_value
      - .offset:         44
        .size:           4
        .value_kind:     by_value
      - .offset:         48
        .size:           4
        .value_kind:     by_value
      - .offset:         52
        .size:           4
        .value_kind:     by_value
      - .offset:         56
        .size:           4
        .value_kind:     by_value
      - .offset:         60
        .size:           4
        .value_kind:     by_value
      - .offset:         64
        .size:           4
        .value_kind:     by_value
      - .offset:         68
        .size:           4
        .value_kind:     by_value
      - .offset:         72
        .size:           4
        .value_kind:     by_value
      - .offset:         76
        .size:           4
        .value_kind:     by_value
      - .offset:         80
        .size:           4
        .value_kind:     by_value
      - .offset:         84
        .size:           4
        .value_kind:     by_value
      - .offset:         88
        .size:           4
        .value_kind:     by_value
      - .offset:         92
        .size:           4
        .value_kind:     by_value
      - .offset:         96
        .size:           4
        .value_kind:     hidden_block_count_x
      - .offset:         100
        .size:           4
        .value_kind:     hidden_block_count_y
      - .offset:         104
        .size:           4
        .value_kind:     hidden_block_count_z
      - .offset:         108
        .size:           2
        .value_kind:     hidden_group_size_x
      - .offset:         110
        .size:           2
        .value_kind:     hidden_group_size_y
      - .offset:         112
        .size:           2
        .value_kind:     hidden_group_size_z
      - .offset:         114
        .size:           2
        .value_kind:     hidden_remainder_x
      - .offset:         116
        .size:           2
        .value_kind:     hidden_remainder_y
      - .offset:         118
        .size:           2
        .value_kind:     hidden_remainder_z
      - .offset:         136
        .size:           8
        .value_kind:     hidden_global_offset_x
      - .offset:         144
        .size:           8
        .value_kind:     hidden_global_offset_y
      - .offset:         152
        .size:           8
        .value_kind:     hidden_global_offset_z
      - .offset:         160
        .size:           2
        .value_kind:     hidden_grid_dims
      - .offset:         176
        .size:           8
        .value_kind:     hidden_hostcall_buffer
    .group_segment_fixed_size: 0
    .kernarg_segment_align: 8
    .kernarg_segment_size: 352
    .language:       OpenCL C
    .language_version:
      - 2
      - 0
    .max_flat_workgroup_size: 128
    .name:           _ZL9mul_mat_fIfLi32ELi3ELi2ELb1EEvPKT_PKfPKiPfiiiiiiiiiiiiiiii
    .private_segment_fixed_size: 16
    .sgpr_count:     40
    .sgpr_spill_count: 0
    .symbol:         _ZL9mul_mat_fIfLi32ELi3ELi2ELb1EEvPKT_PKfPKiPfiiiiiiiiiiiiiiii.kd
    .uniform_work_group_size: 1
    .uses_dynamic_stack: false
    .vgpr_count:     38
    .vgpr_spill_count: 0
    .wavefront_size: 64
  - .agpr_count:     0
    .args:
      - .actual_access:  read_only
        .address_space:  global
        .offset:         0
        .size:           8
        .value_kind:     global_buffer
      - .actual_access:  read_only
        .address_space:  global
        .offset:         8
        .size:           8
        .value_kind:     global_buffer
      - .actual_access:  read_only
        .address_space:  global
        .offset:         16
        .size:           8
        .value_kind:     global_buffer
      - .actual_access:  read_only
        .address_space:  global
        .offset:         24
        .size:           8
        .value_kind:     global_buffer
      - .offset:         32
        .size:           4
        .value_kind:     by_value
      - .offset:         36
        .size:           4
        .value_kind:     by_value
      - .offset:         40
        .size:           4
        .value_kind:     by_value
      - .offset:         44
        .size:           4
        .value_kind:     by_value
      - .offset:         48
        .size:           4
        .value_kind:     by_value
      - .offset:         52
        .size:           4
        .value_kind:     by_value
      - .offset:         56
        .size:           4
        .value_kind:     by_value
      - .offset:         60
        .size:           4
        .value_kind:     by_value
      - .offset:         64
        .size:           4
        .value_kind:     by_value
      - .offset:         68
        .size:           4
        .value_kind:     by_value
      - .offset:         72
        .size:           4
        .value_kind:     by_value
      - .offset:         76
        .size:           4
        .value_kind:     by_value
      - .offset:         80
        .size:           4
        .value_kind:     by_value
      - .offset:         84
        .size:           4
        .value_kind:     by_value
      - .offset:         88
        .size:           4
        .value_kind:     by_value
      - .offset:         92
        .size:           4
        .value_kind:     by_value
      - .offset:         96
        .size:           4
        .value_kind:     hidden_block_count_x
      - .offset:         100
        .size:           4
        .value_kind:     hidden_block_count_y
      - .offset:         104
        .size:           4
        .value_kind:     hidden_block_count_z
      - .offset:         108
        .size:           2
        .value_kind:     hidden_group_size_x
      - .offset:         110
        .size:           2
        .value_kind:     hidden_group_size_y
      - .offset:         112
        .size:           2
        .value_kind:     hidden_group_size_z
      - .offset:         114
        .size:           2
        .value_kind:     hidden_remainder_x
      - .offset:         116
        .size:           2
        .value_kind:     hidden_remainder_y
      - .offset:         118
        .size:           2
        .value_kind:     hidden_remainder_z
      - .offset:         136
        .size:           8
        .value_kind:     hidden_global_offset_x
      - .offset:         144
        .size:           8
        .value_kind:     hidden_global_offset_y
      - .offset:         152
        .size:           8
        .value_kind:     hidden_global_offset_z
      - .offset:         160
        .size:           2
        .value_kind:     hidden_grid_dims
      - .offset:         176
        .size:           8
        .value_kind:     hidden_hostcall_buffer
    .group_segment_fixed_size: 0
    .kernarg_segment_align: 8
    .kernarg_segment_size: 352
    .language:       OpenCL C
    .language_version:
      - 2
      - 0
    .max_flat_workgroup_size: 128
    .name:           _ZL9mul_mat_fIfLi32ELi3ELi2ELb0EEvPKT_PKfPKiPfiiiiiiiiiiiiiiii
    .private_segment_fixed_size: 16
    .sgpr_count:     40
    .sgpr_spill_count: 0
    .symbol:         _ZL9mul_mat_fIfLi32ELi3ELi2ELb0EEvPKT_PKfPKiPfiiiiiiiiiiiiiiii.kd
    .uniform_work_group_size: 1
    .uses_dynamic_stack: false
    .vgpr_count:     38
    .vgpr_spill_count: 0
    .wavefront_size: 64
  - .agpr_count:     0
    .args:
      - .actual_access:  read_only
        .address_space:  global
        .offset:         0
        .size:           8
        .value_kind:     global_buffer
      - .actual_access:  read_only
        .address_space:  global
        .offset:         8
        .size:           8
        .value_kind:     global_buffer
      - .actual_access:  read_only
        .address_space:  global
        .offset:         16
        .size:           8
        .value_kind:     global_buffer
      - .actual_access:  read_only
        .address_space:  global
        .offset:         24
        .size:           8
        .value_kind:     global_buffer
      - .actual_access:  read_only
        .address_space:  global
        .offset:         32
        .size:           8
        .value_kind:     global_buffer
      - .actual_access:  read_only
        .address_space:  global
        .offset:         40
        .size:           8
        .value_kind:     global_buffer
      - .offset:         48
        .size:           4
        .value_kind:     by_value
      - .offset:         52
        .size:           4
        .value_kind:     by_value
      - .offset:         56
        .size:           4
        .value_kind:     by_value
      - .offset:         60
        .size:           4
        .value_kind:     by_value
      - .offset:         64
        .size:           4
        .value_kind:     by_value
      - .offset:         68
        .size:           4
        .value_kind:     by_value
      - .offset:         72
        .size:           4
        .value_kind:     by_value
      - .offset:         76
        .size:           4
        .value_kind:     by_value
      - .offset:         80
        .size:           4
        .value_kind:     by_value
      - .offset:         84
        .size:           4
        .value_kind:     by_value
      - .offset:         88
        .size:           4
        .value_kind:     by_value
      - .offset:         92
        .size:           4
        .value_kind:     by_value
      - .offset:         96
        .size:           4
        .value_kind:     by_value
      - .offset:         100
        .size:           4
        .value_kind:     by_value
      - .offset:         104
        .size:           12
        .value_kind:     by_value
      - .offset:         116
        .size:           12
        .value_kind:     by_value
      - .offset:         128
        .size:           4
        .value_kind:     hidden_block_count_x
      - .offset:         132
        .size:           4
        .value_kind:     hidden_block_count_y
      - .offset:         136
        .size:           4
        .value_kind:     hidden_block_count_z
      - .offset:         140
        .size:           2
        .value_kind:     hidden_group_size_x
      - .offset:         142
        .size:           2
        .value_kind:     hidden_group_size_y
      - .offset:         144
        .size:           2
        .value_kind:     hidden_group_size_z
      - .offset:         146
        .size:           2
        .value_kind:     hidden_remainder_x
      - .offset:         148
        .size:           2
        .value_kind:     hidden_remainder_y
      - .offset:         150
        .size:           2
        .value_kind:     hidden_remainder_z
      - .offset:         168
        .size:           8
        .value_kind:     hidden_global_offset_x
      - .offset:         176
        .size:           8
        .value_kind:     hidden_global_offset_y
      - .offset:         184
        .size:           8
        .value_kind:     hidden_global_offset_z
      - .offset:         192
        .size:           2
        .value_kind:     hidden_grid_dims
      - .offset:         208
        .size:           8
        .value_kind:     hidden_hostcall_buffer
    .group_segment_fixed_size: 0
    .kernarg_segment_align: 8
    .kernarg_segment_size: 384
    .language:       OpenCL C
    .language_version:
      - 2
      - 0
    .max_flat_workgroup_size: 192
    .name:           _ZL13mul_mat_f_idsIfLi32ELi3ELi3EEvPKT_PKfPKiS6_S6_Pfiiiiiiiiiiiiii15HIP_vector_typeIjLj3EES9_
    .private_segment_fixed_size: 16
    .sgpr_count:     40
    .sgpr_spill_count: 0
    .symbol:         _ZL13mul_mat_f_idsIfLi32ELi3ELi3EEvPKT_PKfPKiS6_S6_Pfiiiiiiiiiiiiii15HIP_vector_typeIjLj3EES9_.kd
    .uniform_work_group_size: 1
    .uses_dynamic_stack: false
    .vgpr_count:     38
    .vgpr_spill_count: 0
    .wavefront_size: 64
  - .agpr_count:     0
    .args:
      - .actual_access:  read_only
        .address_space:  global
        .offset:         0
        .size:           8
        .value_kind:     global_buffer
      - .actual_access:  read_only
        .address_space:  global
        .offset:         8
        .size:           8
        .value_kind:     global_buffer
      - .actual_access:  read_only
        .address_space:  global
        .offset:         16
        .size:           8
        .value_kind:     global_buffer
      - .actual_access:  read_only
        .address_space:  global
        .offset:         24
        .size:           8
        .value_kind:     global_buffer
      - .offset:         32
        .size:           4
        .value_kind:     by_value
      - .offset:         36
        .size:           4
        .value_kind:     by_value
      - .offset:         40
        .size:           4
        .value_kind:     by_value
      - .offset:         44
        .size:           4
        .value_kind:     by_value
      - .offset:         48
        .size:           4
        .value_kind:     by_value
      - .offset:         52
        .size:           4
        .value_kind:     by_value
      - .offset:         56
        .size:           4
        .value_kind:     by_value
      - .offset:         60
        .size:           4
        .value_kind:     by_value
      - .offset:         64
        .size:           4
        .value_kind:     by_value
      - .offset:         68
        .size:           4
        .value_kind:     by_value
      - .offset:         72
        .size:           4
        .value_kind:     by_value
      - .offset:         76
        .size:           4
        .value_kind:     by_value
      - .offset:         80
        .size:           4
        .value_kind:     by_value
      - .offset:         84
        .size:           4
        .value_kind:     by_value
      - .offset:         88
        .size:           4
        .value_kind:     by_value
      - .offset:         92
        .size:           4
        .value_kind:     by_value
      - .offset:         96
        .size:           4
        .value_kind:     hidden_block_count_x
      - .offset:         100
        .size:           4
        .value_kind:     hidden_block_count_y
      - .offset:         104
        .size:           4
        .value_kind:     hidden_block_count_z
      - .offset:         108
        .size:           2
        .value_kind:     hidden_group_size_x
      - .offset:         110
        .size:           2
        .value_kind:     hidden_group_size_y
      - .offset:         112
        .size:           2
        .value_kind:     hidden_group_size_z
      - .offset:         114
        .size:           2
        .value_kind:     hidden_remainder_x
      - .offset:         116
        .size:           2
        .value_kind:     hidden_remainder_y
      - .offset:         118
        .size:           2
        .value_kind:     hidden_remainder_z
      - .offset:         136
        .size:           8
        .value_kind:     hidden_global_offset_x
      - .offset:         144
        .size:           8
        .value_kind:     hidden_global_offset_y
      - .offset:         152
        .size:           8
        .value_kind:     hidden_global_offset_z
      - .offset:         160
        .size:           2
        .value_kind:     hidden_grid_dims
      - .offset:         176
        .size:           8
        .value_kind:     hidden_hostcall_buffer
    .group_segment_fixed_size: 0
    .kernarg_segment_align: 8
    .kernarg_segment_size: 352
    .language:       OpenCL C
    .language_version:
      - 2
      - 0
    .max_flat_workgroup_size: 192
    .name:           _ZL9mul_mat_fIfLi32ELi3ELi3ELb1EEvPKT_PKfPKiPfiiiiiiiiiiiiiiii
    .private_segment_fixed_size: 16
    .sgpr_count:     40
    .sgpr_spill_count: 0
    .symbol:         _ZL9mul_mat_fIfLi32ELi3ELi3ELb1EEvPKT_PKfPKiPfiiiiiiiiiiiiiiii.kd
    .uniform_work_group_size: 1
    .uses_dynamic_stack: false
    .vgpr_count:     38
    .vgpr_spill_count: 0
    .wavefront_size: 64
  - .agpr_count:     0
    .args:
      - .actual_access:  read_only
        .address_space:  global
        .offset:         0
        .size:           8
        .value_kind:     global_buffer
      - .actual_access:  read_only
        .address_space:  global
        .offset:         8
        .size:           8
        .value_kind:     global_buffer
      - .actual_access:  read_only
        .address_space:  global
        .offset:         16
        .size:           8
        .value_kind:     global_buffer
      - .actual_access:  read_only
        .address_space:  global
        .offset:         24
        .size:           8
        .value_kind:     global_buffer
      - .offset:         32
        .size:           4
        .value_kind:     by_value
      - .offset:         36
        .size:           4
        .value_kind:     by_value
      - .offset:         40
        .size:           4
        .value_kind:     by_value
      - .offset:         44
        .size:           4
        .value_kind:     by_value
      - .offset:         48
        .size:           4
        .value_kind:     by_value
      - .offset:         52
        .size:           4
        .value_kind:     by_value
      - .offset:         56
        .size:           4
        .value_kind:     by_value
      - .offset:         60
        .size:           4
        .value_kind:     by_value
      - .offset:         64
        .size:           4
        .value_kind:     by_value
      - .offset:         68
        .size:           4
        .value_kind:     by_value
      - .offset:         72
        .size:           4
        .value_kind:     by_value
      - .offset:         76
        .size:           4
        .value_kind:     by_value
      - .offset:         80
        .size:           4
        .value_kind:     by_value
      - .offset:         84
        .size:           4
        .value_kind:     by_value
      - .offset:         88
        .size:           4
        .value_kind:     by_value
      - .offset:         92
        .size:           4
        .value_kind:     by_value
      - .offset:         96
        .size:           4
        .value_kind:     hidden_block_count_x
      - .offset:         100
        .size:           4
        .value_kind:     hidden_block_count_y
      - .offset:         104
        .size:           4
        .value_kind:     hidden_block_count_z
      - .offset:         108
        .size:           2
        .value_kind:     hidden_group_size_x
      - .offset:         110
        .size:           2
        .value_kind:     hidden_group_size_y
      - .offset:         112
        .size:           2
        .value_kind:     hidden_group_size_z
      - .offset:         114
        .size:           2
        .value_kind:     hidden_remainder_x
      - .offset:         116
        .size:           2
        .value_kind:     hidden_remainder_y
      - .offset:         118
        .size:           2
        .value_kind:     hidden_remainder_z
      - .offset:         136
        .size:           8
        .value_kind:     hidden_global_offset_x
      - .offset:         144
        .size:           8
        .value_kind:     hidden_global_offset_y
      - .offset:         152
        .size:           8
        .value_kind:     hidden_global_offset_z
      - .offset:         160
        .size:           2
        .value_kind:     hidden_grid_dims
      - .offset:         176
        .size:           8
        .value_kind:     hidden_hostcall_buffer
    .group_segment_fixed_size: 0
    .kernarg_segment_align: 8
    .kernarg_segment_size: 352
    .language:       OpenCL C
    .language_version:
      - 2
      - 0
    .max_flat_workgroup_size: 192
    .name:           _ZL9mul_mat_fIfLi32ELi3ELi3ELb0EEvPKT_PKfPKiPfiiiiiiiiiiiiiiii
    .private_segment_fixed_size: 16
    .sgpr_count:     40
    .sgpr_spill_count: 0
    .symbol:         _ZL9mul_mat_fIfLi32ELi3ELi3ELb0EEvPKT_PKfPKiPfiiiiiiiiiiiiiiii.kd
    .uniform_work_group_size: 1
    .uses_dynamic_stack: false
    .vgpr_count:     38
    .vgpr_spill_count: 0
    .wavefront_size: 64
  - .agpr_count:     0
    .args:
      - .actual_access:  read_only
        .address_space:  global
        .offset:         0
        .size:           8
        .value_kind:     global_buffer
      - .actual_access:  read_only
        .address_space:  global
        .offset:         8
        .size:           8
        .value_kind:     global_buffer
      - .actual_access:  read_only
        .address_space:  global
        .offset:         16
        .size:           8
        .value_kind:     global_buffer
      - .actual_access:  read_only
        .address_space:  global
        .offset:         24
        .size:           8
        .value_kind:     global_buffer
      - .actual_access:  read_only
        .address_space:  global
        .offset:         32
        .size:           8
        .value_kind:     global_buffer
      - .actual_access:  read_only
        .address_space:  global
        .offset:         40
        .size:           8
        .value_kind:     global_buffer
      - .offset:         48
        .size:           4
        .value_kind:     by_value
      - .offset:         52
        .size:           4
        .value_kind:     by_value
      - .offset:         56
        .size:           4
        .value_kind:     by_value
      - .offset:         60
        .size:           4
        .value_kind:     by_value
      - .offset:         64
        .size:           4
        .value_kind:     by_value
      - .offset:         68
        .size:           4
        .value_kind:     by_value
      - .offset:         72
        .size:           4
        .value_kind:     by_value
      - .offset:         76
        .size:           4
        .value_kind:     by_value
      - .offset:         80
        .size:           4
        .value_kind:     by_value
      - .offset:         84
        .size:           4
        .value_kind:     by_value
      - .offset:         88
        .size:           4
        .value_kind:     by_value
      - .offset:         92
        .size:           4
        .value_kind:     by_value
      - .offset:         96
        .size:           4
        .value_kind:     by_value
      - .offset:         100
        .size:           4
        .value_kind:     by_value
      - .offset:         104
        .size:           12
        .value_kind:     by_value
      - .offset:         116
        .size:           12
        .value_kind:     by_value
      - .offset:         128
        .size:           4
        .value_kind:     hidden_block_count_x
      - .offset:         132
        .size:           4
        .value_kind:     hidden_block_count_y
      - .offset:         136
        .size:           4
        .value_kind:     hidden_block_count_z
      - .offset:         140
        .size:           2
        .value_kind:     hidden_group_size_x
      - .offset:         142
        .size:           2
        .value_kind:     hidden_group_size_y
      - .offset:         144
        .size:           2
        .value_kind:     hidden_group_size_z
      - .offset:         146
        .size:           2
        .value_kind:     hidden_remainder_x
      - .offset:         148
        .size:           2
        .value_kind:     hidden_remainder_y
      - .offset:         150
        .size:           2
        .value_kind:     hidden_remainder_z
      - .offset:         168
        .size:           8
        .value_kind:     hidden_global_offset_x
      - .offset:         176
        .size:           8
        .value_kind:     hidden_global_offset_y
      - .offset:         184
        .size:           8
        .value_kind:     hidden_global_offset_z
      - .offset:         192
        .size:           2
        .value_kind:     hidden_grid_dims
      - .offset:         208
        .size:           8
        .value_kind:     hidden_hostcall_buffer
    .group_segment_fixed_size: 0
    .kernarg_segment_align: 8
    .kernarg_segment_size: 384
    .language:       OpenCL C
    .language_version:
      - 2
      - 0
    .max_flat_workgroup_size: 256
    .name:           _ZL13mul_mat_f_idsIfLi32ELi3ELi4EEvPKT_PKfPKiS6_S6_Pfiiiiiiiiiiiiii15HIP_vector_typeIjLj3EES9_
    .private_segment_fixed_size: 16
    .sgpr_count:     40
    .sgpr_spill_count: 0
    .symbol:         _ZL13mul_mat_f_idsIfLi32ELi3ELi4EEvPKT_PKfPKiS6_S6_Pfiiiiiiiiiiiiii15HIP_vector_typeIjLj3EES9_.kd
    .uniform_work_group_size: 1
    .uses_dynamic_stack: false
    .vgpr_count:     38
    .vgpr_spill_count: 0
    .wavefront_size: 64
  - .agpr_count:     0
    .args:
      - .actual_access:  read_only
        .address_space:  global
        .offset:         0
        .size:           8
        .value_kind:     global_buffer
      - .actual_access:  read_only
        .address_space:  global
        .offset:         8
        .size:           8
        .value_kind:     global_buffer
      - .actual_access:  read_only
        .address_space:  global
        .offset:         16
        .size:           8
        .value_kind:     global_buffer
      - .actual_access:  read_only
        .address_space:  global
        .offset:         24
        .size:           8
        .value_kind:     global_buffer
      - .offset:         32
        .size:           4
        .value_kind:     by_value
      - .offset:         36
        .size:           4
        .value_kind:     by_value
      - .offset:         40
        .size:           4
        .value_kind:     by_value
      - .offset:         44
        .size:           4
        .value_kind:     by_value
      - .offset:         48
        .size:           4
        .value_kind:     by_value
      - .offset:         52
        .size:           4
        .value_kind:     by_value
      - .offset:         56
        .size:           4
        .value_kind:     by_value
      - .offset:         60
        .size:           4
        .value_kind:     by_value
      - .offset:         64
        .size:           4
        .value_kind:     by_value
      - .offset:         68
        .size:           4
        .value_kind:     by_value
      - .offset:         72
        .size:           4
        .value_kind:     by_value
      - .offset:         76
        .size:           4
        .value_kind:     by_value
      - .offset:         80
        .size:           4
        .value_kind:     by_value
      - .offset:         84
        .size:           4
        .value_kind:     by_value
      - .offset:         88
        .size:           4
        .value_kind:     by_value
      - .offset:         92
        .size:           4
        .value_kind:     by_value
      - .offset:         96
        .size:           4
        .value_kind:     hidden_block_count_x
      - .offset:         100
        .size:           4
        .value_kind:     hidden_block_count_y
      - .offset:         104
        .size:           4
        .value_kind:     hidden_block_count_z
      - .offset:         108
        .size:           2
        .value_kind:     hidden_group_size_x
      - .offset:         110
        .size:           2
        .value_kind:     hidden_group_size_y
      - .offset:         112
        .size:           2
        .value_kind:     hidden_group_size_z
      - .offset:         114
        .size:           2
        .value_kind:     hidden_remainder_x
      - .offset:         116
        .size:           2
        .value_kind:     hidden_remainder_y
      - .offset:         118
        .size:           2
        .value_kind:     hidden_remainder_z
      - .offset:         136
        .size:           8
        .value_kind:     hidden_global_offset_x
      - .offset:         144
        .size:           8
        .value_kind:     hidden_global_offset_y
      - .offset:         152
        .size:           8
        .value_kind:     hidden_global_offset_z
      - .offset:         160
        .size:           2
        .value_kind:     hidden_grid_dims
      - .offset:         176
        .size:           8
        .value_kind:     hidden_hostcall_buffer
    .group_segment_fixed_size: 0
    .kernarg_segment_align: 8
    .kernarg_segment_size: 352
    .language:       OpenCL C
    .language_version:
      - 2
      - 0
    .max_flat_workgroup_size: 256
    .name:           _ZL9mul_mat_fIfLi32ELi3ELi4ELb1EEvPKT_PKfPKiPfiiiiiiiiiiiiiiii
    .private_segment_fixed_size: 16
    .sgpr_count:     40
    .sgpr_spill_count: 0
    .symbol:         _ZL9mul_mat_fIfLi32ELi3ELi4ELb1EEvPKT_PKfPKiPfiiiiiiiiiiiiiiii.kd
    .uniform_work_group_size: 1
    .uses_dynamic_stack: false
    .vgpr_count:     38
    .vgpr_spill_count: 0
    .wavefront_size: 64
  - .agpr_count:     0
    .args:
      - .actual_access:  read_only
        .address_space:  global
        .offset:         0
        .size:           8
        .value_kind:     global_buffer
      - .actual_access:  read_only
        .address_space:  global
        .offset:         8
        .size:           8
        .value_kind:     global_buffer
      - .actual_access:  read_only
        .address_space:  global
        .offset:         16
        .size:           8
        .value_kind:     global_buffer
      - .actual_access:  read_only
        .address_space:  global
        .offset:         24
        .size:           8
        .value_kind:     global_buffer
      - .offset:         32
        .size:           4
        .value_kind:     by_value
      - .offset:         36
        .size:           4
        .value_kind:     by_value
      - .offset:         40
        .size:           4
        .value_kind:     by_value
      - .offset:         44
        .size:           4
        .value_kind:     by_value
      - .offset:         48
        .size:           4
        .value_kind:     by_value
      - .offset:         52
        .size:           4
        .value_kind:     by_value
      - .offset:         56
        .size:           4
        .value_kind:     by_value
      - .offset:         60
        .size:           4
        .value_kind:     by_value
      - .offset:         64
        .size:           4
        .value_kind:     by_value
      - .offset:         68
        .size:           4
        .value_kind:     by_value
      - .offset:         72
        .size:           4
        .value_kind:     by_value
      - .offset:         76
        .size:           4
        .value_kind:     by_value
      - .offset:         80
        .size:           4
        .value_kind:     by_value
      - .offset:         84
        .size:           4
        .value_kind:     by_value
      - .offset:         88
        .size:           4
        .value_kind:     by_value
      - .offset:         92
        .size:           4
        .value_kind:     by_value
      - .offset:         96
        .size:           4
        .value_kind:     hidden_block_count_x
      - .offset:         100
        .size:           4
        .value_kind:     hidden_block_count_y
      - .offset:         104
        .size:           4
        .value_kind:     hidden_block_count_z
      - .offset:         108
        .size:           2
        .value_kind:     hidden_group_size_x
      - .offset:         110
        .size:           2
        .value_kind:     hidden_group_size_y
      - .offset:         112
        .size:           2
        .value_kind:     hidden_group_size_z
      - .offset:         114
        .size:           2
        .value_kind:     hidden_remainder_x
      - .offset:         116
        .size:           2
        .value_kind:     hidden_remainder_y
      - .offset:         118
        .size:           2
        .value_kind:     hidden_remainder_z
      - .offset:         136
        .size:           8
        .value_kind:     hidden_global_offset_x
      - .offset:         144
        .size:           8
        .value_kind:     hidden_global_offset_y
      - .offset:         152
        .size:           8
        .value_kind:     hidden_global_offset_z
      - .offset:         160
        .size:           2
        .value_kind:     hidden_grid_dims
      - .offset:         176
        .size:           8
        .value_kind:     hidden_hostcall_buffer
    .group_segment_fixed_size: 0
    .kernarg_segment_align: 8
    .kernarg_segment_size: 352
    .language:       OpenCL C
    .language_version:
      - 2
      - 0
    .max_flat_workgroup_size: 256
    .name:           _ZL9mul_mat_fIfLi32ELi3ELi4ELb0EEvPKT_PKfPKiPfiiiiiiiiiiiiiiii
    .private_segment_fixed_size: 16
    .sgpr_count:     40
    .sgpr_spill_count: 0
    .symbol:         _ZL9mul_mat_fIfLi32ELi3ELi4ELb0EEvPKT_PKfPKiPfiiiiiiiiiiiiiiii.kd
    .uniform_work_group_size: 1
    .uses_dynamic_stack: false
    .vgpr_count:     38
    .vgpr_spill_count: 0
    .wavefront_size: 64
  - .agpr_count:     0
    .args:
      - .actual_access:  read_only
        .address_space:  global
        .offset:         0
        .size:           8
        .value_kind:     global_buffer
      - .actual_access:  read_only
        .address_space:  global
        .offset:         8
        .size:           8
        .value_kind:     global_buffer
      - .actual_access:  read_only
        .address_space:  global
        .offset:         16
        .size:           8
        .value_kind:     global_buffer
      - .actual_access:  read_only
        .address_space:  global
        .offset:         24
        .size:           8
        .value_kind:     global_buffer
      - .actual_access:  read_only
        .address_space:  global
        .offset:         32
        .size:           8
        .value_kind:     global_buffer
      - .actual_access:  read_only
        .address_space:  global
        .offset:         40
        .size:           8
        .value_kind:     global_buffer
      - .offset:         48
        .size:           4
        .value_kind:     by_value
      - .offset:         52
        .size:           4
        .value_kind:     by_value
      - .offset:         56
        .size:           4
        .value_kind:     by_value
      - .offset:         60
        .size:           4
        .value_kind:     by_value
      - .offset:         64
        .size:           4
        .value_kind:     by_value
      - .offset:         68
        .size:           4
        .value_kind:     by_value
      - .offset:         72
        .size:           4
        .value_kind:     by_value
      - .offset:         76
        .size:           4
        .value_kind:     by_value
      - .offset:         80
        .size:           4
        .value_kind:     by_value
      - .offset:         84
        .size:           4
        .value_kind:     by_value
      - .offset:         88
        .size:           4
        .value_kind:     by_value
      - .offset:         92
        .size:           4
        .value_kind:     by_value
      - .offset:         96
        .size:           4
        .value_kind:     by_value
      - .offset:         100
        .size:           4
        .value_kind:     by_value
      - .offset:         104
        .size:           12
        .value_kind:     by_value
      - .offset:         116
        .size:           12
        .value_kind:     by_value
      - .offset:         128
        .size:           4
        .value_kind:     hidden_block_count_x
      - .offset:         132
        .size:           4
        .value_kind:     hidden_block_count_y
      - .offset:         136
        .size:           4
        .value_kind:     hidden_block_count_z
      - .offset:         140
        .size:           2
        .value_kind:     hidden_group_size_x
      - .offset:         142
        .size:           2
        .value_kind:     hidden_group_size_y
      - .offset:         144
        .size:           2
        .value_kind:     hidden_group_size_z
      - .offset:         146
        .size:           2
        .value_kind:     hidden_remainder_x
      - .offset:         148
        .size:           2
        .value_kind:     hidden_remainder_y
      - .offset:         150
        .size:           2
        .value_kind:     hidden_remainder_z
      - .offset:         168
        .size:           8
        .value_kind:     hidden_global_offset_x
      - .offset:         176
        .size:           8
        .value_kind:     hidden_global_offset_y
      - .offset:         184
        .size:           8
        .value_kind:     hidden_global_offset_z
      - .offset:         192
        .size:           2
        .value_kind:     hidden_grid_dims
      - .offset:         208
        .size:           8
        .value_kind:     hidden_hostcall_buffer
    .group_segment_fixed_size: 0
    .kernarg_segment_align: 8
    .kernarg_segment_size: 384
    .language:       OpenCL C
    .language_version:
      - 2
      - 0
    .max_flat_workgroup_size: 320
    .name:           _ZL13mul_mat_f_idsIfLi32ELi3ELi5EEvPKT_PKfPKiS6_S6_Pfiiiiiiiiiiiiii15HIP_vector_typeIjLj3EES9_
    .private_segment_fixed_size: 16
    .sgpr_count:     40
    .sgpr_spill_count: 0
    .symbol:         _ZL13mul_mat_f_idsIfLi32ELi3ELi5EEvPKT_PKfPKiS6_S6_Pfiiiiiiiiiiiiii15HIP_vector_typeIjLj3EES9_.kd
    .uniform_work_group_size: 1
    .uses_dynamic_stack: false
    .vgpr_count:     38
    .vgpr_spill_count: 0
    .wavefront_size: 64
  - .agpr_count:     0
    .args:
      - .actual_access:  read_only
        .address_space:  global
        .offset:         0
        .size:           8
        .value_kind:     global_buffer
      - .actual_access:  read_only
        .address_space:  global
        .offset:         8
        .size:           8
        .value_kind:     global_buffer
      - .actual_access:  read_only
        .address_space:  global
        .offset:         16
        .size:           8
        .value_kind:     global_buffer
      - .actual_access:  read_only
        .address_space:  global
        .offset:         24
        .size:           8
        .value_kind:     global_buffer
      - .offset:         32
        .size:           4
        .value_kind:     by_value
      - .offset:         36
        .size:           4
        .value_kind:     by_value
      - .offset:         40
        .size:           4
        .value_kind:     by_value
      - .offset:         44
        .size:           4
        .value_kind:     by_value
      - .offset:         48
        .size:           4
        .value_kind:     by_value
      - .offset:         52
        .size:           4
        .value_kind:     by_value
      - .offset:         56
        .size:           4
        .value_kind:     by_value
      - .offset:         60
        .size:           4
        .value_kind:     by_value
      - .offset:         64
        .size:           4
        .value_kind:     by_value
      - .offset:         68
        .size:           4
        .value_kind:     by_value
      - .offset:         72
        .size:           4
        .value_kind:     by_value
      - .offset:         76
        .size:           4
        .value_kind:     by_value
      - .offset:         80
        .size:           4
        .value_kind:     by_value
      - .offset:         84
        .size:           4
        .value_kind:     by_value
      - .offset:         88
        .size:           4
        .value_kind:     by_value
      - .offset:         92
        .size:           4
        .value_kind:     by_value
      - .offset:         96
        .size:           4
        .value_kind:     hidden_block_count_x
      - .offset:         100
        .size:           4
        .value_kind:     hidden_block_count_y
      - .offset:         104
        .size:           4
        .value_kind:     hidden_block_count_z
      - .offset:         108
        .size:           2
        .value_kind:     hidden_group_size_x
      - .offset:         110
        .size:           2
        .value_kind:     hidden_group_size_y
      - .offset:         112
        .size:           2
        .value_kind:     hidden_group_size_z
      - .offset:         114
        .size:           2
        .value_kind:     hidden_remainder_x
      - .offset:         116
        .size:           2
        .value_kind:     hidden_remainder_y
      - .offset:         118
        .size:           2
        .value_kind:     hidden_remainder_z
      - .offset:         136
        .size:           8
        .value_kind:     hidden_global_offset_x
      - .offset:         144
        .size:           8
        .value_kind:     hidden_global_offset_y
      - .offset:         152
        .size:           8
        .value_kind:     hidden_global_offset_z
      - .offset:         160
        .size:           2
        .value_kind:     hidden_grid_dims
      - .offset:         176
        .size:           8
        .value_kind:     hidden_hostcall_buffer
    .group_segment_fixed_size: 0
    .kernarg_segment_align: 8
    .kernarg_segment_size: 352
    .language:       OpenCL C
    .language_version:
      - 2
      - 0
    .max_flat_workgroup_size: 320
    .name:           _ZL9mul_mat_fIfLi32ELi3ELi5ELb1EEvPKT_PKfPKiPfiiiiiiiiiiiiiiii
    .private_segment_fixed_size: 16
    .sgpr_count:     40
    .sgpr_spill_count: 0
    .symbol:         _ZL9mul_mat_fIfLi32ELi3ELi5ELb1EEvPKT_PKfPKiPfiiiiiiiiiiiiiiii.kd
    .uniform_work_group_size: 1
    .uses_dynamic_stack: false
    .vgpr_count:     38
    .vgpr_spill_count: 0
    .wavefront_size: 64
  - .agpr_count:     0
    .args:
      - .actual_access:  read_only
        .address_space:  global
        .offset:         0
        .size:           8
        .value_kind:     global_buffer
      - .actual_access:  read_only
        .address_space:  global
        .offset:         8
        .size:           8
        .value_kind:     global_buffer
      - .actual_access:  read_only
        .address_space:  global
        .offset:         16
        .size:           8
        .value_kind:     global_buffer
      - .actual_access:  read_only
        .address_space:  global
        .offset:         24
        .size:           8
        .value_kind:     global_buffer
      - .offset:         32
        .size:           4
        .value_kind:     by_value
      - .offset:         36
        .size:           4
        .value_kind:     by_value
      - .offset:         40
        .size:           4
        .value_kind:     by_value
      - .offset:         44
        .size:           4
        .value_kind:     by_value
      - .offset:         48
        .size:           4
        .value_kind:     by_value
      - .offset:         52
        .size:           4
        .value_kind:     by_value
      - .offset:         56
        .size:           4
        .value_kind:     by_value
      - .offset:         60
        .size:           4
        .value_kind:     by_value
      - .offset:         64
        .size:           4
        .value_kind:     by_value
      - .offset:         68
        .size:           4
        .value_kind:     by_value
      - .offset:         72
        .size:           4
        .value_kind:     by_value
      - .offset:         76
        .size:           4
        .value_kind:     by_value
      - .offset:         80
        .size:           4
        .value_kind:     by_value
      - .offset:         84
        .size:           4
        .value_kind:     by_value
      - .offset:         88
        .size:           4
        .value_kind:     by_value
      - .offset:         92
        .size:           4
        .value_kind:     by_value
      - .offset:         96
        .size:           4
        .value_kind:     hidden_block_count_x
      - .offset:         100
        .size:           4
        .value_kind:     hidden_block_count_y
      - .offset:         104
        .size:           4
        .value_kind:     hidden_block_count_z
      - .offset:         108
        .size:           2
        .value_kind:     hidden_group_size_x
      - .offset:         110
        .size:           2
        .value_kind:     hidden_group_size_y
      - .offset:         112
        .size:           2
        .value_kind:     hidden_group_size_z
      - .offset:         114
        .size:           2
        .value_kind:     hidden_remainder_x
      - .offset:         116
        .size:           2
        .value_kind:     hidden_remainder_y
      - .offset:         118
        .size:           2
        .value_kind:     hidden_remainder_z
      - .offset:         136
        .size:           8
        .value_kind:     hidden_global_offset_x
      - .offset:         144
        .size:           8
        .value_kind:     hidden_global_offset_y
      - .offset:         152
        .size:           8
        .value_kind:     hidden_global_offset_z
      - .offset:         160
        .size:           2
        .value_kind:     hidden_grid_dims
      - .offset:         176
        .size:           8
        .value_kind:     hidden_hostcall_buffer
    .group_segment_fixed_size: 0
    .kernarg_segment_align: 8
    .kernarg_segment_size: 352
    .language:       OpenCL C
    .language_version:
      - 2
      - 0
    .max_flat_workgroup_size: 320
    .name:           _ZL9mul_mat_fIfLi32ELi3ELi5ELb0EEvPKT_PKfPKiPfiiiiiiiiiiiiiiii
    .private_segment_fixed_size: 16
    .sgpr_count:     40
    .sgpr_spill_count: 0
    .symbol:         _ZL9mul_mat_fIfLi32ELi3ELi5ELb0EEvPKT_PKfPKiPfiiiiiiiiiiiiiiii.kd
    .uniform_work_group_size: 1
    .uses_dynamic_stack: false
    .vgpr_count:     38
    .vgpr_spill_count: 0
    .wavefront_size: 64
  - .agpr_count:     0
    .args:
      - .actual_access:  read_only
        .address_space:  global
        .offset:         0
        .size:           8
        .value_kind:     global_buffer
      - .actual_access:  read_only
        .address_space:  global
        .offset:         8
        .size:           8
        .value_kind:     global_buffer
      - .actual_access:  read_only
        .address_space:  global
        .offset:         16
        .size:           8
        .value_kind:     global_buffer
      - .actual_access:  read_only
        .address_space:  global
        .offset:         24
        .size:           8
        .value_kind:     global_buffer
      - .actual_access:  read_only
        .address_space:  global
        .offset:         32
        .size:           8
        .value_kind:     global_buffer
      - .actual_access:  read_only
        .address_space:  global
        .offset:         40
        .size:           8
        .value_kind:     global_buffer
      - .offset:         48
        .size:           4
        .value_kind:     by_value
      - .offset:         52
        .size:           4
        .value_kind:     by_value
      - .offset:         56
        .size:           4
        .value_kind:     by_value
      - .offset:         60
        .size:           4
        .value_kind:     by_value
      - .offset:         64
        .size:           4
        .value_kind:     by_value
      - .offset:         68
        .size:           4
        .value_kind:     by_value
      - .offset:         72
        .size:           4
        .value_kind:     by_value
      - .offset:         76
        .size:           4
        .value_kind:     by_value
      - .offset:         80
        .size:           4
        .value_kind:     by_value
      - .offset:         84
        .size:           4
        .value_kind:     by_value
      - .offset:         88
        .size:           4
        .value_kind:     by_value
      - .offset:         92
        .size:           4
        .value_kind:     by_value
      - .offset:         96
        .size:           4
        .value_kind:     by_value
      - .offset:         100
        .size:           4
        .value_kind:     by_value
      - .offset:         104
        .size:           12
        .value_kind:     by_value
      - .offset:         116
        .size:           12
        .value_kind:     by_value
      - .offset:         128
        .size:           4
        .value_kind:     hidden_block_count_x
      - .offset:         132
        .size:           4
        .value_kind:     hidden_block_count_y
      - .offset:         136
        .size:           4
        .value_kind:     hidden_block_count_z
      - .offset:         140
        .size:           2
        .value_kind:     hidden_group_size_x
      - .offset:         142
        .size:           2
        .value_kind:     hidden_group_size_y
      - .offset:         144
        .size:           2
        .value_kind:     hidden_group_size_z
      - .offset:         146
        .size:           2
        .value_kind:     hidden_remainder_x
      - .offset:         148
        .size:           2
        .value_kind:     hidden_remainder_y
      - .offset:         150
        .size:           2
        .value_kind:     hidden_remainder_z
      - .offset:         168
        .size:           8
        .value_kind:     hidden_global_offset_x
      - .offset:         176
        .size:           8
        .value_kind:     hidden_global_offset_y
      - .offset:         184
        .size:           8
        .value_kind:     hidden_global_offset_z
      - .offset:         192
        .size:           2
        .value_kind:     hidden_grid_dims
      - .offset:         208
        .size:           8
        .value_kind:     hidden_hostcall_buffer
    .group_segment_fixed_size: 0
    .kernarg_segment_align: 8
    .kernarg_segment_size: 384
    .language:       OpenCL C
    .language_version:
      - 2
      - 0
    .max_flat_workgroup_size: 384
    .name:           _ZL13mul_mat_f_idsIfLi32ELi3ELi6EEvPKT_PKfPKiS6_S6_Pfiiiiiiiiiiiiii15HIP_vector_typeIjLj3EES9_
    .private_segment_fixed_size: 16
    .sgpr_count:     40
    .sgpr_spill_count: 0
    .symbol:         _ZL13mul_mat_f_idsIfLi32ELi3ELi6EEvPKT_PKfPKiS6_S6_Pfiiiiiiiiiiiiii15HIP_vector_typeIjLj3EES9_.kd
    .uniform_work_group_size: 1
    .uses_dynamic_stack: false
    .vgpr_count:     38
    .vgpr_spill_count: 0
    .wavefront_size: 64
  - .agpr_count:     0
    .args:
      - .actual_access:  read_only
        .address_space:  global
        .offset:         0
        .size:           8
        .value_kind:     global_buffer
      - .actual_access:  read_only
        .address_space:  global
        .offset:         8
        .size:           8
        .value_kind:     global_buffer
      - .actual_access:  read_only
        .address_space:  global
        .offset:         16
        .size:           8
        .value_kind:     global_buffer
      - .actual_access:  read_only
        .address_space:  global
        .offset:         24
        .size:           8
        .value_kind:     global_buffer
      - .offset:         32
        .size:           4
        .value_kind:     by_value
      - .offset:         36
        .size:           4
        .value_kind:     by_value
      - .offset:         40
        .size:           4
        .value_kind:     by_value
      - .offset:         44
        .size:           4
        .value_kind:     by_value
      - .offset:         48
        .size:           4
        .value_kind:     by_value
      - .offset:         52
        .size:           4
        .value_kind:     by_value
      - .offset:         56
        .size:           4
        .value_kind:     by_value
      - .offset:         60
        .size:           4
        .value_kind:     by_value
      - .offset:         64
        .size:           4
        .value_kind:     by_value
      - .offset:         68
        .size:           4
        .value_kind:     by_value
      - .offset:         72
        .size:           4
        .value_kind:     by_value
      - .offset:         76
        .size:           4
        .value_kind:     by_value
      - .offset:         80
        .size:           4
        .value_kind:     by_value
      - .offset:         84
        .size:           4
        .value_kind:     by_value
      - .offset:         88
        .size:           4
        .value_kind:     by_value
      - .offset:         92
        .size:           4
        .value_kind:     by_value
      - .offset:         96
        .size:           4
        .value_kind:     hidden_block_count_x
      - .offset:         100
        .size:           4
        .value_kind:     hidden_block_count_y
      - .offset:         104
        .size:           4
        .value_kind:     hidden_block_count_z
      - .offset:         108
        .size:           2
        .value_kind:     hidden_group_size_x
      - .offset:         110
        .size:           2
        .value_kind:     hidden_group_size_y
      - .offset:         112
        .size:           2
        .value_kind:     hidden_group_size_z
      - .offset:         114
        .size:           2
        .value_kind:     hidden_remainder_x
      - .offset:         116
        .size:           2
        .value_kind:     hidden_remainder_y
      - .offset:         118
        .size:           2
        .value_kind:     hidden_remainder_z
      - .offset:         136
        .size:           8
        .value_kind:     hidden_global_offset_x
      - .offset:         144
        .size:           8
        .value_kind:     hidden_global_offset_y
      - .offset:         152
        .size:           8
        .value_kind:     hidden_global_offset_z
      - .offset:         160
        .size:           2
        .value_kind:     hidden_grid_dims
      - .offset:         176
        .size:           8
        .value_kind:     hidden_hostcall_buffer
    .group_segment_fixed_size: 0
    .kernarg_segment_align: 8
    .kernarg_segment_size: 352
    .language:       OpenCL C
    .language_version:
      - 2
      - 0
    .max_flat_workgroup_size: 384
    .name:           _ZL9mul_mat_fIfLi32ELi3ELi6ELb1EEvPKT_PKfPKiPfiiiiiiiiiiiiiiii
    .private_segment_fixed_size: 16
    .sgpr_count:     40
    .sgpr_spill_count: 0
    .symbol:         _ZL9mul_mat_fIfLi32ELi3ELi6ELb1EEvPKT_PKfPKiPfiiiiiiiiiiiiiiii.kd
    .uniform_work_group_size: 1
    .uses_dynamic_stack: false
    .vgpr_count:     38
    .vgpr_spill_count: 0
    .wavefront_size: 64
  - .agpr_count:     0
    .args:
      - .actual_access:  read_only
        .address_space:  global
        .offset:         0
        .size:           8
        .value_kind:     global_buffer
      - .actual_access:  read_only
        .address_space:  global
        .offset:         8
        .size:           8
        .value_kind:     global_buffer
      - .actual_access:  read_only
        .address_space:  global
        .offset:         16
        .size:           8
        .value_kind:     global_buffer
      - .actual_access:  read_only
        .address_space:  global
        .offset:         24
        .size:           8
        .value_kind:     global_buffer
      - .offset:         32
        .size:           4
        .value_kind:     by_value
      - .offset:         36
        .size:           4
        .value_kind:     by_value
      - .offset:         40
        .size:           4
        .value_kind:     by_value
      - .offset:         44
        .size:           4
        .value_kind:     by_value
      - .offset:         48
        .size:           4
        .value_kind:     by_value
      - .offset:         52
        .size:           4
        .value_kind:     by_value
      - .offset:         56
        .size:           4
        .value_kind:     by_value
      - .offset:         60
        .size:           4
        .value_kind:     by_value
      - .offset:         64
        .size:           4
        .value_kind:     by_value
      - .offset:         68
        .size:           4
        .value_kind:     by_value
      - .offset:         72
        .size:           4
        .value_kind:     by_value
      - .offset:         76
        .size:           4
        .value_kind:     by_value
      - .offset:         80
        .size:           4
        .value_kind:     by_value
      - .offset:         84
        .size:           4
        .value_kind:     by_value
      - .offset:         88
        .size:           4
        .value_kind:     by_value
      - .offset:         92
        .size:           4
        .value_kind:     by_value
      - .offset:         96
        .size:           4
        .value_kind:     hidden_block_count_x
      - .offset:         100
        .size:           4
        .value_kind:     hidden_block_count_y
      - .offset:         104
        .size:           4
        .value_kind:     hidden_block_count_z
      - .offset:         108
        .size:           2
        .value_kind:     hidden_group_size_x
      - .offset:         110
        .size:           2
        .value_kind:     hidden_group_size_y
      - .offset:         112
        .size:           2
        .value_kind:     hidden_group_size_z
      - .offset:         114
        .size:           2
        .value_kind:     hidden_remainder_x
      - .offset:         116
        .size:           2
        .value_kind:     hidden_remainder_y
      - .offset:         118
        .size:           2
        .value_kind:     hidden_remainder_z
      - .offset:         136
        .size:           8
        .value_kind:     hidden_global_offset_x
      - .offset:         144
        .size:           8
        .value_kind:     hidden_global_offset_y
      - .offset:         152
        .size:           8
        .value_kind:     hidden_global_offset_z
      - .offset:         160
        .size:           2
        .value_kind:     hidden_grid_dims
      - .offset:         176
        .size:           8
        .value_kind:     hidden_hostcall_buffer
    .group_segment_fixed_size: 0
    .kernarg_segment_align: 8
    .kernarg_segment_size: 352
    .language:       OpenCL C
    .language_version:
      - 2
      - 0
    .max_flat_workgroup_size: 384
    .name:           _ZL9mul_mat_fIfLi32ELi3ELi6ELb0EEvPKT_PKfPKiPfiiiiiiiiiiiiiiii
    .private_segment_fixed_size: 16
    .sgpr_count:     40
    .sgpr_spill_count: 0
    .symbol:         _ZL9mul_mat_fIfLi32ELi3ELi6ELb0EEvPKT_PKfPKiPfiiiiiiiiiiiiiiii.kd
    .uniform_work_group_size: 1
    .uses_dynamic_stack: false
    .vgpr_count:     38
    .vgpr_spill_count: 0
    .wavefront_size: 64
  - .agpr_count:     0
    .args:
      - .actual_access:  read_only
        .address_space:  global
        .offset:         0
        .size:           8
        .value_kind:     global_buffer
      - .actual_access:  read_only
        .address_space:  global
        .offset:         8
        .size:           8
        .value_kind:     global_buffer
      - .actual_access:  read_only
        .address_space:  global
        .offset:         16
        .size:           8
        .value_kind:     global_buffer
      - .actual_access:  read_only
        .address_space:  global
        .offset:         24
        .size:           8
        .value_kind:     global_buffer
      - .actual_access:  read_only
        .address_space:  global
        .offset:         32
        .size:           8
        .value_kind:     global_buffer
      - .actual_access:  read_only
        .address_space:  global
        .offset:         40
        .size:           8
        .value_kind:     global_buffer
      - .offset:         48
        .size:           4
        .value_kind:     by_value
      - .offset:         52
        .size:           4
        .value_kind:     by_value
      - .offset:         56
        .size:           4
        .value_kind:     by_value
      - .offset:         60
        .size:           4
        .value_kind:     by_value
      - .offset:         64
        .size:           4
        .value_kind:     by_value
      - .offset:         68
        .size:           4
        .value_kind:     by_value
      - .offset:         72
        .size:           4
        .value_kind:     by_value
      - .offset:         76
        .size:           4
        .value_kind:     by_value
      - .offset:         80
        .size:           4
        .value_kind:     by_value
      - .offset:         84
        .size:           4
        .value_kind:     by_value
      - .offset:         88
        .size:           4
        .value_kind:     by_value
      - .offset:         92
        .size:           4
        .value_kind:     by_value
      - .offset:         96
        .size:           4
        .value_kind:     by_value
      - .offset:         100
        .size:           4
        .value_kind:     by_value
      - .offset:         104
        .size:           12
        .value_kind:     by_value
      - .offset:         116
        .size:           12
        .value_kind:     by_value
      - .offset:         128
        .size:           4
        .value_kind:     hidden_block_count_x
      - .offset:         132
        .size:           4
        .value_kind:     hidden_block_count_y
      - .offset:         136
        .size:           4
        .value_kind:     hidden_block_count_z
      - .offset:         140
        .size:           2
        .value_kind:     hidden_group_size_x
      - .offset:         142
        .size:           2
        .value_kind:     hidden_group_size_y
      - .offset:         144
        .size:           2
        .value_kind:     hidden_group_size_z
      - .offset:         146
        .size:           2
        .value_kind:     hidden_remainder_x
      - .offset:         148
        .size:           2
        .value_kind:     hidden_remainder_y
      - .offset:         150
        .size:           2
        .value_kind:     hidden_remainder_z
      - .offset:         168
        .size:           8
        .value_kind:     hidden_global_offset_x
      - .offset:         176
        .size:           8
        .value_kind:     hidden_global_offset_y
      - .offset:         184
        .size:           8
        .value_kind:     hidden_global_offset_z
      - .offset:         192
        .size:           2
        .value_kind:     hidden_grid_dims
      - .offset:         208
        .size:           8
        .value_kind:     hidden_hostcall_buffer
    .group_segment_fixed_size: 0
    .kernarg_segment_align: 8
    .kernarg_segment_size: 384
    .language:       OpenCL C
    .language_version:
      - 2
      - 0
    .max_flat_workgroup_size: 448
    .name:           _ZL13mul_mat_f_idsIfLi32ELi3ELi7EEvPKT_PKfPKiS6_S6_Pfiiiiiiiiiiiiii15HIP_vector_typeIjLj3EES9_
    .private_segment_fixed_size: 16
    .sgpr_count:     40
    .sgpr_spill_count: 0
    .symbol:         _ZL13mul_mat_f_idsIfLi32ELi3ELi7EEvPKT_PKfPKiS6_S6_Pfiiiiiiiiiiiiii15HIP_vector_typeIjLj3EES9_.kd
    .uniform_work_group_size: 1
    .uses_dynamic_stack: false
    .vgpr_count:     38
    .vgpr_spill_count: 0
    .wavefront_size: 64
  - .agpr_count:     0
    .args:
      - .actual_access:  read_only
        .address_space:  global
        .offset:         0
        .size:           8
        .value_kind:     global_buffer
      - .actual_access:  read_only
        .address_space:  global
        .offset:         8
        .size:           8
        .value_kind:     global_buffer
      - .actual_access:  read_only
        .address_space:  global
        .offset:         16
        .size:           8
        .value_kind:     global_buffer
      - .actual_access:  read_only
        .address_space:  global
        .offset:         24
        .size:           8
        .value_kind:     global_buffer
      - .offset:         32
        .size:           4
        .value_kind:     by_value
      - .offset:         36
        .size:           4
        .value_kind:     by_value
      - .offset:         40
        .size:           4
        .value_kind:     by_value
      - .offset:         44
        .size:           4
        .value_kind:     by_value
      - .offset:         48
        .size:           4
        .value_kind:     by_value
      - .offset:         52
        .size:           4
        .value_kind:     by_value
      - .offset:         56
        .size:           4
        .value_kind:     by_value
      - .offset:         60
        .size:           4
        .value_kind:     by_value
      - .offset:         64
        .size:           4
        .value_kind:     by_value
      - .offset:         68
        .size:           4
        .value_kind:     by_value
      - .offset:         72
        .size:           4
        .value_kind:     by_value
      - .offset:         76
        .size:           4
        .value_kind:     by_value
      - .offset:         80
        .size:           4
        .value_kind:     by_value
      - .offset:         84
        .size:           4
        .value_kind:     by_value
      - .offset:         88
        .size:           4
        .value_kind:     by_value
      - .offset:         92
        .size:           4
        .value_kind:     by_value
      - .offset:         96
        .size:           4
        .value_kind:     hidden_block_count_x
      - .offset:         100
        .size:           4
        .value_kind:     hidden_block_count_y
      - .offset:         104
        .size:           4
        .value_kind:     hidden_block_count_z
      - .offset:         108
        .size:           2
        .value_kind:     hidden_group_size_x
      - .offset:         110
        .size:           2
        .value_kind:     hidden_group_size_y
      - .offset:         112
        .size:           2
        .value_kind:     hidden_group_size_z
      - .offset:         114
        .size:           2
        .value_kind:     hidden_remainder_x
      - .offset:         116
        .size:           2
        .value_kind:     hidden_remainder_y
      - .offset:         118
        .size:           2
        .value_kind:     hidden_remainder_z
      - .offset:         136
        .size:           8
        .value_kind:     hidden_global_offset_x
      - .offset:         144
        .size:           8
        .value_kind:     hidden_global_offset_y
      - .offset:         152
        .size:           8
        .value_kind:     hidden_global_offset_z
      - .offset:         160
        .size:           2
        .value_kind:     hidden_grid_dims
      - .offset:         176
        .size:           8
        .value_kind:     hidden_hostcall_buffer
    .group_segment_fixed_size: 0
    .kernarg_segment_align: 8
    .kernarg_segment_size: 352
    .language:       OpenCL C
    .language_version:
      - 2
      - 0
    .max_flat_workgroup_size: 448
    .name:           _ZL9mul_mat_fIfLi32ELi3ELi7ELb1EEvPKT_PKfPKiPfiiiiiiiiiiiiiiii
    .private_segment_fixed_size: 16
    .sgpr_count:     40
    .sgpr_spill_count: 0
    .symbol:         _ZL9mul_mat_fIfLi32ELi3ELi7ELb1EEvPKT_PKfPKiPfiiiiiiiiiiiiiiii.kd
    .uniform_work_group_size: 1
    .uses_dynamic_stack: false
    .vgpr_count:     38
    .vgpr_spill_count: 0
    .wavefront_size: 64
  - .agpr_count:     0
    .args:
      - .actual_access:  read_only
        .address_space:  global
        .offset:         0
        .size:           8
        .value_kind:     global_buffer
      - .actual_access:  read_only
        .address_space:  global
        .offset:         8
        .size:           8
        .value_kind:     global_buffer
      - .actual_access:  read_only
        .address_space:  global
        .offset:         16
        .size:           8
        .value_kind:     global_buffer
      - .actual_access:  read_only
        .address_space:  global
        .offset:         24
        .size:           8
        .value_kind:     global_buffer
      - .offset:         32
        .size:           4
        .value_kind:     by_value
      - .offset:         36
        .size:           4
        .value_kind:     by_value
      - .offset:         40
        .size:           4
        .value_kind:     by_value
      - .offset:         44
        .size:           4
        .value_kind:     by_value
      - .offset:         48
        .size:           4
        .value_kind:     by_value
      - .offset:         52
        .size:           4
        .value_kind:     by_value
      - .offset:         56
        .size:           4
        .value_kind:     by_value
      - .offset:         60
        .size:           4
        .value_kind:     by_value
      - .offset:         64
        .size:           4
        .value_kind:     by_value
      - .offset:         68
        .size:           4
        .value_kind:     by_value
      - .offset:         72
        .size:           4
        .value_kind:     by_value
      - .offset:         76
        .size:           4
        .value_kind:     by_value
      - .offset:         80
        .size:           4
        .value_kind:     by_value
      - .offset:         84
        .size:           4
        .value_kind:     by_value
      - .offset:         88
        .size:           4
        .value_kind:     by_value
      - .offset:         92
        .size:           4
        .value_kind:     by_value
      - .offset:         96
        .size:           4
        .value_kind:     hidden_block_count_x
      - .offset:         100
        .size:           4
        .value_kind:     hidden_block_count_y
      - .offset:         104
        .size:           4
        .value_kind:     hidden_block_count_z
      - .offset:         108
        .size:           2
        .value_kind:     hidden_group_size_x
      - .offset:         110
        .size:           2
        .value_kind:     hidden_group_size_y
      - .offset:         112
        .size:           2
        .value_kind:     hidden_group_size_z
      - .offset:         114
        .size:           2
        .value_kind:     hidden_remainder_x
      - .offset:         116
        .size:           2
        .value_kind:     hidden_remainder_y
      - .offset:         118
        .size:           2
        .value_kind:     hidden_remainder_z
      - .offset:         136
        .size:           8
        .value_kind:     hidden_global_offset_x
      - .offset:         144
        .size:           8
        .value_kind:     hidden_global_offset_y
      - .offset:         152
        .size:           8
        .value_kind:     hidden_global_offset_z
      - .offset:         160
        .size:           2
        .value_kind:     hidden_grid_dims
      - .offset:         176
        .size:           8
        .value_kind:     hidden_hostcall_buffer
    .group_segment_fixed_size: 0
    .kernarg_segment_align: 8
    .kernarg_segment_size: 352
    .language:       OpenCL C
    .language_version:
      - 2
      - 0
    .max_flat_workgroup_size: 448
    .name:           _ZL9mul_mat_fIfLi32ELi3ELi7ELb0EEvPKT_PKfPKiPfiiiiiiiiiiiiiiii
    .private_segment_fixed_size: 16
    .sgpr_count:     40
    .sgpr_spill_count: 0
    .symbol:         _ZL9mul_mat_fIfLi32ELi3ELi7ELb0EEvPKT_PKfPKiPfiiiiiiiiiiiiiiii.kd
    .uniform_work_group_size: 1
    .uses_dynamic_stack: false
    .vgpr_count:     38
    .vgpr_spill_count: 0
    .wavefront_size: 64
  - .agpr_count:     0
    .args:
      - .actual_access:  read_only
        .address_space:  global
        .offset:         0
        .size:           8
        .value_kind:     global_buffer
      - .actual_access:  read_only
        .address_space:  global
        .offset:         8
        .size:           8
        .value_kind:     global_buffer
      - .actual_access:  read_only
        .address_space:  global
        .offset:         16
        .size:           8
        .value_kind:     global_buffer
      - .actual_access:  read_only
        .address_space:  global
        .offset:         24
        .size:           8
        .value_kind:     global_buffer
      - .actual_access:  read_only
        .address_space:  global
        .offset:         32
        .size:           8
        .value_kind:     global_buffer
      - .actual_access:  read_only
        .address_space:  global
        .offset:         40
        .size:           8
        .value_kind:     global_buffer
      - .offset:         48
        .size:           4
        .value_kind:     by_value
      - .offset:         52
        .size:           4
        .value_kind:     by_value
      - .offset:         56
        .size:           4
        .value_kind:     by_value
      - .offset:         60
        .size:           4
        .value_kind:     by_value
      - .offset:         64
        .size:           4
        .value_kind:     by_value
      - .offset:         68
        .size:           4
        .value_kind:     by_value
      - .offset:         72
        .size:           4
        .value_kind:     by_value
      - .offset:         76
        .size:           4
        .value_kind:     by_value
      - .offset:         80
        .size:           4
        .value_kind:     by_value
      - .offset:         84
        .size:           4
        .value_kind:     by_value
      - .offset:         88
        .size:           4
        .value_kind:     by_value
      - .offset:         92
        .size:           4
        .value_kind:     by_value
      - .offset:         96
        .size:           4
        .value_kind:     by_value
      - .offset:         100
        .size:           4
        .value_kind:     by_value
      - .offset:         104
        .size:           12
        .value_kind:     by_value
      - .offset:         116
        .size:           12
        .value_kind:     by_value
      - .offset:         128
        .size:           4
        .value_kind:     hidden_block_count_x
      - .offset:         132
        .size:           4
        .value_kind:     hidden_block_count_y
      - .offset:         136
        .size:           4
        .value_kind:     hidden_block_count_z
      - .offset:         140
        .size:           2
        .value_kind:     hidden_group_size_x
      - .offset:         142
        .size:           2
        .value_kind:     hidden_group_size_y
      - .offset:         144
        .size:           2
        .value_kind:     hidden_group_size_z
      - .offset:         146
        .size:           2
        .value_kind:     hidden_remainder_x
      - .offset:         148
        .size:           2
        .value_kind:     hidden_remainder_y
      - .offset:         150
        .size:           2
        .value_kind:     hidden_remainder_z
      - .offset:         168
        .size:           8
        .value_kind:     hidden_global_offset_x
      - .offset:         176
        .size:           8
        .value_kind:     hidden_global_offset_y
      - .offset:         184
        .size:           8
        .value_kind:     hidden_global_offset_z
      - .offset:         192
        .size:           2
        .value_kind:     hidden_grid_dims
      - .offset:         208
        .size:           8
        .value_kind:     hidden_hostcall_buffer
    .group_segment_fixed_size: 0
    .kernarg_segment_align: 8
    .kernarg_segment_size: 384
    .language:       OpenCL C
    .language_version:
      - 2
      - 0
    .max_flat_workgroup_size: 512
    .name:           _ZL13mul_mat_f_idsIfLi32ELi3ELi8EEvPKT_PKfPKiS6_S6_Pfiiiiiiiiiiiiii15HIP_vector_typeIjLj3EES9_
    .private_segment_fixed_size: 16
    .sgpr_count:     40
    .sgpr_spill_count: 0
    .symbol:         _ZL13mul_mat_f_idsIfLi32ELi3ELi8EEvPKT_PKfPKiS6_S6_Pfiiiiiiiiiiiiii15HIP_vector_typeIjLj3EES9_.kd
    .uniform_work_group_size: 1
    .uses_dynamic_stack: false
    .vgpr_count:     38
    .vgpr_spill_count: 0
    .wavefront_size: 64
  - .agpr_count:     0
    .args:
      - .actual_access:  read_only
        .address_space:  global
        .offset:         0
        .size:           8
        .value_kind:     global_buffer
      - .actual_access:  read_only
        .address_space:  global
        .offset:         8
        .size:           8
        .value_kind:     global_buffer
      - .actual_access:  read_only
        .address_space:  global
        .offset:         16
        .size:           8
        .value_kind:     global_buffer
      - .actual_access:  read_only
        .address_space:  global
        .offset:         24
        .size:           8
        .value_kind:     global_buffer
      - .offset:         32
        .size:           4
        .value_kind:     by_value
      - .offset:         36
        .size:           4
        .value_kind:     by_value
      - .offset:         40
        .size:           4
        .value_kind:     by_value
      - .offset:         44
        .size:           4
        .value_kind:     by_value
      - .offset:         48
        .size:           4
        .value_kind:     by_value
      - .offset:         52
        .size:           4
        .value_kind:     by_value
      - .offset:         56
        .size:           4
        .value_kind:     by_value
      - .offset:         60
        .size:           4
        .value_kind:     by_value
      - .offset:         64
        .size:           4
        .value_kind:     by_value
      - .offset:         68
        .size:           4
        .value_kind:     by_value
      - .offset:         72
        .size:           4
        .value_kind:     by_value
      - .offset:         76
        .size:           4
        .value_kind:     by_value
      - .offset:         80
        .size:           4
        .value_kind:     by_value
      - .offset:         84
        .size:           4
        .value_kind:     by_value
      - .offset:         88
        .size:           4
        .value_kind:     by_value
      - .offset:         92
        .size:           4
        .value_kind:     by_value
      - .offset:         96
        .size:           4
        .value_kind:     hidden_block_count_x
      - .offset:         100
        .size:           4
        .value_kind:     hidden_block_count_y
      - .offset:         104
        .size:           4
        .value_kind:     hidden_block_count_z
      - .offset:         108
        .size:           2
        .value_kind:     hidden_group_size_x
      - .offset:         110
        .size:           2
        .value_kind:     hidden_group_size_y
      - .offset:         112
        .size:           2
        .value_kind:     hidden_group_size_z
      - .offset:         114
        .size:           2
        .value_kind:     hidden_remainder_x
      - .offset:         116
        .size:           2
        .value_kind:     hidden_remainder_y
      - .offset:         118
        .size:           2
        .value_kind:     hidden_remainder_z
      - .offset:         136
        .size:           8
        .value_kind:     hidden_global_offset_x
      - .offset:         144
        .size:           8
        .value_kind:     hidden_global_offset_y
      - .offset:         152
        .size:           8
        .value_kind:     hidden_global_offset_z
      - .offset:         160
        .size:           2
        .value_kind:     hidden_grid_dims
      - .offset:         176
        .size:           8
        .value_kind:     hidden_hostcall_buffer
    .group_segment_fixed_size: 0
    .kernarg_segment_align: 8
    .kernarg_segment_size: 352
    .language:       OpenCL C
    .language_version:
      - 2
      - 0
    .max_flat_workgroup_size: 512
    .name:           _ZL9mul_mat_fIfLi32ELi3ELi8ELb1EEvPKT_PKfPKiPfiiiiiiiiiiiiiiii
    .private_segment_fixed_size: 16
    .sgpr_count:     40
    .sgpr_spill_count: 0
    .symbol:         _ZL9mul_mat_fIfLi32ELi3ELi8ELb1EEvPKT_PKfPKiPfiiiiiiiiiiiiiiii.kd
    .uniform_work_group_size: 1
    .uses_dynamic_stack: false
    .vgpr_count:     38
    .vgpr_spill_count: 0
    .wavefront_size: 64
  - .agpr_count:     0
    .args:
      - .actual_access:  read_only
        .address_space:  global
        .offset:         0
        .size:           8
        .value_kind:     global_buffer
      - .actual_access:  read_only
        .address_space:  global
        .offset:         8
        .size:           8
        .value_kind:     global_buffer
      - .actual_access:  read_only
        .address_space:  global
        .offset:         16
        .size:           8
        .value_kind:     global_buffer
      - .actual_access:  read_only
        .address_space:  global
        .offset:         24
        .size:           8
        .value_kind:     global_buffer
      - .offset:         32
        .size:           4
        .value_kind:     by_value
      - .offset:         36
        .size:           4
        .value_kind:     by_value
      - .offset:         40
        .size:           4
        .value_kind:     by_value
      - .offset:         44
        .size:           4
        .value_kind:     by_value
      - .offset:         48
        .size:           4
        .value_kind:     by_value
      - .offset:         52
        .size:           4
        .value_kind:     by_value
      - .offset:         56
        .size:           4
        .value_kind:     by_value
      - .offset:         60
        .size:           4
        .value_kind:     by_value
      - .offset:         64
        .size:           4
        .value_kind:     by_value
      - .offset:         68
        .size:           4
        .value_kind:     by_value
      - .offset:         72
        .size:           4
        .value_kind:     by_value
      - .offset:         76
        .size:           4
        .value_kind:     by_value
      - .offset:         80
        .size:           4
        .value_kind:     by_value
      - .offset:         84
        .size:           4
        .value_kind:     by_value
      - .offset:         88
        .size:           4
        .value_kind:     by_value
      - .offset:         92
        .size:           4
        .value_kind:     by_value
      - .offset:         96
        .size:           4
        .value_kind:     hidden_block_count_x
      - .offset:         100
        .size:           4
        .value_kind:     hidden_block_count_y
      - .offset:         104
        .size:           4
        .value_kind:     hidden_block_count_z
      - .offset:         108
        .size:           2
        .value_kind:     hidden_group_size_x
      - .offset:         110
        .size:           2
        .value_kind:     hidden_group_size_y
      - .offset:         112
        .size:           2
        .value_kind:     hidden_group_size_z
      - .offset:         114
        .size:           2
        .value_kind:     hidden_remainder_x
      - .offset:         116
        .size:           2
        .value_kind:     hidden_remainder_y
      - .offset:         118
        .size:           2
        .value_kind:     hidden_remainder_z
      - .offset:         136
        .size:           8
        .value_kind:     hidden_global_offset_x
      - .offset:         144
        .size:           8
        .value_kind:     hidden_global_offset_y
      - .offset:         152
        .size:           8
        .value_kind:     hidden_global_offset_z
      - .offset:         160
        .size:           2
        .value_kind:     hidden_grid_dims
      - .offset:         176
        .size:           8
        .value_kind:     hidden_hostcall_buffer
    .group_segment_fixed_size: 0
    .kernarg_segment_align: 8
    .kernarg_segment_size: 352
    .language:       OpenCL C
    .language_version:
      - 2
      - 0
    .max_flat_workgroup_size: 512
    .name:           _ZL9mul_mat_fIfLi32ELi3ELi8ELb0EEvPKT_PKfPKiPfiiiiiiiiiiiiiiii
    .private_segment_fixed_size: 16
    .sgpr_count:     40
    .sgpr_spill_count: 0
    .symbol:         _ZL9mul_mat_fIfLi32ELi3ELi8ELb0EEvPKT_PKfPKiPfiiiiiiiiiiiiiiii.kd
    .uniform_work_group_size: 1
    .uses_dynamic_stack: false
    .vgpr_count:     38
    .vgpr_spill_count: 0
    .wavefront_size: 64
  - .agpr_count:     0
    .args:
      - .actual_access:  read_only
        .address_space:  global
        .offset:         0
        .size:           8
        .value_kind:     global_buffer
      - .actual_access:  read_only
        .address_space:  global
        .offset:         8
        .size:           8
        .value_kind:     global_buffer
      - .actual_access:  read_only
        .address_space:  global
        .offset:         16
        .size:           8
        .value_kind:     global_buffer
      - .actual_access:  read_only
        .address_space:  global
        .offset:         24
        .size:           8
        .value_kind:     global_buffer
      - .actual_access:  read_only
        .address_space:  global
        .offset:         32
        .size:           8
        .value_kind:     global_buffer
      - .actual_access:  read_only
        .address_space:  global
        .offset:         40
        .size:           8
        .value_kind:     global_buffer
      - .offset:         48
        .size:           4
        .value_kind:     by_value
      - .offset:         52
        .size:           4
        .value_kind:     by_value
      - .offset:         56
        .size:           4
        .value_kind:     by_value
      - .offset:         60
        .size:           4
        .value_kind:     by_value
      - .offset:         64
        .size:           4
        .value_kind:     by_value
      - .offset:         68
        .size:           4
        .value_kind:     by_value
      - .offset:         72
        .size:           4
        .value_kind:     by_value
      - .offset:         76
        .size:           4
        .value_kind:     by_value
      - .offset:         80
        .size:           4
        .value_kind:     by_value
      - .offset:         84
        .size:           4
        .value_kind:     by_value
      - .offset:         88
        .size:           4
        .value_kind:     by_value
      - .offset:         92
        .size:           4
        .value_kind:     by_value
      - .offset:         96
        .size:           4
        .value_kind:     by_value
      - .offset:         100
        .size:           4
        .value_kind:     by_value
      - .offset:         104
        .size:           12
        .value_kind:     by_value
      - .offset:         116
        .size:           12
        .value_kind:     by_value
      - .offset:         128
        .size:           4
        .value_kind:     hidden_block_count_x
      - .offset:         132
        .size:           4
        .value_kind:     hidden_block_count_y
      - .offset:         136
        .size:           4
        .value_kind:     hidden_block_count_z
      - .offset:         140
        .size:           2
        .value_kind:     hidden_group_size_x
      - .offset:         142
        .size:           2
        .value_kind:     hidden_group_size_y
      - .offset:         144
        .size:           2
        .value_kind:     hidden_group_size_z
      - .offset:         146
        .size:           2
        .value_kind:     hidden_remainder_x
      - .offset:         148
        .size:           2
        .value_kind:     hidden_remainder_y
      - .offset:         150
        .size:           2
        .value_kind:     hidden_remainder_z
      - .offset:         168
        .size:           8
        .value_kind:     hidden_global_offset_x
      - .offset:         176
        .size:           8
        .value_kind:     hidden_global_offset_y
      - .offset:         184
        .size:           8
        .value_kind:     hidden_global_offset_z
      - .offset:         192
        .size:           2
        .value_kind:     hidden_grid_dims
      - .offset:         208
        .size:           8
        .value_kind:     hidden_hostcall_buffer
    .group_segment_fixed_size: 0
    .kernarg_segment_align: 8
    .kernarg_segment_size: 384
    .language:       OpenCL C
    .language_version:
      - 2
      - 0
    .max_flat_workgroup_size: 64
    .name:           _ZL13mul_mat_f_idsI7__half2Li32ELi3ELi1EEvPKT_PKfPKiS7_S7_Pfiiiiiiiiiiiiii15HIP_vector_typeIjLj3EESA_
    .private_segment_fixed_size: 16
    .sgpr_count:     40
    .sgpr_spill_count: 0
    .symbol:         _ZL13mul_mat_f_idsI7__half2Li32ELi3ELi1EEvPKT_PKfPKiS7_S7_Pfiiiiiiiiiiiiii15HIP_vector_typeIjLj3EESA_.kd
    .uniform_work_group_size: 1
    .uses_dynamic_stack: false
    .vgpr_count:     38
    .vgpr_spill_count: 0
    .wavefront_size: 64
  - .agpr_count:     0
    .args:
      - .actual_access:  read_only
        .address_space:  global
        .offset:         0
        .size:           8
        .value_kind:     global_buffer
      - .actual_access:  read_only
        .address_space:  global
        .offset:         8
        .size:           8
        .value_kind:     global_buffer
      - .actual_access:  read_only
        .address_space:  global
        .offset:         16
        .size:           8
        .value_kind:     global_buffer
      - .actual_access:  read_only
        .address_space:  global
        .offset:         24
        .size:           8
        .value_kind:     global_buffer
      - .offset:         32
        .size:           4
        .value_kind:     by_value
      - .offset:         36
        .size:           4
        .value_kind:     by_value
      - .offset:         40
        .size:           4
        .value_kind:     by_value
      - .offset:         44
        .size:           4
        .value_kind:     by_value
      - .offset:         48
        .size:           4
        .value_kind:     by_value
      - .offset:         52
        .size:           4
        .value_kind:     by_value
      - .offset:         56
        .size:           4
        .value_kind:     by_value
      - .offset:         60
        .size:           4
        .value_kind:     by_value
      - .offset:         64
        .size:           4
        .value_kind:     by_value
      - .offset:         68
        .size:           4
        .value_kind:     by_value
      - .offset:         72
        .size:           4
        .value_kind:     by_value
      - .offset:         76
        .size:           4
        .value_kind:     by_value
      - .offset:         80
        .size:           4
        .value_kind:     by_value
      - .offset:         84
        .size:           4
        .value_kind:     by_value
      - .offset:         88
        .size:           4
        .value_kind:     by_value
      - .offset:         92
        .size:           4
        .value_kind:     by_value
      - .offset:         96
        .size:           4
        .value_kind:     hidden_block_count_x
      - .offset:         100
        .size:           4
        .value_kind:     hidden_block_count_y
      - .offset:         104
        .size:           4
        .value_kind:     hidden_block_count_z
      - .offset:         108
        .size:           2
        .value_kind:     hidden_group_size_x
      - .offset:         110
        .size:           2
        .value_kind:     hidden_group_size_y
      - .offset:         112
        .size:           2
        .value_kind:     hidden_group_size_z
      - .offset:         114
        .size:           2
        .value_kind:     hidden_remainder_x
      - .offset:         116
        .size:           2
        .value_kind:     hidden_remainder_y
      - .offset:         118
        .size:           2
        .value_kind:     hidden_remainder_z
      - .offset:         136
        .size:           8
        .value_kind:     hidden_global_offset_x
      - .offset:         144
        .size:           8
        .value_kind:     hidden_global_offset_y
      - .offset:         152
        .size:           8
        .value_kind:     hidden_global_offset_z
      - .offset:         160
        .size:           2
        .value_kind:     hidden_grid_dims
      - .offset:         176
        .size:           8
        .value_kind:     hidden_hostcall_buffer
    .group_segment_fixed_size: 0
    .kernarg_segment_align: 8
    .kernarg_segment_size: 352
    .language:       OpenCL C
    .language_version:
      - 2
      - 0
    .max_flat_workgroup_size: 64
    .name:           _ZL9mul_mat_fI7__half2Li32ELi3ELi1ELb1EEvPKT_PKfPKiPfiiiiiiiiiiiiiiii
    .private_segment_fixed_size: 16
    .sgpr_count:     40
    .sgpr_spill_count: 0
    .symbol:         _ZL9mul_mat_fI7__half2Li32ELi3ELi1ELb1EEvPKT_PKfPKiPfiiiiiiiiiiiiiiii.kd
    .uniform_work_group_size: 1
    .uses_dynamic_stack: false
    .vgpr_count:     38
    .vgpr_spill_count: 0
    .wavefront_size: 64
  - .agpr_count:     0
    .args:
      - .actual_access:  read_only
        .address_space:  global
        .offset:         0
        .size:           8
        .value_kind:     global_buffer
      - .actual_access:  read_only
        .address_space:  global
        .offset:         8
        .size:           8
        .value_kind:     global_buffer
      - .actual_access:  read_only
        .address_space:  global
        .offset:         16
        .size:           8
        .value_kind:     global_buffer
      - .actual_access:  read_only
        .address_space:  global
        .offset:         24
        .size:           8
        .value_kind:     global_buffer
      - .offset:         32
        .size:           4
        .value_kind:     by_value
      - .offset:         36
        .size:           4
        .value_kind:     by_value
      - .offset:         40
        .size:           4
        .value_kind:     by_value
      - .offset:         44
        .size:           4
        .value_kind:     by_value
      - .offset:         48
        .size:           4
        .value_kind:     by_value
      - .offset:         52
        .size:           4
        .value_kind:     by_value
      - .offset:         56
        .size:           4
        .value_kind:     by_value
      - .offset:         60
        .size:           4
        .value_kind:     by_value
      - .offset:         64
        .size:           4
        .value_kind:     by_value
      - .offset:         68
        .size:           4
        .value_kind:     by_value
      - .offset:         72
        .size:           4
        .value_kind:     by_value
      - .offset:         76
        .size:           4
        .value_kind:     by_value
      - .offset:         80
        .size:           4
        .value_kind:     by_value
      - .offset:         84
        .size:           4
        .value_kind:     by_value
      - .offset:         88
        .size:           4
        .value_kind:     by_value
      - .offset:         92
        .size:           4
        .value_kind:     by_value
      - .offset:         96
        .size:           4
        .value_kind:     hidden_block_count_x
      - .offset:         100
        .size:           4
        .value_kind:     hidden_block_count_y
      - .offset:         104
        .size:           4
        .value_kind:     hidden_block_count_z
      - .offset:         108
        .size:           2
        .value_kind:     hidden_group_size_x
      - .offset:         110
        .size:           2
        .value_kind:     hidden_group_size_y
      - .offset:         112
        .size:           2
        .value_kind:     hidden_group_size_z
      - .offset:         114
        .size:           2
        .value_kind:     hidden_remainder_x
      - .offset:         116
        .size:           2
        .value_kind:     hidden_remainder_y
      - .offset:         118
        .size:           2
        .value_kind:     hidden_remainder_z
      - .offset:         136
        .size:           8
        .value_kind:     hidden_global_offset_x
      - .offset:         144
        .size:           8
        .value_kind:     hidden_global_offset_y
      - .offset:         152
        .size:           8
        .value_kind:     hidden_global_offset_z
      - .offset:         160
        .size:           2
        .value_kind:     hidden_grid_dims
      - .offset:         176
        .size:           8
        .value_kind:     hidden_hostcall_buffer
    .group_segment_fixed_size: 0
    .kernarg_segment_align: 8
    .kernarg_segment_size: 352
    .language:       OpenCL C
    .language_version:
      - 2
      - 0
    .max_flat_workgroup_size: 64
    .name:           _ZL9mul_mat_fI7__half2Li32ELi3ELi1ELb0EEvPKT_PKfPKiPfiiiiiiiiiiiiiiii
    .private_segment_fixed_size: 16
    .sgpr_count:     40
    .sgpr_spill_count: 0
    .symbol:         _ZL9mul_mat_fI7__half2Li32ELi3ELi1ELb0EEvPKT_PKfPKiPfiiiiiiiiiiiiiiii.kd
    .uniform_work_group_size: 1
    .uses_dynamic_stack: false
    .vgpr_count:     38
    .vgpr_spill_count: 0
    .wavefront_size: 64
  - .agpr_count:     0
    .args:
      - .actual_access:  read_only
        .address_space:  global
        .offset:         0
        .size:           8
        .value_kind:     global_buffer
      - .actual_access:  read_only
        .address_space:  global
        .offset:         8
        .size:           8
        .value_kind:     global_buffer
      - .actual_access:  read_only
        .address_space:  global
        .offset:         16
        .size:           8
        .value_kind:     global_buffer
      - .actual_access:  read_only
        .address_space:  global
        .offset:         24
        .size:           8
        .value_kind:     global_buffer
      - .actual_access:  read_only
        .address_space:  global
        .offset:         32
        .size:           8
        .value_kind:     global_buffer
      - .actual_access:  read_only
        .address_space:  global
        .offset:         40
        .size:           8
        .value_kind:     global_buffer
      - .offset:         48
        .size:           4
        .value_kind:     by_value
      - .offset:         52
        .size:           4
        .value_kind:     by_value
      - .offset:         56
        .size:           4
        .value_kind:     by_value
      - .offset:         60
        .size:           4
        .value_kind:     by_value
      - .offset:         64
        .size:           4
        .value_kind:     by_value
      - .offset:         68
        .size:           4
        .value_kind:     by_value
      - .offset:         72
        .size:           4
        .value_kind:     by_value
      - .offset:         76
        .size:           4
        .value_kind:     by_value
      - .offset:         80
        .size:           4
        .value_kind:     by_value
      - .offset:         84
        .size:           4
        .value_kind:     by_value
      - .offset:         88
        .size:           4
        .value_kind:     by_value
      - .offset:         92
        .size:           4
        .value_kind:     by_value
      - .offset:         96
        .size:           4
        .value_kind:     by_value
      - .offset:         100
        .size:           4
        .value_kind:     by_value
      - .offset:         104
        .size:           12
        .value_kind:     by_value
      - .offset:         116
        .size:           12
        .value_kind:     by_value
      - .offset:         128
        .size:           4
        .value_kind:     hidden_block_count_x
      - .offset:         132
        .size:           4
        .value_kind:     hidden_block_count_y
      - .offset:         136
        .size:           4
        .value_kind:     hidden_block_count_z
      - .offset:         140
        .size:           2
        .value_kind:     hidden_group_size_x
      - .offset:         142
        .size:           2
        .value_kind:     hidden_group_size_y
      - .offset:         144
        .size:           2
        .value_kind:     hidden_group_size_z
      - .offset:         146
        .size:           2
        .value_kind:     hidden_remainder_x
      - .offset:         148
        .size:           2
        .value_kind:     hidden_remainder_y
      - .offset:         150
        .size:           2
        .value_kind:     hidden_remainder_z
      - .offset:         168
        .size:           8
        .value_kind:     hidden_global_offset_x
      - .offset:         176
        .size:           8
        .value_kind:     hidden_global_offset_y
      - .offset:         184
        .size:           8
        .value_kind:     hidden_global_offset_z
      - .offset:         192
        .size:           2
        .value_kind:     hidden_grid_dims
      - .offset:         208
        .size:           8
        .value_kind:     hidden_hostcall_buffer
    .group_segment_fixed_size: 0
    .kernarg_segment_align: 8
    .kernarg_segment_size: 384
    .language:       OpenCL C
    .language_version:
      - 2
      - 0
    .max_flat_workgroup_size: 128
    .name:           _ZL13mul_mat_f_idsI7__half2Li32ELi3ELi2EEvPKT_PKfPKiS7_S7_Pfiiiiiiiiiiiiii15HIP_vector_typeIjLj3EESA_
    .private_segment_fixed_size: 16
    .sgpr_count:     40
    .sgpr_spill_count: 0
    .symbol:         _ZL13mul_mat_f_idsI7__half2Li32ELi3ELi2EEvPKT_PKfPKiS7_S7_Pfiiiiiiiiiiiiii15HIP_vector_typeIjLj3EESA_.kd
    .uniform_work_group_size: 1
    .uses_dynamic_stack: false
    .vgpr_count:     38
    .vgpr_spill_count: 0
    .wavefront_size: 64
  - .agpr_count:     0
    .args:
      - .actual_access:  read_only
        .address_space:  global
        .offset:         0
        .size:           8
        .value_kind:     global_buffer
      - .actual_access:  read_only
        .address_space:  global
        .offset:         8
        .size:           8
        .value_kind:     global_buffer
      - .actual_access:  read_only
        .address_space:  global
        .offset:         16
        .size:           8
        .value_kind:     global_buffer
      - .actual_access:  read_only
        .address_space:  global
        .offset:         24
        .size:           8
        .value_kind:     global_buffer
      - .offset:         32
        .size:           4
        .value_kind:     by_value
      - .offset:         36
        .size:           4
        .value_kind:     by_value
      - .offset:         40
        .size:           4
        .value_kind:     by_value
      - .offset:         44
        .size:           4
        .value_kind:     by_value
      - .offset:         48
        .size:           4
        .value_kind:     by_value
      - .offset:         52
        .size:           4
        .value_kind:     by_value
      - .offset:         56
        .size:           4
        .value_kind:     by_value
      - .offset:         60
        .size:           4
        .value_kind:     by_value
      - .offset:         64
        .size:           4
        .value_kind:     by_value
      - .offset:         68
        .size:           4
        .value_kind:     by_value
      - .offset:         72
        .size:           4
        .value_kind:     by_value
      - .offset:         76
        .size:           4
        .value_kind:     by_value
      - .offset:         80
        .size:           4
        .value_kind:     by_value
      - .offset:         84
        .size:           4
        .value_kind:     by_value
      - .offset:         88
        .size:           4
        .value_kind:     by_value
      - .offset:         92
        .size:           4
        .value_kind:     by_value
      - .offset:         96
        .size:           4
        .value_kind:     hidden_block_count_x
      - .offset:         100
        .size:           4
        .value_kind:     hidden_block_count_y
      - .offset:         104
        .size:           4
        .value_kind:     hidden_block_count_z
      - .offset:         108
        .size:           2
        .value_kind:     hidden_group_size_x
      - .offset:         110
        .size:           2
        .value_kind:     hidden_group_size_y
      - .offset:         112
        .size:           2
        .value_kind:     hidden_group_size_z
      - .offset:         114
        .size:           2
        .value_kind:     hidden_remainder_x
      - .offset:         116
        .size:           2
        .value_kind:     hidden_remainder_y
      - .offset:         118
        .size:           2
        .value_kind:     hidden_remainder_z
      - .offset:         136
        .size:           8
        .value_kind:     hidden_global_offset_x
      - .offset:         144
        .size:           8
        .value_kind:     hidden_global_offset_y
      - .offset:         152
        .size:           8
        .value_kind:     hidden_global_offset_z
      - .offset:         160
        .size:           2
        .value_kind:     hidden_grid_dims
      - .offset:         176
        .size:           8
        .value_kind:     hidden_hostcall_buffer
    .group_segment_fixed_size: 0
    .kernarg_segment_align: 8
    .kernarg_segment_size: 352
    .language:       OpenCL C
    .language_version:
      - 2
      - 0
    .max_flat_workgroup_size: 128
    .name:           _ZL9mul_mat_fI7__half2Li32ELi3ELi2ELb1EEvPKT_PKfPKiPfiiiiiiiiiiiiiiii
    .private_segment_fixed_size: 16
    .sgpr_count:     40
    .sgpr_spill_count: 0
    .symbol:         _ZL9mul_mat_fI7__half2Li32ELi3ELi2ELb1EEvPKT_PKfPKiPfiiiiiiiiiiiiiiii.kd
    .uniform_work_group_size: 1
    .uses_dynamic_stack: false
    .vgpr_count:     38
    .vgpr_spill_count: 0
    .wavefront_size: 64
  - .agpr_count:     0
    .args:
      - .actual_access:  read_only
        .address_space:  global
        .offset:         0
        .size:           8
        .value_kind:     global_buffer
      - .actual_access:  read_only
        .address_space:  global
        .offset:         8
        .size:           8
        .value_kind:     global_buffer
      - .actual_access:  read_only
        .address_space:  global
        .offset:         16
        .size:           8
        .value_kind:     global_buffer
      - .actual_access:  read_only
        .address_space:  global
        .offset:         24
        .size:           8
        .value_kind:     global_buffer
      - .offset:         32
        .size:           4
        .value_kind:     by_value
      - .offset:         36
        .size:           4
        .value_kind:     by_value
      - .offset:         40
        .size:           4
        .value_kind:     by_value
      - .offset:         44
        .size:           4
        .value_kind:     by_value
      - .offset:         48
        .size:           4
        .value_kind:     by_value
      - .offset:         52
        .size:           4
        .value_kind:     by_value
      - .offset:         56
        .size:           4
        .value_kind:     by_value
      - .offset:         60
        .size:           4
        .value_kind:     by_value
      - .offset:         64
        .size:           4
        .value_kind:     by_value
      - .offset:         68
        .size:           4
        .value_kind:     by_value
      - .offset:         72
        .size:           4
        .value_kind:     by_value
      - .offset:         76
        .size:           4
        .value_kind:     by_value
      - .offset:         80
        .size:           4
        .value_kind:     by_value
      - .offset:         84
        .size:           4
        .value_kind:     by_value
      - .offset:         88
        .size:           4
        .value_kind:     by_value
      - .offset:         92
        .size:           4
        .value_kind:     by_value
      - .offset:         96
        .size:           4
        .value_kind:     hidden_block_count_x
      - .offset:         100
        .size:           4
        .value_kind:     hidden_block_count_y
      - .offset:         104
        .size:           4
        .value_kind:     hidden_block_count_z
      - .offset:         108
        .size:           2
        .value_kind:     hidden_group_size_x
      - .offset:         110
        .size:           2
        .value_kind:     hidden_group_size_y
      - .offset:         112
        .size:           2
        .value_kind:     hidden_group_size_z
      - .offset:         114
        .size:           2
        .value_kind:     hidden_remainder_x
      - .offset:         116
        .size:           2
        .value_kind:     hidden_remainder_y
      - .offset:         118
        .size:           2
        .value_kind:     hidden_remainder_z
      - .offset:         136
        .size:           8
        .value_kind:     hidden_global_offset_x
      - .offset:         144
        .size:           8
        .value_kind:     hidden_global_offset_y
      - .offset:         152
        .size:           8
        .value_kind:     hidden_global_offset_z
      - .offset:         160
        .size:           2
        .value_kind:     hidden_grid_dims
      - .offset:         176
        .size:           8
        .value_kind:     hidden_hostcall_buffer
    .group_segment_fixed_size: 0
    .kernarg_segment_align: 8
    .kernarg_segment_size: 352
    .language:       OpenCL C
    .language_version:
      - 2
      - 0
    .max_flat_workgroup_size: 128
    .name:           _ZL9mul_mat_fI7__half2Li32ELi3ELi2ELb0EEvPKT_PKfPKiPfiiiiiiiiiiiiiiii
    .private_segment_fixed_size: 16
    .sgpr_count:     40
    .sgpr_spill_count: 0
    .symbol:         _ZL9mul_mat_fI7__half2Li32ELi3ELi2ELb0EEvPKT_PKfPKiPfiiiiiiiiiiiiiiii.kd
    .uniform_work_group_size: 1
    .uses_dynamic_stack: false
    .vgpr_count:     38
    .vgpr_spill_count: 0
    .wavefront_size: 64
  - .agpr_count:     0
    .args:
      - .actual_access:  read_only
        .address_space:  global
        .offset:         0
        .size:           8
        .value_kind:     global_buffer
      - .actual_access:  read_only
        .address_space:  global
        .offset:         8
        .size:           8
        .value_kind:     global_buffer
      - .actual_access:  read_only
        .address_space:  global
        .offset:         16
        .size:           8
        .value_kind:     global_buffer
      - .actual_access:  read_only
        .address_space:  global
        .offset:         24
        .size:           8
        .value_kind:     global_buffer
      - .actual_access:  read_only
        .address_space:  global
        .offset:         32
        .size:           8
        .value_kind:     global_buffer
      - .actual_access:  read_only
        .address_space:  global
        .offset:         40
        .size:           8
        .value_kind:     global_buffer
      - .offset:         48
        .size:           4
        .value_kind:     by_value
      - .offset:         52
        .size:           4
        .value_kind:     by_value
      - .offset:         56
        .size:           4
        .value_kind:     by_value
      - .offset:         60
        .size:           4
        .value_kind:     by_value
      - .offset:         64
        .size:           4
        .value_kind:     by_value
      - .offset:         68
        .size:           4
        .value_kind:     by_value
      - .offset:         72
        .size:           4
        .value_kind:     by_value
      - .offset:         76
        .size:           4
        .value_kind:     by_value
      - .offset:         80
        .size:           4
        .value_kind:     by_value
      - .offset:         84
        .size:           4
        .value_kind:     by_value
      - .offset:         88
        .size:           4
        .value_kind:     by_value
      - .offset:         92
        .size:           4
        .value_kind:     by_value
      - .offset:         96
        .size:           4
        .value_kind:     by_value
      - .offset:         100
        .size:           4
        .value_kind:     by_value
      - .offset:         104
        .size:           12
        .value_kind:     by_value
      - .offset:         116
        .size:           12
        .value_kind:     by_value
      - .offset:         128
        .size:           4
        .value_kind:     hidden_block_count_x
      - .offset:         132
        .size:           4
        .value_kind:     hidden_block_count_y
      - .offset:         136
        .size:           4
        .value_kind:     hidden_block_count_z
      - .offset:         140
        .size:           2
        .value_kind:     hidden_group_size_x
      - .offset:         142
        .size:           2
        .value_kind:     hidden_group_size_y
      - .offset:         144
        .size:           2
        .value_kind:     hidden_group_size_z
      - .offset:         146
        .size:           2
        .value_kind:     hidden_remainder_x
      - .offset:         148
        .size:           2
        .value_kind:     hidden_remainder_y
      - .offset:         150
        .size:           2
        .value_kind:     hidden_remainder_z
      - .offset:         168
        .size:           8
        .value_kind:     hidden_global_offset_x
      - .offset:         176
        .size:           8
        .value_kind:     hidden_global_offset_y
      - .offset:         184
        .size:           8
        .value_kind:     hidden_global_offset_z
      - .offset:         192
        .size:           2
        .value_kind:     hidden_grid_dims
      - .offset:         208
        .size:           8
        .value_kind:     hidden_hostcall_buffer
    .group_segment_fixed_size: 0
    .kernarg_segment_align: 8
    .kernarg_segment_size: 384
    .language:       OpenCL C
    .language_version:
      - 2
      - 0
    .max_flat_workgroup_size: 192
    .name:           _ZL13mul_mat_f_idsI7__half2Li32ELi3ELi3EEvPKT_PKfPKiS7_S7_Pfiiiiiiiiiiiiii15HIP_vector_typeIjLj3EESA_
    .private_segment_fixed_size: 16
    .sgpr_count:     40
    .sgpr_spill_count: 0
    .symbol:         _ZL13mul_mat_f_idsI7__half2Li32ELi3ELi3EEvPKT_PKfPKiS7_S7_Pfiiiiiiiiiiiiii15HIP_vector_typeIjLj3EESA_.kd
    .uniform_work_group_size: 1
    .uses_dynamic_stack: false
    .vgpr_count:     38
    .vgpr_spill_count: 0
    .wavefront_size: 64
  - .agpr_count:     0
    .args:
      - .actual_access:  read_only
        .address_space:  global
        .offset:         0
        .size:           8
        .value_kind:     global_buffer
      - .actual_access:  read_only
        .address_space:  global
        .offset:         8
        .size:           8
        .value_kind:     global_buffer
      - .actual_access:  read_only
        .address_space:  global
        .offset:         16
        .size:           8
        .value_kind:     global_buffer
      - .actual_access:  read_only
        .address_space:  global
        .offset:         24
        .size:           8
        .value_kind:     global_buffer
      - .offset:         32
        .size:           4
        .value_kind:     by_value
      - .offset:         36
        .size:           4
        .value_kind:     by_value
      - .offset:         40
        .size:           4
        .value_kind:     by_value
      - .offset:         44
        .size:           4
        .value_kind:     by_value
      - .offset:         48
        .size:           4
        .value_kind:     by_value
      - .offset:         52
        .size:           4
        .value_kind:     by_value
      - .offset:         56
        .size:           4
        .value_kind:     by_value
      - .offset:         60
        .size:           4
        .value_kind:     by_value
      - .offset:         64
        .size:           4
        .value_kind:     by_value
      - .offset:         68
        .size:           4
        .value_kind:     by_value
      - .offset:         72
        .size:           4
        .value_kind:     by_value
      - .offset:         76
        .size:           4
        .value_kind:     by_value
      - .offset:         80
        .size:           4
        .value_kind:     by_value
      - .offset:         84
        .size:           4
        .value_kind:     by_value
      - .offset:         88
        .size:           4
        .value_kind:     by_value
      - .offset:         92
        .size:           4
        .value_kind:     by_value
      - .offset:         96
        .size:           4
        .value_kind:     hidden_block_count_x
      - .offset:         100
        .size:           4
        .value_kind:     hidden_block_count_y
      - .offset:         104
        .size:           4
        .value_kind:     hidden_block_count_z
      - .offset:         108
        .size:           2
        .value_kind:     hidden_group_size_x
      - .offset:         110
        .size:           2
        .value_kind:     hidden_group_size_y
      - .offset:         112
        .size:           2
        .value_kind:     hidden_group_size_z
      - .offset:         114
        .size:           2
        .value_kind:     hidden_remainder_x
      - .offset:         116
        .size:           2
        .value_kind:     hidden_remainder_y
      - .offset:         118
        .size:           2
        .value_kind:     hidden_remainder_z
      - .offset:         136
        .size:           8
        .value_kind:     hidden_global_offset_x
      - .offset:         144
        .size:           8
        .value_kind:     hidden_global_offset_y
      - .offset:         152
        .size:           8
        .value_kind:     hidden_global_offset_z
      - .offset:         160
        .size:           2
        .value_kind:     hidden_grid_dims
      - .offset:         176
        .size:           8
        .value_kind:     hidden_hostcall_buffer
    .group_segment_fixed_size: 0
    .kernarg_segment_align: 8
    .kernarg_segment_size: 352
    .language:       OpenCL C
    .language_version:
      - 2
      - 0
    .max_flat_workgroup_size: 192
    .name:           _ZL9mul_mat_fI7__half2Li32ELi3ELi3ELb1EEvPKT_PKfPKiPfiiiiiiiiiiiiiiii
    .private_segment_fixed_size: 16
    .sgpr_count:     40
    .sgpr_spill_count: 0
    .symbol:         _ZL9mul_mat_fI7__half2Li32ELi3ELi3ELb1EEvPKT_PKfPKiPfiiiiiiiiiiiiiiii.kd
    .uniform_work_group_size: 1
    .uses_dynamic_stack: false
    .vgpr_count:     38
    .vgpr_spill_count: 0
    .wavefront_size: 64
  - .agpr_count:     0
    .args:
      - .actual_access:  read_only
        .address_space:  global
        .offset:         0
        .size:           8
        .value_kind:     global_buffer
      - .actual_access:  read_only
        .address_space:  global
        .offset:         8
        .size:           8
        .value_kind:     global_buffer
      - .actual_access:  read_only
        .address_space:  global
        .offset:         16
        .size:           8
        .value_kind:     global_buffer
      - .actual_access:  read_only
        .address_space:  global
        .offset:         24
        .size:           8
        .value_kind:     global_buffer
      - .offset:         32
        .size:           4
        .value_kind:     by_value
      - .offset:         36
        .size:           4
        .value_kind:     by_value
      - .offset:         40
        .size:           4
        .value_kind:     by_value
      - .offset:         44
        .size:           4
        .value_kind:     by_value
      - .offset:         48
        .size:           4
        .value_kind:     by_value
      - .offset:         52
        .size:           4
        .value_kind:     by_value
      - .offset:         56
        .size:           4
        .value_kind:     by_value
      - .offset:         60
        .size:           4
        .value_kind:     by_value
      - .offset:         64
        .size:           4
        .value_kind:     by_value
      - .offset:         68
        .size:           4
        .value_kind:     by_value
      - .offset:         72
        .size:           4
        .value_kind:     by_value
      - .offset:         76
        .size:           4
        .value_kind:     by_value
      - .offset:         80
        .size:           4
        .value_kind:     by_value
      - .offset:         84
        .size:           4
        .value_kind:     by_value
      - .offset:         88
        .size:           4
        .value_kind:     by_value
      - .offset:         92
        .size:           4
        .value_kind:     by_value
      - .offset:         96
        .size:           4
        .value_kind:     hidden_block_count_x
      - .offset:         100
        .size:           4
        .value_kind:     hidden_block_count_y
      - .offset:         104
        .size:           4
        .value_kind:     hidden_block_count_z
      - .offset:         108
        .size:           2
        .value_kind:     hidden_group_size_x
      - .offset:         110
        .size:           2
        .value_kind:     hidden_group_size_y
      - .offset:         112
        .size:           2
        .value_kind:     hidden_group_size_z
      - .offset:         114
        .size:           2
        .value_kind:     hidden_remainder_x
      - .offset:         116
        .size:           2
        .value_kind:     hidden_remainder_y
      - .offset:         118
        .size:           2
        .value_kind:     hidden_remainder_z
      - .offset:         136
        .size:           8
        .value_kind:     hidden_global_offset_x
      - .offset:         144
        .size:           8
        .value_kind:     hidden_global_offset_y
      - .offset:         152
        .size:           8
        .value_kind:     hidden_global_offset_z
      - .offset:         160
        .size:           2
        .value_kind:     hidden_grid_dims
      - .offset:         176
        .size:           8
        .value_kind:     hidden_hostcall_buffer
    .group_segment_fixed_size: 0
    .kernarg_segment_align: 8
    .kernarg_segment_size: 352
    .language:       OpenCL C
    .language_version:
      - 2
      - 0
    .max_flat_workgroup_size: 192
    .name:           _ZL9mul_mat_fI7__half2Li32ELi3ELi3ELb0EEvPKT_PKfPKiPfiiiiiiiiiiiiiiii
    .private_segment_fixed_size: 16
    .sgpr_count:     40
    .sgpr_spill_count: 0
    .symbol:         _ZL9mul_mat_fI7__half2Li32ELi3ELi3ELb0EEvPKT_PKfPKiPfiiiiiiiiiiiiiiii.kd
    .uniform_work_group_size: 1
    .uses_dynamic_stack: false
    .vgpr_count:     38
    .vgpr_spill_count: 0
    .wavefront_size: 64
  - .agpr_count:     0
    .args:
      - .actual_access:  read_only
        .address_space:  global
        .offset:         0
        .size:           8
        .value_kind:     global_buffer
      - .actual_access:  read_only
        .address_space:  global
        .offset:         8
        .size:           8
        .value_kind:     global_buffer
      - .actual_access:  read_only
        .address_space:  global
        .offset:         16
        .size:           8
        .value_kind:     global_buffer
      - .actual_access:  read_only
        .address_space:  global
        .offset:         24
        .size:           8
        .value_kind:     global_buffer
      - .actual_access:  read_only
        .address_space:  global
        .offset:         32
        .size:           8
        .value_kind:     global_buffer
      - .actual_access:  read_only
        .address_space:  global
        .offset:         40
        .size:           8
        .value_kind:     global_buffer
      - .offset:         48
        .size:           4
        .value_kind:     by_value
      - .offset:         52
        .size:           4
        .value_kind:     by_value
      - .offset:         56
        .size:           4
        .value_kind:     by_value
      - .offset:         60
        .size:           4
        .value_kind:     by_value
      - .offset:         64
        .size:           4
        .value_kind:     by_value
      - .offset:         68
        .size:           4
        .value_kind:     by_value
      - .offset:         72
        .size:           4
        .value_kind:     by_value
      - .offset:         76
        .size:           4
        .value_kind:     by_value
      - .offset:         80
        .size:           4
        .value_kind:     by_value
      - .offset:         84
        .size:           4
        .value_kind:     by_value
      - .offset:         88
        .size:           4
        .value_kind:     by_value
      - .offset:         92
        .size:           4
        .value_kind:     by_value
      - .offset:         96
        .size:           4
        .value_kind:     by_value
      - .offset:         100
        .size:           4
        .value_kind:     by_value
      - .offset:         104
        .size:           12
        .value_kind:     by_value
      - .offset:         116
        .size:           12
        .value_kind:     by_value
      - .offset:         128
        .size:           4
        .value_kind:     hidden_block_count_x
      - .offset:         132
        .size:           4
        .value_kind:     hidden_block_count_y
      - .offset:         136
        .size:           4
        .value_kind:     hidden_block_count_z
      - .offset:         140
        .size:           2
        .value_kind:     hidden_group_size_x
      - .offset:         142
        .size:           2
        .value_kind:     hidden_group_size_y
      - .offset:         144
        .size:           2
        .value_kind:     hidden_group_size_z
      - .offset:         146
        .size:           2
        .value_kind:     hidden_remainder_x
      - .offset:         148
        .size:           2
        .value_kind:     hidden_remainder_y
      - .offset:         150
        .size:           2
        .value_kind:     hidden_remainder_z
      - .offset:         168
        .size:           8
        .value_kind:     hidden_global_offset_x
      - .offset:         176
        .size:           8
        .value_kind:     hidden_global_offset_y
      - .offset:         184
        .size:           8
        .value_kind:     hidden_global_offset_z
      - .offset:         192
        .size:           2
        .value_kind:     hidden_grid_dims
      - .offset:         208
        .size:           8
        .value_kind:     hidden_hostcall_buffer
    .group_segment_fixed_size: 0
    .kernarg_segment_align: 8
    .kernarg_segment_size: 384
    .language:       OpenCL C
    .language_version:
      - 2
      - 0
    .max_flat_workgroup_size: 256
    .name:           _ZL13mul_mat_f_idsI7__half2Li32ELi3ELi4EEvPKT_PKfPKiS7_S7_Pfiiiiiiiiiiiiii15HIP_vector_typeIjLj3EESA_
    .private_segment_fixed_size: 16
    .sgpr_count:     40
    .sgpr_spill_count: 0
    .symbol:         _ZL13mul_mat_f_idsI7__half2Li32ELi3ELi4EEvPKT_PKfPKiS7_S7_Pfiiiiiiiiiiiiii15HIP_vector_typeIjLj3EESA_.kd
    .uniform_work_group_size: 1
    .uses_dynamic_stack: false
    .vgpr_count:     38
    .vgpr_spill_count: 0
    .wavefront_size: 64
  - .agpr_count:     0
    .args:
      - .actual_access:  read_only
        .address_space:  global
        .offset:         0
        .size:           8
        .value_kind:     global_buffer
      - .actual_access:  read_only
        .address_space:  global
        .offset:         8
        .size:           8
        .value_kind:     global_buffer
      - .actual_access:  read_only
        .address_space:  global
        .offset:         16
        .size:           8
        .value_kind:     global_buffer
      - .actual_access:  read_only
        .address_space:  global
        .offset:         24
        .size:           8
        .value_kind:     global_buffer
      - .offset:         32
        .size:           4
        .value_kind:     by_value
      - .offset:         36
        .size:           4
        .value_kind:     by_value
      - .offset:         40
        .size:           4
        .value_kind:     by_value
      - .offset:         44
        .size:           4
        .value_kind:     by_value
      - .offset:         48
        .size:           4
        .value_kind:     by_value
      - .offset:         52
        .size:           4
        .value_kind:     by_value
      - .offset:         56
        .size:           4
        .value_kind:     by_value
      - .offset:         60
        .size:           4
        .value_kind:     by_value
      - .offset:         64
        .size:           4
        .value_kind:     by_value
      - .offset:         68
        .size:           4
        .value_kind:     by_value
      - .offset:         72
        .size:           4
        .value_kind:     by_value
      - .offset:         76
        .size:           4
        .value_kind:     by_value
      - .offset:         80
        .size:           4
        .value_kind:     by_value
      - .offset:         84
        .size:           4
        .value_kind:     by_value
      - .offset:         88
        .size:           4
        .value_kind:     by_value
      - .offset:         92
        .size:           4
        .value_kind:     by_value
      - .offset:         96
        .size:           4
        .value_kind:     hidden_block_count_x
      - .offset:         100
        .size:           4
        .value_kind:     hidden_block_count_y
      - .offset:         104
        .size:           4
        .value_kind:     hidden_block_count_z
      - .offset:         108
        .size:           2
        .value_kind:     hidden_group_size_x
      - .offset:         110
        .size:           2
        .value_kind:     hidden_group_size_y
      - .offset:         112
        .size:           2
        .value_kind:     hidden_group_size_z
      - .offset:         114
        .size:           2
        .value_kind:     hidden_remainder_x
      - .offset:         116
        .size:           2
        .value_kind:     hidden_remainder_y
      - .offset:         118
        .size:           2
        .value_kind:     hidden_remainder_z
      - .offset:         136
        .size:           8
        .value_kind:     hidden_global_offset_x
      - .offset:         144
        .size:           8
        .value_kind:     hidden_global_offset_y
      - .offset:         152
        .size:           8
        .value_kind:     hidden_global_offset_z
      - .offset:         160
        .size:           2
        .value_kind:     hidden_grid_dims
      - .offset:         176
        .size:           8
        .value_kind:     hidden_hostcall_buffer
    .group_segment_fixed_size: 0
    .kernarg_segment_align: 8
    .kernarg_segment_size: 352
    .language:       OpenCL C
    .language_version:
      - 2
      - 0
    .max_flat_workgroup_size: 256
    .name:           _ZL9mul_mat_fI7__half2Li32ELi3ELi4ELb1EEvPKT_PKfPKiPfiiiiiiiiiiiiiiii
    .private_segment_fixed_size: 16
    .sgpr_count:     40
    .sgpr_spill_count: 0
    .symbol:         _ZL9mul_mat_fI7__half2Li32ELi3ELi4ELb1EEvPKT_PKfPKiPfiiiiiiiiiiiiiiii.kd
    .uniform_work_group_size: 1
    .uses_dynamic_stack: false
    .vgpr_count:     38
    .vgpr_spill_count: 0
    .wavefront_size: 64
  - .agpr_count:     0
    .args:
      - .actual_access:  read_only
        .address_space:  global
        .offset:         0
        .size:           8
        .value_kind:     global_buffer
      - .actual_access:  read_only
        .address_space:  global
        .offset:         8
        .size:           8
        .value_kind:     global_buffer
      - .actual_access:  read_only
        .address_space:  global
        .offset:         16
        .size:           8
        .value_kind:     global_buffer
      - .actual_access:  read_only
        .address_space:  global
        .offset:         24
        .size:           8
        .value_kind:     global_buffer
      - .offset:         32
        .size:           4
        .value_kind:     by_value
      - .offset:         36
        .size:           4
        .value_kind:     by_value
      - .offset:         40
        .size:           4
        .value_kind:     by_value
      - .offset:         44
        .size:           4
        .value_kind:     by_value
      - .offset:         48
        .size:           4
        .value_kind:     by_value
      - .offset:         52
        .size:           4
        .value_kind:     by_value
      - .offset:         56
        .size:           4
        .value_kind:     by_value
      - .offset:         60
        .size:           4
        .value_kind:     by_value
      - .offset:         64
        .size:           4
        .value_kind:     by_value
      - .offset:         68
        .size:           4
        .value_kind:     by_value
      - .offset:         72
        .size:           4
        .value_kind:     by_value
      - .offset:         76
        .size:           4
        .value_kind:     by_value
      - .offset:         80
        .size:           4
        .value_kind:     by_value
      - .offset:         84
        .size:           4
        .value_kind:     by_value
      - .offset:         88
        .size:           4
        .value_kind:     by_value
      - .offset:         92
        .size:           4
        .value_kind:     by_value
      - .offset:         96
        .size:           4
        .value_kind:     hidden_block_count_x
      - .offset:         100
        .size:           4
        .value_kind:     hidden_block_count_y
      - .offset:         104
        .size:           4
        .value_kind:     hidden_block_count_z
      - .offset:         108
        .size:           2
        .value_kind:     hidden_group_size_x
      - .offset:         110
        .size:           2
        .value_kind:     hidden_group_size_y
      - .offset:         112
        .size:           2
        .value_kind:     hidden_group_size_z
      - .offset:         114
        .size:           2
        .value_kind:     hidden_remainder_x
      - .offset:         116
        .size:           2
        .value_kind:     hidden_remainder_y
      - .offset:         118
        .size:           2
        .value_kind:     hidden_remainder_z
      - .offset:         136
        .size:           8
        .value_kind:     hidden_global_offset_x
      - .offset:         144
        .size:           8
        .value_kind:     hidden_global_offset_y
      - .offset:         152
        .size:           8
        .value_kind:     hidden_global_offset_z
      - .offset:         160
        .size:           2
        .value_kind:     hidden_grid_dims
      - .offset:         176
        .size:           8
        .value_kind:     hidden_hostcall_buffer
    .group_segment_fixed_size: 0
    .kernarg_segment_align: 8
    .kernarg_segment_size: 352
    .language:       OpenCL C
    .language_version:
      - 2
      - 0
    .max_flat_workgroup_size: 256
    .name:           _ZL9mul_mat_fI7__half2Li32ELi3ELi4ELb0EEvPKT_PKfPKiPfiiiiiiiiiiiiiiii
    .private_segment_fixed_size: 16
    .sgpr_count:     40
    .sgpr_spill_count: 0
    .symbol:         _ZL9mul_mat_fI7__half2Li32ELi3ELi4ELb0EEvPKT_PKfPKiPfiiiiiiiiiiiiiiii.kd
    .uniform_work_group_size: 1
    .uses_dynamic_stack: false
    .vgpr_count:     38
    .vgpr_spill_count: 0
    .wavefront_size: 64
  - .agpr_count:     0
    .args:
      - .actual_access:  read_only
        .address_space:  global
        .offset:         0
        .size:           8
        .value_kind:     global_buffer
      - .actual_access:  read_only
        .address_space:  global
        .offset:         8
        .size:           8
        .value_kind:     global_buffer
      - .actual_access:  read_only
        .address_space:  global
        .offset:         16
        .size:           8
        .value_kind:     global_buffer
      - .actual_access:  read_only
        .address_space:  global
        .offset:         24
        .size:           8
        .value_kind:     global_buffer
      - .actual_access:  read_only
        .address_space:  global
        .offset:         32
        .size:           8
        .value_kind:     global_buffer
      - .actual_access:  read_only
        .address_space:  global
        .offset:         40
        .size:           8
        .value_kind:     global_buffer
      - .offset:         48
        .size:           4
        .value_kind:     by_value
      - .offset:         52
        .size:           4
        .value_kind:     by_value
      - .offset:         56
        .size:           4
        .value_kind:     by_value
      - .offset:         60
        .size:           4
        .value_kind:     by_value
      - .offset:         64
        .size:           4
        .value_kind:     by_value
      - .offset:         68
        .size:           4
        .value_kind:     by_value
      - .offset:         72
        .size:           4
        .value_kind:     by_value
      - .offset:         76
        .size:           4
        .value_kind:     by_value
      - .offset:         80
        .size:           4
        .value_kind:     by_value
      - .offset:         84
        .size:           4
        .value_kind:     by_value
      - .offset:         88
        .size:           4
        .value_kind:     by_value
      - .offset:         92
        .size:           4
        .value_kind:     by_value
      - .offset:         96
        .size:           4
        .value_kind:     by_value
      - .offset:         100
        .size:           4
        .value_kind:     by_value
      - .offset:         104
        .size:           12
        .value_kind:     by_value
      - .offset:         116
        .size:           12
        .value_kind:     by_value
      - .offset:         128
        .size:           4
        .value_kind:     hidden_block_count_x
      - .offset:         132
        .size:           4
        .value_kind:     hidden_block_count_y
      - .offset:         136
        .size:           4
        .value_kind:     hidden_block_count_z
      - .offset:         140
        .size:           2
        .value_kind:     hidden_group_size_x
      - .offset:         142
        .size:           2
        .value_kind:     hidden_group_size_y
      - .offset:         144
        .size:           2
        .value_kind:     hidden_group_size_z
      - .offset:         146
        .size:           2
        .value_kind:     hidden_remainder_x
      - .offset:         148
        .size:           2
        .value_kind:     hidden_remainder_y
      - .offset:         150
        .size:           2
        .value_kind:     hidden_remainder_z
      - .offset:         168
        .size:           8
        .value_kind:     hidden_global_offset_x
      - .offset:         176
        .size:           8
        .value_kind:     hidden_global_offset_y
      - .offset:         184
        .size:           8
        .value_kind:     hidden_global_offset_z
      - .offset:         192
        .size:           2
        .value_kind:     hidden_grid_dims
      - .offset:         208
        .size:           8
        .value_kind:     hidden_hostcall_buffer
    .group_segment_fixed_size: 0
    .kernarg_segment_align: 8
    .kernarg_segment_size: 384
    .language:       OpenCL C
    .language_version:
      - 2
      - 0
    .max_flat_workgroup_size: 320
    .name:           _ZL13mul_mat_f_idsI7__half2Li32ELi3ELi5EEvPKT_PKfPKiS7_S7_Pfiiiiiiiiiiiiii15HIP_vector_typeIjLj3EESA_
    .private_segment_fixed_size: 16
    .sgpr_count:     40
    .sgpr_spill_count: 0
    .symbol:         _ZL13mul_mat_f_idsI7__half2Li32ELi3ELi5EEvPKT_PKfPKiS7_S7_Pfiiiiiiiiiiiiii15HIP_vector_typeIjLj3EESA_.kd
    .uniform_work_group_size: 1
    .uses_dynamic_stack: false
    .vgpr_count:     38
    .vgpr_spill_count: 0
    .wavefront_size: 64
  - .agpr_count:     0
    .args:
      - .actual_access:  read_only
        .address_space:  global
        .offset:         0
        .size:           8
        .value_kind:     global_buffer
      - .actual_access:  read_only
        .address_space:  global
        .offset:         8
        .size:           8
        .value_kind:     global_buffer
      - .actual_access:  read_only
        .address_space:  global
        .offset:         16
        .size:           8
        .value_kind:     global_buffer
      - .actual_access:  read_only
        .address_space:  global
        .offset:         24
        .size:           8
        .value_kind:     global_buffer
      - .offset:         32
        .size:           4
        .value_kind:     by_value
      - .offset:         36
        .size:           4
        .value_kind:     by_value
      - .offset:         40
        .size:           4
        .value_kind:     by_value
      - .offset:         44
        .size:           4
        .value_kind:     by_value
      - .offset:         48
        .size:           4
        .value_kind:     by_value
      - .offset:         52
        .size:           4
        .value_kind:     by_value
      - .offset:         56
        .size:           4
        .value_kind:     by_value
      - .offset:         60
        .size:           4
        .value_kind:     by_value
      - .offset:         64
        .size:           4
        .value_kind:     by_value
      - .offset:         68
        .size:           4
        .value_kind:     by_value
      - .offset:         72
        .size:           4
        .value_kind:     by_value
      - .offset:         76
        .size:           4
        .value_kind:     by_value
      - .offset:         80
        .size:           4
        .value_kind:     by_value
      - .offset:         84
        .size:           4
        .value_kind:     by_value
      - .offset:         88
        .size:           4
        .value_kind:     by_value
      - .offset:         92
        .size:           4
        .value_kind:     by_value
      - .offset:         96
        .size:           4
        .value_kind:     hidden_block_count_x
      - .offset:         100
        .size:           4
        .value_kind:     hidden_block_count_y
      - .offset:         104
        .size:           4
        .value_kind:     hidden_block_count_z
      - .offset:         108
        .size:           2
        .value_kind:     hidden_group_size_x
      - .offset:         110
        .size:           2
        .value_kind:     hidden_group_size_y
      - .offset:         112
        .size:           2
        .value_kind:     hidden_group_size_z
      - .offset:         114
        .size:           2
        .value_kind:     hidden_remainder_x
      - .offset:         116
        .size:           2
        .value_kind:     hidden_remainder_y
      - .offset:         118
        .size:           2
        .value_kind:     hidden_remainder_z
      - .offset:         136
        .size:           8
        .value_kind:     hidden_global_offset_x
      - .offset:         144
        .size:           8
        .value_kind:     hidden_global_offset_y
      - .offset:         152
        .size:           8
        .value_kind:     hidden_global_offset_z
      - .offset:         160
        .size:           2
        .value_kind:     hidden_grid_dims
      - .offset:         176
        .size:           8
        .value_kind:     hidden_hostcall_buffer
    .group_segment_fixed_size: 0
    .kernarg_segment_align: 8
    .kernarg_segment_size: 352
    .language:       OpenCL C
    .language_version:
      - 2
      - 0
    .max_flat_workgroup_size: 320
    .name:           _ZL9mul_mat_fI7__half2Li32ELi3ELi5ELb1EEvPKT_PKfPKiPfiiiiiiiiiiiiiiii
    .private_segment_fixed_size: 16
    .sgpr_count:     40
    .sgpr_spill_count: 0
    .symbol:         _ZL9mul_mat_fI7__half2Li32ELi3ELi5ELb1EEvPKT_PKfPKiPfiiiiiiiiiiiiiiii.kd
    .uniform_work_group_size: 1
    .uses_dynamic_stack: false
    .vgpr_count:     38
    .vgpr_spill_count: 0
    .wavefront_size: 64
  - .agpr_count:     0
    .args:
      - .actual_access:  read_only
        .address_space:  global
        .offset:         0
        .size:           8
        .value_kind:     global_buffer
      - .actual_access:  read_only
        .address_space:  global
        .offset:         8
        .size:           8
        .value_kind:     global_buffer
      - .actual_access:  read_only
        .address_space:  global
        .offset:         16
        .size:           8
        .value_kind:     global_buffer
      - .actual_access:  read_only
        .address_space:  global
        .offset:         24
        .size:           8
        .value_kind:     global_buffer
      - .offset:         32
        .size:           4
        .value_kind:     by_value
      - .offset:         36
        .size:           4
        .value_kind:     by_value
      - .offset:         40
        .size:           4
        .value_kind:     by_value
      - .offset:         44
        .size:           4
        .value_kind:     by_value
      - .offset:         48
        .size:           4
        .value_kind:     by_value
      - .offset:         52
        .size:           4
        .value_kind:     by_value
      - .offset:         56
        .size:           4
        .value_kind:     by_value
      - .offset:         60
        .size:           4
        .value_kind:     by_value
      - .offset:         64
        .size:           4
        .value_kind:     by_value
      - .offset:         68
        .size:           4
        .value_kind:     by_value
      - .offset:         72
        .size:           4
        .value_kind:     by_value
      - .offset:         76
        .size:           4
        .value_kind:     by_value
      - .offset:         80
        .size:           4
        .value_kind:     by_value
      - .offset:         84
        .size:           4
        .value_kind:     by_value
      - .offset:         88
        .size:           4
        .value_kind:     by_value
      - .offset:         92
        .size:           4
        .value_kind:     by_value
      - .offset:         96
        .size:           4
        .value_kind:     hidden_block_count_x
      - .offset:         100
        .size:           4
        .value_kind:     hidden_block_count_y
      - .offset:         104
        .size:           4
        .value_kind:     hidden_block_count_z
      - .offset:         108
        .size:           2
        .value_kind:     hidden_group_size_x
      - .offset:         110
        .size:           2
        .value_kind:     hidden_group_size_y
      - .offset:         112
        .size:           2
        .value_kind:     hidden_group_size_z
      - .offset:         114
        .size:           2
        .value_kind:     hidden_remainder_x
      - .offset:         116
        .size:           2
        .value_kind:     hidden_remainder_y
      - .offset:         118
        .size:           2
        .value_kind:     hidden_remainder_z
      - .offset:         136
        .size:           8
        .value_kind:     hidden_global_offset_x
      - .offset:         144
        .size:           8
        .value_kind:     hidden_global_offset_y
      - .offset:         152
        .size:           8
        .value_kind:     hidden_global_offset_z
      - .offset:         160
        .size:           2
        .value_kind:     hidden_grid_dims
      - .offset:         176
        .size:           8
        .value_kind:     hidden_hostcall_buffer
    .group_segment_fixed_size: 0
    .kernarg_segment_align: 8
    .kernarg_segment_size: 352
    .language:       OpenCL C
    .language_version:
      - 2
      - 0
    .max_flat_workgroup_size: 320
    .name:           _ZL9mul_mat_fI7__half2Li32ELi3ELi5ELb0EEvPKT_PKfPKiPfiiiiiiiiiiiiiiii
    .private_segment_fixed_size: 16
    .sgpr_count:     40
    .sgpr_spill_count: 0
    .symbol:         _ZL9mul_mat_fI7__half2Li32ELi3ELi5ELb0EEvPKT_PKfPKiPfiiiiiiiiiiiiiiii.kd
    .uniform_work_group_size: 1
    .uses_dynamic_stack: false
    .vgpr_count:     38
    .vgpr_spill_count: 0
    .wavefront_size: 64
  - .agpr_count:     0
    .args:
      - .actual_access:  read_only
        .address_space:  global
        .offset:         0
        .size:           8
        .value_kind:     global_buffer
      - .actual_access:  read_only
        .address_space:  global
        .offset:         8
        .size:           8
        .value_kind:     global_buffer
      - .actual_access:  read_only
        .address_space:  global
        .offset:         16
        .size:           8
        .value_kind:     global_buffer
      - .actual_access:  read_only
        .address_space:  global
        .offset:         24
        .size:           8
        .value_kind:     global_buffer
      - .actual_access:  read_only
        .address_space:  global
        .offset:         32
        .size:           8
        .value_kind:     global_buffer
      - .actual_access:  read_only
        .address_space:  global
        .offset:         40
        .size:           8
        .value_kind:     global_buffer
      - .offset:         48
        .size:           4
        .value_kind:     by_value
      - .offset:         52
        .size:           4
        .value_kind:     by_value
      - .offset:         56
        .size:           4
        .value_kind:     by_value
      - .offset:         60
        .size:           4
        .value_kind:     by_value
      - .offset:         64
        .size:           4
        .value_kind:     by_value
      - .offset:         68
        .size:           4
        .value_kind:     by_value
      - .offset:         72
        .size:           4
        .value_kind:     by_value
      - .offset:         76
        .size:           4
        .value_kind:     by_value
      - .offset:         80
        .size:           4
        .value_kind:     by_value
      - .offset:         84
        .size:           4
        .value_kind:     by_value
      - .offset:         88
        .size:           4
        .value_kind:     by_value
      - .offset:         92
        .size:           4
        .value_kind:     by_value
      - .offset:         96
        .size:           4
        .value_kind:     by_value
      - .offset:         100
        .size:           4
        .value_kind:     by_value
      - .offset:         104
        .size:           12
        .value_kind:     by_value
      - .offset:         116
        .size:           12
        .value_kind:     by_value
      - .offset:         128
        .size:           4
        .value_kind:     hidden_block_count_x
      - .offset:         132
        .size:           4
        .value_kind:     hidden_block_count_y
      - .offset:         136
        .size:           4
        .value_kind:     hidden_block_count_z
      - .offset:         140
        .size:           2
        .value_kind:     hidden_group_size_x
      - .offset:         142
        .size:           2
        .value_kind:     hidden_group_size_y
      - .offset:         144
        .size:           2
        .value_kind:     hidden_group_size_z
      - .offset:         146
        .size:           2
        .value_kind:     hidden_remainder_x
      - .offset:         148
        .size:           2
        .value_kind:     hidden_remainder_y
      - .offset:         150
        .size:           2
        .value_kind:     hidden_remainder_z
      - .offset:         168
        .size:           8
        .value_kind:     hidden_global_offset_x
      - .offset:         176
        .size:           8
        .value_kind:     hidden_global_offset_y
      - .offset:         184
        .size:           8
        .value_kind:     hidden_global_offset_z
      - .offset:         192
        .size:           2
        .value_kind:     hidden_grid_dims
      - .offset:         208
        .size:           8
        .value_kind:     hidden_hostcall_buffer
    .group_segment_fixed_size: 0
    .kernarg_segment_align: 8
    .kernarg_segment_size: 384
    .language:       OpenCL C
    .language_version:
      - 2
      - 0
    .max_flat_workgroup_size: 384
    .name:           _ZL13mul_mat_f_idsI7__half2Li32ELi3ELi6EEvPKT_PKfPKiS7_S7_Pfiiiiiiiiiiiiii15HIP_vector_typeIjLj3EESA_
    .private_segment_fixed_size: 16
    .sgpr_count:     40
    .sgpr_spill_count: 0
    .symbol:         _ZL13mul_mat_f_idsI7__half2Li32ELi3ELi6EEvPKT_PKfPKiS7_S7_Pfiiiiiiiiiiiiii15HIP_vector_typeIjLj3EESA_.kd
    .uniform_work_group_size: 1
    .uses_dynamic_stack: false
    .vgpr_count:     38
    .vgpr_spill_count: 0
    .wavefront_size: 64
  - .agpr_count:     0
    .args:
      - .actual_access:  read_only
        .address_space:  global
        .offset:         0
        .size:           8
        .value_kind:     global_buffer
      - .actual_access:  read_only
        .address_space:  global
        .offset:         8
        .size:           8
        .value_kind:     global_buffer
      - .actual_access:  read_only
        .address_space:  global
        .offset:         16
        .size:           8
        .value_kind:     global_buffer
      - .actual_access:  read_only
        .address_space:  global
        .offset:         24
        .size:           8
        .value_kind:     global_buffer
      - .offset:         32
        .size:           4
        .value_kind:     by_value
      - .offset:         36
        .size:           4
        .value_kind:     by_value
      - .offset:         40
        .size:           4
        .value_kind:     by_value
      - .offset:         44
        .size:           4
        .value_kind:     by_value
      - .offset:         48
        .size:           4
        .value_kind:     by_value
      - .offset:         52
        .size:           4
        .value_kind:     by_value
      - .offset:         56
        .size:           4
        .value_kind:     by_value
      - .offset:         60
        .size:           4
        .value_kind:     by_value
      - .offset:         64
        .size:           4
        .value_kind:     by_value
      - .offset:         68
        .size:           4
        .value_kind:     by_value
      - .offset:         72
        .size:           4
        .value_kind:     by_value
      - .offset:         76
        .size:           4
        .value_kind:     by_value
      - .offset:         80
        .size:           4
        .value_kind:     by_value
      - .offset:         84
        .size:           4
        .value_kind:     by_value
      - .offset:         88
        .size:           4
        .value_kind:     by_value
      - .offset:         92
        .size:           4
        .value_kind:     by_value
      - .offset:         96
        .size:           4
        .value_kind:     hidden_block_count_x
      - .offset:         100
        .size:           4
        .value_kind:     hidden_block_count_y
      - .offset:         104
        .size:           4
        .value_kind:     hidden_block_count_z
      - .offset:         108
        .size:           2
        .value_kind:     hidden_group_size_x
      - .offset:         110
        .size:           2
        .value_kind:     hidden_group_size_y
      - .offset:         112
        .size:           2
        .value_kind:     hidden_group_size_z
      - .offset:         114
        .size:           2
        .value_kind:     hidden_remainder_x
      - .offset:         116
        .size:           2
        .value_kind:     hidden_remainder_y
      - .offset:         118
        .size:           2
        .value_kind:     hidden_remainder_z
      - .offset:         136
        .size:           8
        .value_kind:     hidden_global_offset_x
      - .offset:         144
        .size:           8
        .value_kind:     hidden_global_offset_y
      - .offset:         152
        .size:           8
        .value_kind:     hidden_global_offset_z
      - .offset:         160
        .size:           2
        .value_kind:     hidden_grid_dims
      - .offset:         176
        .size:           8
        .value_kind:     hidden_hostcall_buffer
    .group_segment_fixed_size: 0
    .kernarg_segment_align: 8
    .kernarg_segment_size: 352
    .language:       OpenCL C
    .language_version:
      - 2
      - 0
    .max_flat_workgroup_size: 384
    .name:           _ZL9mul_mat_fI7__half2Li32ELi3ELi6ELb1EEvPKT_PKfPKiPfiiiiiiiiiiiiiiii
    .private_segment_fixed_size: 16
    .sgpr_count:     40
    .sgpr_spill_count: 0
    .symbol:         _ZL9mul_mat_fI7__half2Li32ELi3ELi6ELb1EEvPKT_PKfPKiPfiiiiiiiiiiiiiiii.kd
    .uniform_work_group_size: 1
    .uses_dynamic_stack: false
    .vgpr_count:     38
    .vgpr_spill_count: 0
    .wavefront_size: 64
  - .agpr_count:     0
    .args:
      - .actual_access:  read_only
        .address_space:  global
        .offset:         0
        .size:           8
        .value_kind:     global_buffer
      - .actual_access:  read_only
        .address_space:  global
        .offset:         8
        .size:           8
        .value_kind:     global_buffer
      - .actual_access:  read_only
        .address_space:  global
        .offset:         16
        .size:           8
        .value_kind:     global_buffer
      - .actual_access:  read_only
        .address_space:  global
        .offset:         24
        .size:           8
        .value_kind:     global_buffer
      - .offset:         32
        .size:           4
        .value_kind:     by_value
      - .offset:         36
        .size:           4
        .value_kind:     by_value
      - .offset:         40
        .size:           4
        .value_kind:     by_value
      - .offset:         44
        .size:           4
        .value_kind:     by_value
      - .offset:         48
        .size:           4
        .value_kind:     by_value
      - .offset:         52
        .size:           4
        .value_kind:     by_value
      - .offset:         56
        .size:           4
        .value_kind:     by_value
      - .offset:         60
        .size:           4
        .value_kind:     by_value
      - .offset:         64
        .size:           4
        .value_kind:     by_value
      - .offset:         68
        .size:           4
        .value_kind:     by_value
      - .offset:         72
        .size:           4
        .value_kind:     by_value
      - .offset:         76
        .size:           4
        .value_kind:     by_value
      - .offset:         80
        .size:           4
        .value_kind:     by_value
      - .offset:         84
        .size:           4
        .value_kind:     by_value
      - .offset:         88
        .size:           4
        .value_kind:     by_value
      - .offset:         92
        .size:           4
        .value_kind:     by_value
      - .offset:         96
        .size:           4
        .value_kind:     hidden_block_count_x
      - .offset:         100
        .size:           4
        .value_kind:     hidden_block_count_y
      - .offset:         104
        .size:           4
        .value_kind:     hidden_block_count_z
      - .offset:         108
        .size:           2
        .value_kind:     hidden_group_size_x
      - .offset:         110
        .size:           2
        .value_kind:     hidden_group_size_y
      - .offset:         112
        .size:           2
        .value_kind:     hidden_group_size_z
      - .offset:         114
        .size:           2
        .value_kind:     hidden_remainder_x
      - .offset:         116
        .size:           2
        .value_kind:     hidden_remainder_y
      - .offset:         118
        .size:           2
        .value_kind:     hidden_remainder_z
      - .offset:         136
        .size:           8
        .value_kind:     hidden_global_offset_x
      - .offset:         144
        .size:           8
        .value_kind:     hidden_global_offset_y
      - .offset:         152
        .size:           8
        .value_kind:     hidden_global_offset_z
      - .offset:         160
        .size:           2
        .value_kind:     hidden_grid_dims
      - .offset:         176
        .size:           8
        .value_kind:     hidden_hostcall_buffer
    .group_segment_fixed_size: 0
    .kernarg_segment_align: 8
    .kernarg_segment_size: 352
    .language:       OpenCL C
    .language_version:
      - 2
      - 0
    .max_flat_workgroup_size: 384
    .name:           _ZL9mul_mat_fI7__half2Li32ELi3ELi6ELb0EEvPKT_PKfPKiPfiiiiiiiiiiiiiiii
    .private_segment_fixed_size: 16
    .sgpr_count:     40
    .sgpr_spill_count: 0
    .symbol:         _ZL9mul_mat_fI7__half2Li32ELi3ELi6ELb0EEvPKT_PKfPKiPfiiiiiiiiiiiiiiii.kd
    .uniform_work_group_size: 1
    .uses_dynamic_stack: false
    .vgpr_count:     38
    .vgpr_spill_count: 0
    .wavefront_size: 64
  - .agpr_count:     0
    .args:
      - .actual_access:  read_only
        .address_space:  global
        .offset:         0
        .size:           8
        .value_kind:     global_buffer
      - .actual_access:  read_only
        .address_space:  global
        .offset:         8
        .size:           8
        .value_kind:     global_buffer
      - .actual_access:  read_only
        .address_space:  global
        .offset:         16
        .size:           8
        .value_kind:     global_buffer
      - .actual_access:  read_only
        .address_space:  global
        .offset:         24
        .size:           8
        .value_kind:     global_buffer
      - .actual_access:  read_only
        .address_space:  global
        .offset:         32
        .size:           8
        .value_kind:     global_buffer
      - .actual_access:  read_only
        .address_space:  global
        .offset:         40
        .size:           8
        .value_kind:     global_buffer
      - .offset:         48
        .size:           4
        .value_kind:     by_value
      - .offset:         52
        .size:           4
        .value_kind:     by_value
      - .offset:         56
        .size:           4
        .value_kind:     by_value
      - .offset:         60
        .size:           4
        .value_kind:     by_value
      - .offset:         64
        .size:           4
        .value_kind:     by_value
      - .offset:         68
        .size:           4
        .value_kind:     by_value
      - .offset:         72
        .size:           4
        .value_kind:     by_value
      - .offset:         76
        .size:           4
        .value_kind:     by_value
      - .offset:         80
        .size:           4
        .value_kind:     by_value
      - .offset:         84
        .size:           4
        .value_kind:     by_value
      - .offset:         88
        .size:           4
        .value_kind:     by_value
      - .offset:         92
        .size:           4
        .value_kind:     by_value
      - .offset:         96
        .size:           4
        .value_kind:     by_value
      - .offset:         100
        .size:           4
        .value_kind:     by_value
      - .offset:         104
        .size:           12
        .value_kind:     by_value
      - .offset:         116
        .size:           12
        .value_kind:     by_value
      - .offset:         128
        .size:           4
        .value_kind:     hidden_block_count_x
      - .offset:         132
        .size:           4
        .value_kind:     hidden_block_count_y
      - .offset:         136
        .size:           4
        .value_kind:     hidden_block_count_z
      - .offset:         140
        .size:           2
        .value_kind:     hidden_group_size_x
      - .offset:         142
        .size:           2
        .value_kind:     hidden_group_size_y
      - .offset:         144
        .size:           2
        .value_kind:     hidden_group_size_z
      - .offset:         146
        .size:           2
        .value_kind:     hidden_remainder_x
      - .offset:         148
        .size:           2
        .value_kind:     hidden_remainder_y
      - .offset:         150
        .size:           2
        .value_kind:     hidden_remainder_z
      - .offset:         168
        .size:           8
        .value_kind:     hidden_global_offset_x
      - .offset:         176
        .size:           8
        .value_kind:     hidden_global_offset_y
      - .offset:         184
        .size:           8
        .value_kind:     hidden_global_offset_z
      - .offset:         192
        .size:           2
        .value_kind:     hidden_grid_dims
      - .offset:         208
        .size:           8
        .value_kind:     hidden_hostcall_buffer
    .group_segment_fixed_size: 0
    .kernarg_segment_align: 8
    .kernarg_segment_size: 384
    .language:       OpenCL C
    .language_version:
      - 2
      - 0
    .max_flat_workgroup_size: 448
    .name:           _ZL13mul_mat_f_idsI7__half2Li32ELi3ELi7EEvPKT_PKfPKiS7_S7_Pfiiiiiiiiiiiiii15HIP_vector_typeIjLj3EESA_
    .private_segment_fixed_size: 16
    .sgpr_count:     40
    .sgpr_spill_count: 0
    .symbol:         _ZL13mul_mat_f_idsI7__half2Li32ELi3ELi7EEvPKT_PKfPKiS7_S7_Pfiiiiiiiiiiiiii15HIP_vector_typeIjLj3EESA_.kd
    .uniform_work_group_size: 1
    .uses_dynamic_stack: false
    .vgpr_count:     38
    .vgpr_spill_count: 0
    .wavefront_size: 64
  - .agpr_count:     0
    .args:
      - .actual_access:  read_only
        .address_space:  global
        .offset:         0
        .size:           8
        .value_kind:     global_buffer
      - .actual_access:  read_only
        .address_space:  global
        .offset:         8
        .size:           8
        .value_kind:     global_buffer
      - .actual_access:  read_only
        .address_space:  global
        .offset:         16
        .size:           8
        .value_kind:     global_buffer
      - .actual_access:  read_only
        .address_space:  global
        .offset:         24
        .size:           8
        .value_kind:     global_buffer
      - .offset:         32
        .size:           4
        .value_kind:     by_value
      - .offset:         36
        .size:           4
        .value_kind:     by_value
      - .offset:         40
        .size:           4
        .value_kind:     by_value
      - .offset:         44
        .size:           4
        .value_kind:     by_value
      - .offset:         48
        .size:           4
        .value_kind:     by_value
      - .offset:         52
        .size:           4
        .value_kind:     by_value
      - .offset:         56
        .size:           4
        .value_kind:     by_value
      - .offset:         60
        .size:           4
        .value_kind:     by_value
      - .offset:         64
        .size:           4
        .value_kind:     by_value
      - .offset:         68
        .size:           4
        .value_kind:     by_value
      - .offset:         72
        .size:           4
        .value_kind:     by_value
      - .offset:         76
        .size:           4
        .value_kind:     by_value
      - .offset:         80
        .size:           4
        .value_kind:     by_value
      - .offset:         84
        .size:           4
        .value_kind:     by_value
      - .offset:         88
        .size:           4
        .value_kind:     by_value
      - .offset:         92
        .size:           4
        .value_kind:     by_value
      - .offset:         96
        .size:           4
        .value_kind:     hidden_block_count_x
      - .offset:         100
        .size:           4
        .value_kind:     hidden_block_count_y
      - .offset:         104
        .size:           4
        .value_kind:     hidden_block_count_z
      - .offset:         108
        .size:           2
        .value_kind:     hidden_group_size_x
      - .offset:         110
        .size:           2
        .value_kind:     hidden_group_size_y
      - .offset:         112
        .size:           2
        .value_kind:     hidden_group_size_z
      - .offset:         114
        .size:           2
        .value_kind:     hidden_remainder_x
      - .offset:         116
        .size:           2
        .value_kind:     hidden_remainder_y
      - .offset:         118
        .size:           2
        .value_kind:     hidden_remainder_z
      - .offset:         136
        .size:           8
        .value_kind:     hidden_global_offset_x
      - .offset:         144
        .size:           8
        .value_kind:     hidden_global_offset_y
      - .offset:         152
        .size:           8
        .value_kind:     hidden_global_offset_z
      - .offset:         160
        .size:           2
        .value_kind:     hidden_grid_dims
      - .offset:         176
        .size:           8
        .value_kind:     hidden_hostcall_buffer
    .group_segment_fixed_size: 0
    .kernarg_segment_align: 8
    .kernarg_segment_size: 352
    .language:       OpenCL C
    .language_version:
      - 2
      - 0
    .max_flat_workgroup_size: 448
    .name:           _ZL9mul_mat_fI7__half2Li32ELi3ELi7ELb1EEvPKT_PKfPKiPfiiiiiiiiiiiiiiii
    .private_segment_fixed_size: 16
    .sgpr_count:     40
    .sgpr_spill_count: 0
    .symbol:         _ZL9mul_mat_fI7__half2Li32ELi3ELi7ELb1EEvPKT_PKfPKiPfiiiiiiiiiiiiiiii.kd
    .uniform_work_group_size: 1
    .uses_dynamic_stack: false
    .vgpr_count:     38
    .vgpr_spill_count: 0
    .wavefront_size: 64
  - .agpr_count:     0
    .args:
      - .actual_access:  read_only
        .address_space:  global
        .offset:         0
        .size:           8
        .value_kind:     global_buffer
      - .actual_access:  read_only
        .address_space:  global
        .offset:         8
        .size:           8
        .value_kind:     global_buffer
      - .actual_access:  read_only
        .address_space:  global
        .offset:         16
        .size:           8
        .value_kind:     global_buffer
      - .actual_access:  read_only
        .address_space:  global
        .offset:         24
        .size:           8
        .value_kind:     global_buffer
      - .offset:         32
        .size:           4
        .value_kind:     by_value
      - .offset:         36
        .size:           4
        .value_kind:     by_value
      - .offset:         40
        .size:           4
        .value_kind:     by_value
      - .offset:         44
        .size:           4
        .value_kind:     by_value
      - .offset:         48
        .size:           4
        .value_kind:     by_value
      - .offset:         52
        .size:           4
        .value_kind:     by_value
      - .offset:         56
        .size:           4
        .value_kind:     by_value
      - .offset:         60
        .size:           4
        .value_kind:     by_value
      - .offset:         64
        .size:           4
        .value_kind:     by_value
      - .offset:         68
        .size:           4
        .value_kind:     by_value
      - .offset:         72
        .size:           4
        .value_kind:     by_value
      - .offset:         76
        .size:           4
        .value_kind:     by_value
      - .offset:         80
        .size:           4
        .value_kind:     by_value
      - .offset:         84
        .size:           4
        .value_kind:     by_value
      - .offset:         88
        .size:           4
        .value_kind:     by_value
      - .offset:         92
        .size:           4
        .value_kind:     by_value
      - .offset:         96
        .size:           4
        .value_kind:     hidden_block_count_x
      - .offset:         100
        .size:           4
        .value_kind:     hidden_block_count_y
      - .offset:         104
        .size:           4
        .value_kind:     hidden_block_count_z
      - .offset:         108
        .size:           2
        .value_kind:     hidden_group_size_x
      - .offset:         110
        .size:           2
        .value_kind:     hidden_group_size_y
      - .offset:         112
        .size:           2
        .value_kind:     hidden_group_size_z
      - .offset:         114
        .size:           2
        .value_kind:     hidden_remainder_x
      - .offset:         116
        .size:           2
        .value_kind:     hidden_remainder_y
      - .offset:         118
        .size:           2
        .value_kind:     hidden_remainder_z
      - .offset:         136
        .size:           8
        .value_kind:     hidden_global_offset_x
      - .offset:         144
        .size:           8
        .value_kind:     hidden_global_offset_y
      - .offset:         152
        .size:           8
        .value_kind:     hidden_global_offset_z
      - .offset:         160
        .size:           2
        .value_kind:     hidden_grid_dims
      - .offset:         176
        .size:           8
        .value_kind:     hidden_hostcall_buffer
    .group_segment_fixed_size: 0
    .kernarg_segment_align: 8
    .kernarg_segment_size: 352
    .language:       OpenCL C
    .language_version:
      - 2
      - 0
    .max_flat_workgroup_size: 448
    .name:           _ZL9mul_mat_fI7__half2Li32ELi3ELi7ELb0EEvPKT_PKfPKiPfiiiiiiiiiiiiiiii
    .private_segment_fixed_size: 16
    .sgpr_count:     40
    .sgpr_spill_count: 0
    .symbol:         _ZL9mul_mat_fI7__half2Li32ELi3ELi7ELb0EEvPKT_PKfPKiPfiiiiiiiiiiiiiiii.kd
    .uniform_work_group_size: 1
    .uses_dynamic_stack: false
    .vgpr_count:     38
    .vgpr_spill_count: 0
    .wavefront_size: 64
  - .agpr_count:     0
    .args:
      - .actual_access:  read_only
        .address_space:  global
        .offset:         0
        .size:           8
        .value_kind:     global_buffer
      - .actual_access:  read_only
        .address_space:  global
        .offset:         8
        .size:           8
        .value_kind:     global_buffer
      - .actual_access:  read_only
        .address_space:  global
        .offset:         16
        .size:           8
        .value_kind:     global_buffer
      - .actual_access:  read_only
        .address_space:  global
        .offset:         24
        .size:           8
        .value_kind:     global_buffer
      - .actual_access:  read_only
        .address_space:  global
        .offset:         32
        .size:           8
        .value_kind:     global_buffer
      - .actual_access:  read_only
        .address_space:  global
        .offset:         40
        .size:           8
        .value_kind:     global_buffer
      - .offset:         48
        .size:           4
        .value_kind:     by_value
      - .offset:         52
        .size:           4
        .value_kind:     by_value
      - .offset:         56
        .size:           4
        .value_kind:     by_value
      - .offset:         60
        .size:           4
        .value_kind:     by_value
      - .offset:         64
        .size:           4
        .value_kind:     by_value
      - .offset:         68
        .size:           4
        .value_kind:     by_value
      - .offset:         72
        .size:           4
        .value_kind:     by_value
      - .offset:         76
        .size:           4
        .value_kind:     by_value
      - .offset:         80
        .size:           4
        .value_kind:     by_value
      - .offset:         84
        .size:           4
        .value_kind:     by_value
      - .offset:         88
        .size:           4
        .value_kind:     by_value
      - .offset:         92
        .size:           4
        .value_kind:     by_value
      - .offset:         96
        .size:           4
        .value_kind:     by_value
      - .offset:         100
        .size:           4
        .value_kind:     by_value
      - .offset:         104
        .size:           12
        .value_kind:     by_value
      - .offset:         116
        .size:           12
        .value_kind:     by_value
      - .offset:         128
        .size:           4
        .value_kind:     hidden_block_count_x
      - .offset:         132
        .size:           4
        .value_kind:     hidden_block_count_y
      - .offset:         136
        .size:           4
        .value_kind:     hidden_block_count_z
      - .offset:         140
        .size:           2
        .value_kind:     hidden_group_size_x
      - .offset:         142
        .size:           2
        .value_kind:     hidden_group_size_y
      - .offset:         144
        .size:           2
        .value_kind:     hidden_group_size_z
      - .offset:         146
        .size:           2
        .value_kind:     hidden_remainder_x
      - .offset:         148
        .size:           2
        .value_kind:     hidden_remainder_y
      - .offset:         150
        .size:           2
        .value_kind:     hidden_remainder_z
      - .offset:         168
        .size:           8
        .value_kind:     hidden_global_offset_x
      - .offset:         176
        .size:           8
        .value_kind:     hidden_global_offset_y
      - .offset:         184
        .size:           8
        .value_kind:     hidden_global_offset_z
      - .offset:         192
        .size:           2
        .value_kind:     hidden_grid_dims
      - .offset:         208
        .size:           8
        .value_kind:     hidden_hostcall_buffer
    .group_segment_fixed_size: 0
    .kernarg_segment_align: 8
    .kernarg_segment_size: 384
    .language:       OpenCL C
    .language_version:
      - 2
      - 0
    .max_flat_workgroup_size: 512
    .name:           _ZL13mul_mat_f_idsI7__half2Li32ELi3ELi8EEvPKT_PKfPKiS7_S7_Pfiiiiiiiiiiiiii15HIP_vector_typeIjLj3EESA_
    .private_segment_fixed_size: 16
    .sgpr_count:     40
    .sgpr_spill_count: 0
    .symbol:         _ZL13mul_mat_f_idsI7__half2Li32ELi3ELi8EEvPKT_PKfPKiS7_S7_Pfiiiiiiiiiiiiii15HIP_vector_typeIjLj3EESA_.kd
    .uniform_work_group_size: 1
    .uses_dynamic_stack: false
    .vgpr_count:     38
    .vgpr_spill_count: 0
    .wavefront_size: 64
  - .agpr_count:     0
    .args:
      - .actual_access:  read_only
        .address_space:  global
        .offset:         0
        .size:           8
        .value_kind:     global_buffer
      - .actual_access:  read_only
        .address_space:  global
        .offset:         8
        .size:           8
        .value_kind:     global_buffer
      - .actual_access:  read_only
        .address_space:  global
        .offset:         16
        .size:           8
        .value_kind:     global_buffer
      - .actual_access:  read_only
        .address_space:  global
        .offset:         24
        .size:           8
        .value_kind:     global_buffer
      - .offset:         32
        .size:           4
        .value_kind:     by_value
      - .offset:         36
        .size:           4
        .value_kind:     by_value
      - .offset:         40
        .size:           4
        .value_kind:     by_value
      - .offset:         44
        .size:           4
        .value_kind:     by_value
      - .offset:         48
        .size:           4
        .value_kind:     by_value
      - .offset:         52
        .size:           4
        .value_kind:     by_value
      - .offset:         56
        .size:           4
        .value_kind:     by_value
      - .offset:         60
        .size:           4
        .value_kind:     by_value
      - .offset:         64
        .size:           4
        .value_kind:     by_value
      - .offset:         68
        .size:           4
        .value_kind:     by_value
      - .offset:         72
        .size:           4
        .value_kind:     by_value
      - .offset:         76
        .size:           4
        .value_kind:     by_value
      - .offset:         80
        .size:           4
        .value_kind:     by_value
      - .offset:         84
        .size:           4
        .value_kind:     by_value
      - .offset:         88
        .size:           4
        .value_kind:     by_value
      - .offset:         92
        .size:           4
        .value_kind:     by_value
      - .offset:         96
        .size:           4
        .value_kind:     hidden_block_count_x
      - .offset:         100
        .size:           4
        .value_kind:     hidden_block_count_y
      - .offset:         104
        .size:           4
        .value_kind:     hidden_block_count_z
      - .offset:         108
        .size:           2
        .value_kind:     hidden_group_size_x
      - .offset:         110
        .size:           2
        .value_kind:     hidden_group_size_y
      - .offset:         112
        .size:           2
        .value_kind:     hidden_group_size_z
      - .offset:         114
        .size:           2
        .value_kind:     hidden_remainder_x
      - .offset:         116
        .size:           2
        .value_kind:     hidden_remainder_y
      - .offset:         118
        .size:           2
        .value_kind:     hidden_remainder_z
      - .offset:         136
        .size:           8
        .value_kind:     hidden_global_offset_x
      - .offset:         144
        .size:           8
        .value_kind:     hidden_global_offset_y
      - .offset:         152
        .size:           8
        .value_kind:     hidden_global_offset_z
      - .offset:         160
        .size:           2
        .value_kind:     hidden_grid_dims
      - .offset:         176
        .size:           8
        .value_kind:     hidden_hostcall_buffer
    .group_segment_fixed_size: 0
    .kernarg_segment_align: 8
    .kernarg_segment_size: 352
    .language:       OpenCL C
    .language_version:
      - 2
      - 0
    .max_flat_workgroup_size: 512
    .name:           _ZL9mul_mat_fI7__half2Li32ELi3ELi8ELb1EEvPKT_PKfPKiPfiiiiiiiiiiiiiiii
    .private_segment_fixed_size: 16
    .sgpr_count:     40
    .sgpr_spill_count: 0
    .symbol:         _ZL9mul_mat_fI7__half2Li32ELi3ELi8ELb1EEvPKT_PKfPKiPfiiiiiiiiiiiiiiii.kd
    .uniform_work_group_size: 1
    .uses_dynamic_stack: false
    .vgpr_count:     38
    .vgpr_spill_count: 0
    .wavefront_size: 64
  - .agpr_count:     0
    .args:
      - .actual_access:  read_only
        .address_space:  global
        .offset:         0
        .size:           8
        .value_kind:     global_buffer
      - .actual_access:  read_only
        .address_space:  global
        .offset:         8
        .size:           8
        .value_kind:     global_buffer
      - .actual_access:  read_only
        .address_space:  global
        .offset:         16
        .size:           8
        .value_kind:     global_buffer
      - .actual_access:  read_only
        .address_space:  global
        .offset:         24
        .size:           8
        .value_kind:     global_buffer
      - .offset:         32
        .size:           4
        .value_kind:     by_value
      - .offset:         36
        .size:           4
        .value_kind:     by_value
      - .offset:         40
        .size:           4
        .value_kind:     by_value
      - .offset:         44
        .size:           4
        .value_kind:     by_value
      - .offset:         48
        .size:           4
        .value_kind:     by_value
      - .offset:         52
        .size:           4
        .value_kind:     by_value
      - .offset:         56
        .size:           4
        .value_kind:     by_value
      - .offset:         60
        .size:           4
        .value_kind:     by_value
      - .offset:         64
        .size:           4
        .value_kind:     by_value
      - .offset:         68
        .size:           4
        .value_kind:     by_value
      - .offset:         72
        .size:           4
        .value_kind:     by_value
      - .offset:         76
        .size:           4
        .value_kind:     by_value
      - .offset:         80
        .size:           4
        .value_kind:     by_value
      - .offset:         84
        .size:           4
        .value_kind:     by_value
      - .offset:         88
        .size:           4
        .value_kind:     by_value
      - .offset:         92
        .size:           4
        .value_kind:     by_value
      - .offset:         96
        .size:           4
        .value_kind:     hidden_block_count_x
      - .offset:         100
        .size:           4
        .value_kind:     hidden_block_count_y
      - .offset:         104
        .size:           4
        .value_kind:     hidden_block_count_z
      - .offset:         108
        .size:           2
        .value_kind:     hidden_group_size_x
      - .offset:         110
        .size:           2
        .value_kind:     hidden_group_size_y
      - .offset:         112
        .size:           2
        .value_kind:     hidden_group_size_z
      - .offset:         114
        .size:           2
        .value_kind:     hidden_remainder_x
      - .offset:         116
        .size:           2
        .value_kind:     hidden_remainder_y
      - .offset:         118
        .size:           2
        .value_kind:     hidden_remainder_z
      - .offset:         136
        .size:           8
        .value_kind:     hidden_global_offset_x
      - .offset:         144
        .size:           8
        .value_kind:     hidden_global_offset_y
      - .offset:         152
        .size:           8
        .value_kind:     hidden_global_offset_z
      - .offset:         160
        .size:           2
        .value_kind:     hidden_grid_dims
      - .offset:         176
        .size:           8
        .value_kind:     hidden_hostcall_buffer
    .group_segment_fixed_size: 0
    .kernarg_segment_align: 8
    .kernarg_segment_size: 352
    .language:       OpenCL C
    .language_version:
      - 2
      - 0
    .max_flat_workgroup_size: 512
    .name:           _ZL9mul_mat_fI7__half2Li32ELi3ELi8ELb0EEvPKT_PKfPKiPfiiiiiiiiiiiiiiii
    .private_segment_fixed_size: 16
    .sgpr_count:     40
    .sgpr_spill_count: 0
    .symbol:         _ZL9mul_mat_fI7__half2Li32ELi3ELi8ELb0EEvPKT_PKfPKiPfiiiiiiiiiiiiiiii.kd
    .uniform_work_group_size: 1
    .uses_dynamic_stack: false
    .vgpr_count:     38
    .vgpr_spill_count: 0
    .wavefront_size: 64
  - .agpr_count:     0
    .args:
      - .actual_access:  read_only
        .address_space:  global
        .offset:         0
        .size:           8
        .value_kind:     global_buffer
      - .actual_access:  read_only
        .address_space:  global
        .offset:         8
        .size:           8
        .value_kind:     global_buffer
      - .actual_access:  read_only
        .address_space:  global
        .offset:         16
        .size:           8
        .value_kind:     global_buffer
      - .actual_access:  read_only
        .address_space:  global
        .offset:         24
        .size:           8
        .value_kind:     global_buffer
      - .actual_access:  read_only
        .address_space:  global
        .offset:         32
        .size:           8
        .value_kind:     global_buffer
      - .actual_access:  read_only
        .address_space:  global
        .offset:         40
        .size:           8
        .value_kind:     global_buffer
      - .offset:         48
        .size:           4
        .value_kind:     by_value
      - .offset:         52
        .size:           4
        .value_kind:     by_value
      - .offset:         56
        .size:           4
        .value_kind:     by_value
      - .offset:         60
        .size:           4
        .value_kind:     by_value
      - .offset:         64
        .size:           4
        .value_kind:     by_value
      - .offset:         68
        .size:           4
        .value_kind:     by_value
      - .offset:         72
        .size:           4
        .value_kind:     by_value
      - .offset:         76
        .size:           4
        .value_kind:     by_value
      - .offset:         80
        .size:           4
        .value_kind:     by_value
      - .offset:         84
        .size:           4
        .value_kind:     by_value
      - .offset:         88
        .size:           4
        .value_kind:     by_value
      - .offset:         92
        .size:           4
        .value_kind:     by_value
      - .offset:         96
        .size:           4
        .value_kind:     by_value
      - .offset:         100
        .size:           4
        .value_kind:     by_value
      - .offset:         104
        .size:           12
        .value_kind:     by_value
      - .offset:         116
        .size:           12
        .value_kind:     by_value
      - .offset:         128
        .size:           4
        .value_kind:     hidden_block_count_x
      - .offset:         132
        .size:           4
        .value_kind:     hidden_block_count_y
      - .offset:         136
        .size:           4
        .value_kind:     hidden_block_count_z
      - .offset:         140
        .size:           2
        .value_kind:     hidden_group_size_x
      - .offset:         142
        .size:           2
        .value_kind:     hidden_group_size_y
      - .offset:         144
        .size:           2
        .value_kind:     hidden_group_size_z
      - .offset:         146
        .size:           2
        .value_kind:     hidden_remainder_x
      - .offset:         148
        .size:           2
        .value_kind:     hidden_remainder_y
      - .offset:         150
        .size:           2
        .value_kind:     hidden_remainder_z
      - .offset:         168
        .size:           8
        .value_kind:     hidden_global_offset_x
      - .offset:         176
        .size:           8
        .value_kind:     hidden_global_offset_y
      - .offset:         184
        .size:           8
        .value_kind:     hidden_global_offset_z
      - .offset:         192
        .size:           2
        .value_kind:     hidden_grid_dims
      - .offset:         208
        .size:           8
        .value_kind:     hidden_hostcall_buffer
    .group_segment_fixed_size: 0
    .kernarg_segment_align: 8
    .kernarg_segment_size: 384
    .language:       OpenCL C
    .language_version:
      - 2
      - 0
    .max_flat_workgroup_size: 64
    .name:           _ZL13mul_mat_f_idsI15__hip_bfloat162Li32ELi3ELi1EEvPKT_PKfPKiS7_S7_Pfiiiiiiiiiiiiii15HIP_vector_typeIjLj3EESA_
    .private_segment_fixed_size: 16
    .sgpr_count:     40
    .sgpr_spill_count: 0
    .symbol:         _ZL13mul_mat_f_idsI15__hip_bfloat162Li32ELi3ELi1EEvPKT_PKfPKiS7_S7_Pfiiiiiiiiiiiiii15HIP_vector_typeIjLj3EESA_.kd
    .uniform_work_group_size: 1
    .uses_dynamic_stack: false
    .vgpr_count:     38
    .vgpr_spill_count: 0
    .wavefront_size: 64
  - .agpr_count:     0
    .args:
      - .actual_access:  read_only
        .address_space:  global
        .offset:         0
        .size:           8
        .value_kind:     global_buffer
      - .actual_access:  read_only
        .address_space:  global
        .offset:         8
        .size:           8
        .value_kind:     global_buffer
      - .actual_access:  read_only
        .address_space:  global
        .offset:         16
        .size:           8
        .value_kind:     global_buffer
      - .actual_access:  read_only
        .address_space:  global
        .offset:         24
        .size:           8
        .value_kind:     global_buffer
      - .offset:         32
        .size:           4
        .value_kind:     by_value
      - .offset:         36
        .size:           4
        .value_kind:     by_value
      - .offset:         40
        .size:           4
        .value_kind:     by_value
      - .offset:         44
        .size:           4
        .value_kind:     by_value
      - .offset:         48
        .size:           4
        .value_kind:     by_value
      - .offset:         52
        .size:           4
        .value_kind:     by_value
      - .offset:         56
        .size:           4
        .value_kind:     by_value
      - .offset:         60
        .size:           4
        .value_kind:     by_value
      - .offset:         64
        .size:           4
        .value_kind:     by_value
      - .offset:         68
        .size:           4
        .value_kind:     by_value
      - .offset:         72
        .size:           4
        .value_kind:     by_value
      - .offset:         76
        .size:           4
        .value_kind:     by_value
      - .offset:         80
        .size:           4
        .value_kind:     by_value
      - .offset:         84
        .size:           4
        .value_kind:     by_value
      - .offset:         88
        .size:           4
        .value_kind:     by_value
      - .offset:         92
        .size:           4
        .value_kind:     by_value
      - .offset:         96
        .size:           4
        .value_kind:     hidden_block_count_x
      - .offset:         100
        .size:           4
        .value_kind:     hidden_block_count_y
      - .offset:         104
        .size:           4
        .value_kind:     hidden_block_count_z
      - .offset:         108
        .size:           2
        .value_kind:     hidden_group_size_x
      - .offset:         110
        .size:           2
        .value_kind:     hidden_group_size_y
      - .offset:         112
        .size:           2
        .value_kind:     hidden_group_size_z
      - .offset:         114
        .size:           2
        .value_kind:     hidden_remainder_x
      - .offset:         116
        .size:           2
        .value_kind:     hidden_remainder_y
      - .offset:         118
        .size:           2
        .value_kind:     hidden_remainder_z
      - .offset:         136
        .size:           8
        .value_kind:     hidden_global_offset_x
      - .offset:         144
        .size:           8
        .value_kind:     hidden_global_offset_y
      - .offset:         152
        .size:           8
        .value_kind:     hidden_global_offset_z
      - .offset:         160
        .size:           2
        .value_kind:     hidden_grid_dims
      - .offset:         176
        .size:           8
        .value_kind:     hidden_hostcall_buffer
    .group_segment_fixed_size: 0
    .kernarg_segment_align: 8
    .kernarg_segment_size: 352
    .language:       OpenCL C
    .language_version:
      - 2
      - 0
    .max_flat_workgroup_size: 64
    .name:           _ZL9mul_mat_fI15__hip_bfloat162Li32ELi3ELi1ELb1EEvPKT_PKfPKiPfiiiiiiiiiiiiiiii
    .private_segment_fixed_size: 16
    .sgpr_count:     40
    .sgpr_spill_count: 0
    .symbol:         _ZL9mul_mat_fI15__hip_bfloat162Li32ELi3ELi1ELb1EEvPKT_PKfPKiPfiiiiiiiiiiiiiiii.kd
    .uniform_work_group_size: 1
    .uses_dynamic_stack: false
    .vgpr_count:     38
    .vgpr_spill_count: 0
    .wavefront_size: 64
  - .agpr_count:     0
    .args:
      - .actual_access:  read_only
        .address_space:  global
        .offset:         0
        .size:           8
        .value_kind:     global_buffer
      - .actual_access:  read_only
        .address_space:  global
        .offset:         8
        .size:           8
        .value_kind:     global_buffer
      - .actual_access:  read_only
        .address_space:  global
        .offset:         16
        .size:           8
        .value_kind:     global_buffer
      - .actual_access:  read_only
        .address_space:  global
        .offset:         24
        .size:           8
        .value_kind:     global_buffer
      - .offset:         32
        .size:           4
        .value_kind:     by_value
      - .offset:         36
        .size:           4
        .value_kind:     by_value
      - .offset:         40
        .size:           4
        .value_kind:     by_value
      - .offset:         44
        .size:           4
        .value_kind:     by_value
      - .offset:         48
        .size:           4
        .value_kind:     by_value
      - .offset:         52
        .size:           4
        .value_kind:     by_value
      - .offset:         56
        .size:           4
        .value_kind:     by_value
      - .offset:         60
        .size:           4
        .value_kind:     by_value
      - .offset:         64
        .size:           4
        .value_kind:     by_value
      - .offset:         68
        .size:           4
        .value_kind:     by_value
      - .offset:         72
        .size:           4
        .value_kind:     by_value
      - .offset:         76
        .size:           4
        .value_kind:     by_value
      - .offset:         80
        .size:           4
        .value_kind:     by_value
      - .offset:         84
        .size:           4
        .value_kind:     by_value
      - .offset:         88
        .size:           4
        .value_kind:     by_value
      - .offset:         92
        .size:           4
        .value_kind:     by_value
      - .offset:         96
        .size:           4
        .value_kind:     hidden_block_count_x
      - .offset:         100
        .size:           4
        .value_kind:     hidden_block_count_y
      - .offset:         104
        .size:           4
        .value_kind:     hidden_block_count_z
      - .offset:         108
        .size:           2
        .value_kind:     hidden_group_size_x
      - .offset:         110
        .size:           2
        .value_kind:     hidden_group_size_y
      - .offset:         112
        .size:           2
        .value_kind:     hidden_group_size_z
      - .offset:         114
        .size:           2
        .value_kind:     hidden_remainder_x
      - .offset:         116
        .size:           2
        .value_kind:     hidden_remainder_y
      - .offset:         118
        .size:           2
        .value_kind:     hidden_remainder_z
      - .offset:         136
        .size:           8
        .value_kind:     hidden_global_offset_x
      - .offset:         144
        .size:           8
        .value_kind:     hidden_global_offset_y
      - .offset:         152
        .size:           8
        .value_kind:     hidden_global_offset_z
      - .offset:         160
        .size:           2
        .value_kind:     hidden_grid_dims
      - .offset:         176
        .size:           8
        .value_kind:     hidden_hostcall_buffer
    .group_segment_fixed_size: 0
    .kernarg_segment_align: 8
    .kernarg_segment_size: 352
    .language:       OpenCL C
    .language_version:
      - 2
      - 0
    .max_flat_workgroup_size: 64
    .name:           _ZL9mul_mat_fI15__hip_bfloat162Li32ELi3ELi1ELb0EEvPKT_PKfPKiPfiiiiiiiiiiiiiiii
    .private_segment_fixed_size: 16
    .sgpr_count:     40
    .sgpr_spill_count: 0
    .symbol:         _ZL9mul_mat_fI15__hip_bfloat162Li32ELi3ELi1ELb0EEvPKT_PKfPKiPfiiiiiiiiiiiiiiii.kd
    .uniform_work_group_size: 1
    .uses_dynamic_stack: false
    .vgpr_count:     38
    .vgpr_spill_count: 0
    .wavefront_size: 64
  - .agpr_count:     0
    .args:
      - .actual_access:  read_only
        .address_space:  global
        .offset:         0
        .size:           8
        .value_kind:     global_buffer
      - .actual_access:  read_only
        .address_space:  global
        .offset:         8
        .size:           8
        .value_kind:     global_buffer
      - .actual_access:  read_only
        .address_space:  global
        .offset:         16
        .size:           8
        .value_kind:     global_buffer
      - .actual_access:  read_only
        .address_space:  global
        .offset:         24
        .size:           8
        .value_kind:     global_buffer
      - .actual_access:  read_only
        .address_space:  global
        .offset:         32
        .size:           8
        .value_kind:     global_buffer
      - .actual_access:  read_only
        .address_space:  global
        .offset:         40
        .size:           8
        .value_kind:     global_buffer
      - .offset:         48
        .size:           4
        .value_kind:     by_value
      - .offset:         52
        .size:           4
        .value_kind:     by_value
      - .offset:         56
        .size:           4
        .value_kind:     by_value
      - .offset:         60
        .size:           4
        .value_kind:     by_value
      - .offset:         64
        .size:           4
        .value_kind:     by_value
      - .offset:         68
        .size:           4
        .value_kind:     by_value
      - .offset:         72
        .size:           4
        .value_kind:     by_value
      - .offset:         76
        .size:           4
        .value_kind:     by_value
      - .offset:         80
        .size:           4
        .value_kind:     by_value
      - .offset:         84
        .size:           4
        .value_kind:     by_value
      - .offset:         88
        .size:           4
        .value_kind:     by_value
      - .offset:         92
        .size:           4
        .value_kind:     by_value
      - .offset:         96
        .size:           4
        .value_kind:     by_value
      - .offset:         100
        .size:           4
        .value_kind:     by_value
      - .offset:         104
        .size:           12
        .value_kind:     by_value
      - .offset:         116
        .size:           12
        .value_kind:     by_value
      - .offset:         128
        .size:           4
        .value_kind:     hidden_block_count_x
      - .offset:         132
        .size:           4
        .value_kind:     hidden_block_count_y
      - .offset:         136
        .size:           4
        .value_kind:     hidden_block_count_z
      - .offset:         140
        .size:           2
        .value_kind:     hidden_group_size_x
      - .offset:         142
        .size:           2
        .value_kind:     hidden_group_size_y
      - .offset:         144
        .size:           2
        .value_kind:     hidden_group_size_z
      - .offset:         146
        .size:           2
        .value_kind:     hidden_remainder_x
      - .offset:         148
        .size:           2
        .value_kind:     hidden_remainder_y
      - .offset:         150
        .size:           2
        .value_kind:     hidden_remainder_z
      - .offset:         168
        .size:           8
        .value_kind:     hidden_global_offset_x
      - .offset:         176
        .size:           8
        .value_kind:     hidden_global_offset_y
      - .offset:         184
        .size:           8
        .value_kind:     hidden_global_offset_z
      - .offset:         192
        .size:           2
        .value_kind:     hidden_grid_dims
      - .offset:         208
        .size:           8
        .value_kind:     hidden_hostcall_buffer
    .group_segment_fixed_size: 0
    .kernarg_segment_align: 8
    .kernarg_segment_size: 384
    .language:       OpenCL C
    .language_version:
      - 2
      - 0
    .max_flat_workgroup_size: 128
    .name:           _ZL13mul_mat_f_idsI15__hip_bfloat162Li32ELi3ELi2EEvPKT_PKfPKiS7_S7_Pfiiiiiiiiiiiiii15HIP_vector_typeIjLj3EESA_
    .private_segment_fixed_size: 16
    .sgpr_count:     40
    .sgpr_spill_count: 0
    .symbol:         _ZL13mul_mat_f_idsI15__hip_bfloat162Li32ELi3ELi2EEvPKT_PKfPKiS7_S7_Pfiiiiiiiiiiiiii15HIP_vector_typeIjLj3EESA_.kd
    .uniform_work_group_size: 1
    .uses_dynamic_stack: false
    .vgpr_count:     38
    .vgpr_spill_count: 0
    .wavefront_size: 64
  - .agpr_count:     0
    .args:
      - .actual_access:  read_only
        .address_space:  global
        .offset:         0
        .size:           8
        .value_kind:     global_buffer
      - .actual_access:  read_only
        .address_space:  global
        .offset:         8
        .size:           8
        .value_kind:     global_buffer
      - .actual_access:  read_only
        .address_space:  global
        .offset:         16
        .size:           8
        .value_kind:     global_buffer
      - .actual_access:  read_only
        .address_space:  global
        .offset:         24
        .size:           8
        .value_kind:     global_buffer
      - .offset:         32
        .size:           4
        .value_kind:     by_value
      - .offset:         36
        .size:           4
        .value_kind:     by_value
      - .offset:         40
        .size:           4
        .value_kind:     by_value
      - .offset:         44
        .size:           4
        .value_kind:     by_value
      - .offset:         48
        .size:           4
        .value_kind:     by_value
      - .offset:         52
        .size:           4
        .value_kind:     by_value
      - .offset:         56
        .size:           4
        .value_kind:     by_value
      - .offset:         60
        .size:           4
        .value_kind:     by_value
      - .offset:         64
        .size:           4
        .value_kind:     by_value
      - .offset:         68
        .size:           4
        .value_kind:     by_value
      - .offset:         72
        .size:           4
        .value_kind:     by_value
      - .offset:         76
        .size:           4
        .value_kind:     by_value
      - .offset:         80
        .size:           4
        .value_kind:     by_value
      - .offset:         84
        .size:           4
        .value_kind:     by_value
      - .offset:         88
        .size:           4
        .value_kind:     by_value
      - .offset:         92
        .size:           4
        .value_kind:     by_value
      - .offset:         96
        .size:           4
        .value_kind:     hidden_block_count_x
      - .offset:         100
        .size:           4
        .value_kind:     hidden_block_count_y
      - .offset:         104
        .size:           4
        .value_kind:     hidden_block_count_z
      - .offset:         108
        .size:           2
        .value_kind:     hidden_group_size_x
      - .offset:         110
        .size:           2
        .value_kind:     hidden_group_size_y
      - .offset:         112
        .size:           2
        .value_kind:     hidden_group_size_z
      - .offset:         114
        .size:           2
        .value_kind:     hidden_remainder_x
      - .offset:         116
        .size:           2
        .value_kind:     hidden_remainder_y
      - .offset:         118
        .size:           2
        .value_kind:     hidden_remainder_z
      - .offset:         136
        .size:           8
        .value_kind:     hidden_global_offset_x
      - .offset:         144
        .size:           8
        .value_kind:     hidden_global_offset_y
      - .offset:         152
        .size:           8
        .value_kind:     hidden_global_offset_z
      - .offset:         160
        .size:           2
        .value_kind:     hidden_grid_dims
      - .offset:         176
        .size:           8
        .value_kind:     hidden_hostcall_buffer
    .group_segment_fixed_size: 0
    .kernarg_segment_align: 8
    .kernarg_segment_size: 352
    .language:       OpenCL C
    .language_version:
      - 2
      - 0
    .max_flat_workgroup_size: 128
    .name:           _ZL9mul_mat_fI15__hip_bfloat162Li32ELi3ELi2ELb1EEvPKT_PKfPKiPfiiiiiiiiiiiiiiii
    .private_segment_fixed_size: 16
    .sgpr_count:     40
    .sgpr_spill_count: 0
    .symbol:         _ZL9mul_mat_fI15__hip_bfloat162Li32ELi3ELi2ELb1EEvPKT_PKfPKiPfiiiiiiiiiiiiiiii.kd
    .uniform_work_group_size: 1
    .uses_dynamic_stack: false
    .vgpr_count:     38
    .vgpr_spill_count: 0
    .wavefront_size: 64
  - .agpr_count:     0
    .args:
      - .actual_access:  read_only
        .address_space:  global
        .offset:         0
        .size:           8
        .value_kind:     global_buffer
      - .actual_access:  read_only
        .address_space:  global
        .offset:         8
        .size:           8
        .value_kind:     global_buffer
      - .actual_access:  read_only
        .address_space:  global
        .offset:         16
        .size:           8
        .value_kind:     global_buffer
      - .actual_access:  read_only
        .address_space:  global
        .offset:         24
        .size:           8
        .value_kind:     global_buffer
      - .offset:         32
        .size:           4
        .value_kind:     by_value
      - .offset:         36
        .size:           4
        .value_kind:     by_value
      - .offset:         40
        .size:           4
        .value_kind:     by_value
      - .offset:         44
        .size:           4
        .value_kind:     by_value
      - .offset:         48
        .size:           4
        .value_kind:     by_value
      - .offset:         52
        .size:           4
        .value_kind:     by_value
      - .offset:         56
        .size:           4
        .value_kind:     by_value
      - .offset:         60
        .size:           4
        .value_kind:     by_value
      - .offset:         64
        .size:           4
        .value_kind:     by_value
      - .offset:         68
        .size:           4
        .value_kind:     by_value
      - .offset:         72
        .size:           4
        .value_kind:     by_value
      - .offset:         76
        .size:           4
        .value_kind:     by_value
      - .offset:         80
        .size:           4
        .value_kind:     by_value
      - .offset:         84
        .size:           4
        .value_kind:     by_value
      - .offset:         88
        .size:           4
        .value_kind:     by_value
      - .offset:         92
        .size:           4
        .value_kind:     by_value
      - .offset:         96
        .size:           4
        .value_kind:     hidden_block_count_x
      - .offset:         100
        .size:           4
        .value_kind:     hidden_block_count_y
      - .offset:         104
        .size:           4
        .value_kind:     hidden_block_count_z
      - .offset:         108
        .size:           2
        .value_kind:     hidden_group_size_x
      - .offset:         110
        .size:           2
        .value_kind:     hidden_group_size_y
      - .offset:         112
        .size:           2
        .value_kind:     hidden_group_size_z
      - .offset:         114
        .size:           2
        .value_kind:     hidden_remainder_x
      - .offset:         116
        .size:           2
        .value_kind:     hidden_remainder_y
      - .offset:         118
        .size:           2
        .value_kind:     hidden_remainder_z
      - .offset:         136
        .size:           8
        .value_kind:     hidden_global_offset_x
      - .offset:         144
        .size:           8
        .value_kind:     hidden_global_offset_y
      - .offset:         152
        .size:           8
        .value_kind:     hidden_global_offset_z
      - .offset:         160
        .size:           2
        .value_kind:     hidden_grid_dims
      - .offset:         176
        .size:           8
        .value_kind:     hidden_hostcall_buffer
    .group_segment_fixed_size: 0
    .kernarg_segment_align: 8
    .kernarg_segment_size: 352
    .language:       OpenCL C
    .language_version:
      - 2
      - 0
    .max_flat_workgroup_size: 128
    .name:           _ZL9mul_mat_fI15__hip_bfloat162Li32ELi3ELi2ELb0EEvPKT_PKfPKiPfiiiiiiiiiiiiiiii
    .private_segment_fixed_size: 16
    .sgpr_count:     40
    .sgpr_spill_count: 0
    .symbol:         _ZL9mul_mat_fI15__hip_bfloat162Li32ELi3ELi2ELb0EEvPKT_PKfPKiPfiiiiiiiiiiiiiiii.kd
    .uniform_work_group_size: 1
    .uses_dynamic_stack: false
    .vgpr_count:     38
    .vgpr_spill_count: 0
    .wavefront_size: 64
  - .agpr_count:     0
    .args:
      - .actual_access:  read_only
        .address_space:  global
        .offset:         0
        .size:           8
        .value_kind:     global_buffer
      - .actual_access:  read_only
        .address_space:  global
        .offset:         8
        .size:           8
        .value_kind:     global_buffer
      - .actual_access:  read_only
        .address_space:  global
        .offset:         16
        .size:           8
        .value_kind:     global_buffer
      - .actual_access:  read_only
        .address_space:  global
        .offset:         24
        .size:           8
        .value_kind:     global_buffer
      - .actual_access:  read_only
        .address_space:  global
        .offset:         32
        .size:           8
        .value_kind:     global_buffer
      - .actual_access:  read_only
        .address_space:  global
        .offset:         40
        .size:           8
        .value_kind:     global_buffer
      - .offset:         48
        .size:           4
        .value_kind:     by_value
      - .offset:         52
        .size:           4
        .value_kind:     by_value
      - .offset:         56
        .size:           4
        .value_kind:     by_value
      - .offset:         60
        .size:           4
        .value_kind:     by_value
      - .offset:         64
        .size:           4
        .value_kind:     by_value
      - .offset:         68
        .size:           4
        .value_kind:     by_value
      - .offset:         72
        .size:           4
        .value_kind:     by_value
      - .offset:         76
        .size:           4
        .value_kind:     by_value
      - .offset:         80
        .size:           4
        .value_kind:     by_value
      - .offset:         84
        .size:           4
        .value_kind:     by_value
      - .offset:         88
        .size:           4
        .value_kind:     by_value
      - .offset:         92
        .size:           4
        .value_kind:     by_value
      - .offset:         96
        .size:           4
        .value_kind:     by_value
      - .offset:         100
        .size:           4
        .value_kind:     by_value
      - .offset:         104
        .size:           12
        .value_kind:     by_value
      - .offset:         116
        .size:           12
        .value_kind:     by_value
      - .offset:         128
        .size:           4
        .value_kind:     hidden_block_count_x
      - .offset:         132
        .size:           4
        .value_kind:     hidden_block_count_y
      - .offset:         136
        .size:           4
        .value_kind:     hidden_block_count_z
      - .offset:         140
        .size:           2
        .value_kind:     hidden_group_size_x
      - .offset:         142
        .size:           2
        .value_kind:     hidden_group_size_y
      - .offset:         144
        .size:           2
        .value_kind:     hidden_group_size_z
      - .offset:         146
        .size:           2
        .value_kind:     hidden_remainder_x
      - .offset:         148
        .size:           2
        .value_kind:     hidden_remainder_y
      - .offset:         150
        .size:           2
        .value_kind:     hidden_remainder_z
      - .offset:         168
        .size:           8
        .value_kind:     hidden_global_offset_x
      - .offset:         176
        .size:           8
        .value_kind:     hidden_global_offset_y
      - .offset:         184
        .size:           8
        .value_kind:     hidden_global_offset_z
      - .offset:         192
        .size:           2
        .value_kind:     hidden_grid_dims
      - .offset:         208
        .size:           8
        .value_kind:     hidden_hostcall_buffer
    .group_segment_fixed_size: 0
    .kernarg_segment_align: 8
    .kernarg_segment_size: 384
    .language:       OpenCL C
    .language_version:
      - 2
      - 0
    .max_flat_workgroup_size: 192
    .name:           _ZL13mul_mat_f_idsI15__hip_bfloat162Li32ELi3ELi3EEvPKT_PKfPKiS7_S7_Pfiiiiiiiiiiiiii15HIP_vector_typeIjLj3EESA_
    .private_segment_fixed_size: 16
    .sgpr_count:     40
    .sgpr_spill_count: 0
    .symbol:         _ZL13mul_mat_f_idsI15__hip_bfloat162Li32ELi3ELi3EEvPKT_PKfPKiS7_S7_Pfiiiiiiiiiiiiii15HIP_vector_typeIjLj3EESA_.kd
    .uniform_work_group_size: 1
    .uses_dynamic_stack: false
    .vgpr_count:     38
    .vgpr_spill_count: 0
    .wavefront_size: 64
  - .agpr_count:     0
    .args:
      - .actual_access:  read_only
        .address_space:  global
        .offset:         0
        .size:           8
        .value_kind:     global_buffer
      - .actual_access:  read_only
        .address_space:  global
        .offset:         8
        .size:           8
        .value_kind:     global_buffer
      - .actual_access:  read_only
        .address_space:  global
        .offset:         16
        .size:           8
        .value_kind:     global_buffer
      - .actual_access:  read_only
        .address_space:  global
        .offset:         24
        .size:           8
        .value_kind:     global_buffer
      - .offset:         32
        .size:           4
        .value_kind:     by_value
      - .offset:         36
        .size:           4
        .value_kind:     by_value
      - .offset:         40
        .size:           4
        .value_kind:     by_value
      - .offset:         44
        .size:           4
        .value_kind:     by_value
      - .offset:         48
        .size:           4
        .value_kind:     by_value
      - .offset:         52
        .size:           4
        .value_kind:     by_value
      - .offset:         56
        .size:           4
        .value_kind:     by_value
      - .offset:         60
        .size:           4
        .value_kind:     by_value
      - .offset:         64
        .size:           4
        .value_kind:     by_value
      - .offset:         68
        .size:           4
        .value_kind:     by_value
      - .offset:         72
        .size:           4
        .value_kind:     by_value
      - .offset:         76
        .size:           4
        .value_kind:     by_value
      - .offset:         80
        .size:           4
        .value_kind:     by_value
      - .offset:         84
        .size:           4
        .value_kind:     by_value
      - .offset:         88
        .size:           4
        .value_kind:     by_value
      - .offset:         92
        .size:           4
        .value_kind:     by_value
      - .offset:         96
        .size:           4
        .value_kind:     hidden_block_count_x
      - .offset:         100
        .size:           4
        .value_kind:     hidden_block_count_y
      - .offset:         104
        .size:           4
        .value_kind:     hidden_block_count_z
      - .offset:         108
        .size:           2
        .value_kind:     hidden_group_size_x
      - .offset:         110
        .size:           2
        .value_kind:     hidden_group_size_y
      - .offset:         112
        .size:           2
        .value_kind:     hidden_group_size_z
      - .offset:         114
        .size:           2
        .value_kind:     hidden_remainder_x
      - .offset:         116
        .size:           2
        .value_kind:     hidden_remainder_y
      - .offset:         118
        .size:           2
        .value_kind:     hidden_remainder_z
      - .offset:         136
        .size:           8
        .value_kind:     hidden_global_offset_x
      - .offset:         144
        .size:           8
        .value_kind:     hidden_global_offset_y
      - .offset:         152
        .size:           8
        .value_kind:     hidden_global_offset_z
      - .offset:         160
        .size:           2
        .value_kind:     hidden_grid_dims
      - .offset:         176
        .size:           8
        .value_kind:     hidden_hostcall_buffer
    .group_segment_fixed_size: 0
    .kernarg_segment_align: 8
    .kernarg_segment_size: 352
    .language:       OpenCL C
    .language_version:
      - 2
      - 0
    .max_flat_workgroup_size: 192
    .name:           _ZL9mul_mat_fI15__hip_bfloat162Li32ELi3ELi3ELb1EEvPKT_PKfPKiPfiiiiiiiiiiiiiiii
    .private_segment_fixed_size: 16
    .sgpr_count:     40
    .sgpr_spill_count: 0
    .symbol:         _ZL9mul_mat_fI15__hip_bfloat162Li32ELi3ELi3ELb1EEvPKT_PKfPKiPfiiiiiiiiiiiiiiii.kd
    .uniform_work_group_size: 1
    .uses_dynamic_stack: false
    .vgpr_count:     38
    .vgpr_spill_count: 0
    .wavefront_size: 64
  - .agpr_count:     0
    .args:
      - .actual_access:  read_only
        .address_space:  global
        .offset:         0
        .size:           8
        .value_kind:     global_buffer
      - .actual_access:  read_only
        .address_space:  global
        .offset:         8
        .size:           8
        .value_kind:     global_buffer
      - .actual_access:  read_only
        .address_space:  global
        .offset:         16
        .size:           8
        .value_kind:     global_buffer
      - .actual_access:  read_only
        .address_space:  global
        .offset:         24
        .size:           8
        .value_kind:     global_buffer
      - .offset:         32
        .size:           4
        .value_kind:     by_value
      - .offset:         36
        .size:           4
        .value_kind:     by_value
      - .offset:         40
        .size:           4
        .value_kind:     by_value
      - .offset:         44
        .size:           4
        .value_kind:     by_value
      - .offset:         48
        .size:           4
        .value_kind:     by_value
      - .offset:         52
        .size:           4
        .value_kind:     by_value
      - .offset:         56
        .size:           4
        .value_kind:     by_value
      - .offset:         60
        .size:           4
        .value_kind:     by_value
      - .offset:         64
        .size:           4
        .value_kind:     by_value
      - .offset:         68
        .size:           4
        .value_kind:     by_value
      - .offset:         72
        .size:           4
        .value_kind:     by_value
      - .offset:         76
        .size:           4
        .value_kind:     by_value
      - .offset:         80
        .size:           4
        .value_kind:     by_value
      - .offset:         84
        .size:           4
        .value_kind:     by_value
      - .offset:         88
        .size:           4
        .value_kind:     by_value
      - .offset:         92
        .size:           4
        .value_kind:     by_value
      - .offset:         96
        .size:           4
        .value_kind:     hidden_block_count_x
      - .offset:         100
        .size:           4
        .value_kind:     hidden_block_count_y
      - .offset:         104
        .size:           4
        .value_kind:     hidden_block_count_z
      - .offset:         108
        .size:           2
        .value_kind:     hidden_group_size_x
      - .offset:         110
        .size:           2
        .value_kind:     hidden_group_size_y
      - .offset:         112
        .size:           2
        .value_kind:     hidden_group_size_z
      - .offset:         114
        .size:           2
        .value_kind:     hidden_remainder_x
      - .offset:         116
        .size:           2
        .value_kind:     hidden_remainder_y
      - .offset:         118
        .size:           2
        .value_kind:     hidden_remainder_z
      - .offset:         136
        .size:           8
        .value_kind:     hidden_global_offset_x
      - .offset:         144
        .size:           8
        .value_kind:     hidden_global_offset_y
      - .offset:         152
        .size:           8
        .value_kind:     hidden_global_offset_z
      - .offset:         160
        .size:           2
        .value_kind:     hidden_grid_dims
      - .offset:         176
        .size:           8
        .value_kind:     hidden_hostcall_buffer
    .group_segment_fixed_size: 0
    .kernarg_segment_align: 8
    .kernarg_segment_size: 352
    .language:       OpenCL C
    .language_version:
      - 2
      - 0
    .max_flat_workgroup_size: 192
    .name:           _ZL9mul_mat_fI15__hip_bfloat162Li32ELi3ELi3ELb0EEvPKT_PKfPKiPfiiiiiiiiiiiiiiii
    .private_segment_fixed_size: 16
    .sgpr_count:     40
    .sgpr_spill_count: 0
    .symbol:         _ZL9mul_mat_fI15__hip_bfloat162Li32ELi3ELi3ELb0EEvPKT_PKfPKiPfiiiiiiiiiiiiiiii.kd
    .uniform_work_group_size: 1
    .uses_dynamic_stack: false
    .vgpr_count:     38
    .vgpr_spill_count: 0
    .wavefront_size: 64
  - .agpr_count:     0
    .args:
      - .actual_access:  read_only
        .address_space:  global
        .offset:         0
        .size:           8
        .value_kind:     global_buffer
      - .actual_access:  read_only
        .address_space:  global
        .offset:         8
        .size:           8
        .value_kind:     global_buffer
      - .actual_access:  read_only
        .address_space:  global
        .offset:         16
        .size:           8
        .value_kind:     global_buffer
      - .actual_access:  read_only
        .address_space:  global
        .offset:         24
        .size:           8
        .value_kind:     global_buffer
      - .actual_access:  read_only
        .address_space:  global
        .offset:         32
        .size:           8
        .value_kind:     global_buffer
      - .actual_access:  read_only
        .address_space:  global
        .offset:         40
        .size:           8
        .value_kind:     global_buffer
      - .offset:         48
        .size:           4
        .value_kind:     by_value
      - .offset:         52
        .size:           4
        .value_kind:     by_value
      - .offset:         56
        .size:           4
        .value_kind:     by_value
      - .offset:         60
        .size:           4
        .value_kind:     by_value
      - .offset:         64
        .size:           4
        .value_kind:     by_value
      - .offset:         68
        .size:           4
        .value_kind:     by_value
      - .offset:         72
        .size:           4
        .value_kind:     by_value
      - .offset:         76
        .size:           4
        .value_kind:     by_value
      - .offset:         80
        .size:           4
        .value_kind:     by_value
      - .offset:         84
        .size:           4
        .value_kind:     by_value
      - .offset:         88
        .size:           4
        .value_kind:     by_value
      - .offset:         92
        .size:           4
        .value_kind:     by_value
      - .offset:         96
        .size:           4
        .value_kind:     by_value
      - .offset:         100
        .size:           4
        .value_kind:     by_value
      - .offset:         104
        .size:           12
        .value_kind:     by_value
      - .offset:         116
        .size:           12
        .value_kind:     by_value
      - .offset:         128
        .size:           4
        .value_kind:     hidden_block_count_x
      - .offset:         132
        .size:           4
        .value_kind:     hidden_block_count_y
      - .offset:         136
        .size:           4
        .value_kind:     hidden_block_count_z
      - .offset:         140
        .size:           2
        .value_kind:     hidden_group_size_x
      - .offset:         142
        .size:           2
        .value_kind:     hidden_group_size_y
      - .offset:         144
        .size:           2
        .value_kind:     hidden_group_size_z
      - .offset:         146
        .size:           2
        .value_kind:     hidden_remainder_x
      - .offset:         148
        .size:           2
        .value_kind:     hidden_remainder_y
      - .offset:         150
        .size:           2
        .value_kind:     hidden_remainder_z
      - .offset:         168
        .size:           8
        .value_kind:     hidden_global_offset_x
      - .offset:         176
        .size:           8
        .value_kind:     hidden_global_offset_y
      - .offset:         184
        .size:           8
        .value_kind:     hidden_global_offset_z
      - .offset:         192
        .size:           2
        .value_kind:     hidden_grid_dims
      - .offset:         208
        .size:           8
        .value_kind:     hidden_hostcall_buffer
    .group_segment_fixed_size: 0
    .kernarg_segment_align: 8
    .kernarg_segment_size: 384
    .language:       OpenCL C
    .language_version:
      - 2
      - 0
    .max_flat_workgroup_size: 256
    .name:           _ZL13mul_mat_f_idsI15__hip_bfloat162Li32ELi3ELi4EEvPKT_PKfPKiS7_S7_Pfiiiiiiiiiiiiii15HIP_vector_typeIjLj3EESA_
    .private_segment_fixed_size: 16
    .sgpr_count:     40
    .sgpr_spill_count: 0
    .symbol:         _ZL13mul_mat_f_idsI15__hip_bfloat162Li32ELi3ELi4EEvPKT_PKfPKiS7_S7_Pfiiiiiiiiiiiiii15HIP_vector_typeIjLj3EESA_.kd
    .uniform_work_group_size: 1
    .uses_dynamic_stack: false
    .vgpr_count:     38
    .vgpr_spill_count: 0
    .wavefront_size: 64
  - .agpr_count:     0
    .args:
      - .actual_access:  read_only
        .address_space:  global
        .offset:         0
        .size:           8
        .value_kind:     global_buffer
      - .actual_access:  read_only
        .address_space:  global
        .offset:         8
        .size:           8
        .value_kind:     global_buffer
      - .actual_access:  read_only
        .address_space:  global
        .offset:         16
        .size:           8
        .value_kind:     global_buffer
      - .actual_access:  read_only
        .address_space:  global
        .offset:         24
        .size:           8
        .value_kind:     global_buffer
      - .offset:         32
        .size:           4
        .value_kind:     by_value
      - .offset:         36
        .size:           4
        .value_kind:     by_value
      - .offset:         40
        .size:           4
        .value_kind:     by_value
      - .offset:         44
        .size:           4
        .value_kind:     by_value
      - .offset:         48
        .size:           4
        .value_kind:     by_value
      - .offset:         52
        .size:           4
        .value_kind:     by_value
      - .offset:         56
        .size:           4
        .value_kind:     by_value
      - .offset:         60
        .size:           4
        .value_kind:     by_value
      - .offset:         64
        .size:           4
        .value_kind:     by_value
      - .offset:         68
        .size:           4
        .value_kind:     by_value
      - .offset:         72
        .size:           4
        .value_kind:     by_value
      - .offset:         76
        .size:           4
        .value_kind:     by_value
      - .offset:         80
        .size:           4
        .value_kind:     by_value
      - .offset:         84
        .size:           4
        .value_kind:     by_value
      - .offset:         88
        .size:           4
        .value_kind:     by_value
      - .offset:         92
        .size:           4
        .value_kind:     by_value
      - .offset:         96
        .size:           4
        .value_kind:     hidden_block_count_x
      - .offset:         100
        .size:           4
        .value_kind:     hidden_block_count_y
      - .offset:         104
        .size:           4
        .value_kind:     hidden_block_count_z
      - .offset:         108
        .size:           2
        .value_kind:     hidden_group_size_x
      - .offset:         110
        .size:           2
        .value_kind:     hidden_group_size_y
      - .offset:         112
        .size:           2
        .value_kind:     hidden_group_size_z
      - .offset:         114
        .size:           2
        .value_kind:     hidden_remainder_x
      - .offset:         116
        .size:           2
        .value_kind:     hidden_remainder_y
      - .offset:         118
        .size:           2
        .value_kind:     hidden_remainder_z
      - .offset:         136
        .size:           8
        .value_kind:     hidden_global_offset_x
      - .offset:         144
        .size:           8
        .value_kind:     hidden_global_offset_y
      - .offset:         152
        .size:           8
        .value_kind:     hidden_global_offset_z
      - .offset:         160
        .size:           2
        .value_kind:     hidden_grid_dims
      - .offset:         176
        .size:           8
        .value_kind:     hidden_hostcall_buffer
    .group_segment_fixed_size: 0
    .kernarg_segment_align: 8
    .kernarg_segment_size: 352
    .language:       OpenCL C
    .language_version:
      - 2
      - 0
    .max_flat_workgroup_size: 256
    .name:           _ZL9mul_mat_fI15__hip_bfloat162Li32ELi3ELi4ELb1EEvPKT_PKfPKiPfiiiiiiiiiiiiiiii
    .private_segment_fixed_size: 16
    .sgpr_count:     40
    .sgpr_spill_count: 0
    .symbol:         _ZL9mul_mat_fI15__hip_bfloat162Li32ELi3ELi4ELb1EEvPKT_PKfPKiPfiiiiiiiiiiiiiiii.kd
    .uniform_work_group_size: 1
    .uses_dynamic_stack: false
    .vgpr_count:     38
    .vgpr_spill_count: 0
    .wavefront_size: 64
  - .agpr_count:     0
    .args:
      - .actual_access:  read_only
        .address_space:  global
        .offset:         0
        .size:           8
        .value_kind:     global_buffer
      - .actual_access:  read_only
        .address_space:  global
        .offset:         8
        .size:           8
        .value_kind:     global_buffer
      - .actual_access:  read_only
        .address_space:  global
        .offset:         16
        .size:           8
        .value_kind:     global_buffer
      - .actual_access:  read_only
        .address_space:  global
        .offset:         24
        .size:           8
        .value_kind:     global_buffer
      - .offset:         32
        .size:           4
        .value_kind:     by_value
      - .offset:         36
        .size:           4
        .value_kind:     by_value
      - .offset:         40
        .size:           4
        .value_kind:     by_value
      - .offset:         44
        .size:           4
        .value_kind:     by_value
      - .offset:         48
        .size:           4
        .value_kind:     by_value
      - .offset:         52
        .size:           4
        .value_kind:     by_value
      - .offset:         56
        .size:           4
        .value_kind:     by_value
      - .offset:         60
        .size:           4
        .value_kind:     by_value
      - .offset:         64
        .size:           4
        .value_kind:     by_value
      - .offset:         68
        .size:           4
        .value_kind:     by_value
      - .offset:         72
        .size:           4
        .value_kind:     by_value
      - .offset:         76
        .size:           4
        .value_kind:     by_value
      - .offset:         80
        .size:           4
        .value_kind:     by_value
      - .offset:         84
        .size:           4
        .value_kind:     by_value
      - .offset:         88
        .size:           4
        .value_kind:     by_value
      - .offset:         92
        .size:           4
        .value_kind:     by_value
      - .offset:         96
        .size:           4
        .value_kind:     hidden_block_count_x
      - .offset:         100
        .size:           4
        .value_kind:     hidden_block_count_y
      - .offset:         104
        .size:           4
        .value_kind:     hidden_block_count_z
      - .offset:         108
        .size:           2
        .value_kind:     hidden_group_size_x
      - .offset:         110
        .size:           2
        .value_kind:     hidden_group_size_y
      - .offset:         112
        .size:           2
        .value_kind:     hidden_group_size_z
      - .offset:         114
        .size:           2
        .value_kind:     hidden_remainder_x
      - .offset:         116
        .size:           2
        .value_kind:     hidden_remainder_y
      - .offset:         118
        .size:           2
        .value_kind:     hidden_remainder_z
      - .offset:         136
        .size:           8
        .value_kind:     hidden_global_offset_x
      - .offset:         144
        .size:           8
        .value_kind:     hidden_global_offset_y
      - .offset:         152
        .size:           8
        .value_kind:     hidden_global_offset_z
      - .offset:         160
        .size:           2
        .value_kind:     hidden_grid_dims
      - .offset:         176
        .size:           8
        .value_kind:     hidden_hostcall_buffer
    .group_segment_fixed_size: 0
    .kernarg_segment_align: 8
    .kernarg_segment_size: 352
    .language:       OpenCL C
    .language_version:
      - 2
      - 0
    .max_flat_workgroup_size: 256
    .name:           _ZL9mul_mat_fI15__hip_bfloat162Li32ELi3ELi4ELb0EEvPKT_PKfPKiPfiiiiiiiiiiiiiiii
    .private_segment_fixed_size: 16
    .sgpr_count:     40
    .sgpr_spill_count: 0
    .symbol:         _ZL9mul_mat_fI15__hip_bfloat162Li32ELi3ELi4ELb0EEvPKT_PKfPKiPfiiiiiiiiiiiiiiii.kd
    .uniform_work_group_size: 1
    .uses_dynamic_stack: false
    .vgpr_count:     38
    .vgpr_spill_count: 0
    .wavefront_size: 64
  - .agpr_count:     0
    .args:
      - .actual_access:  read_only
        .address_space:  global
        .offset:         0
        .size:           8
        .value_kind:     global_buffer
      - .actual_access:  read_only
        .address_space:  global
        .offset:         8
        .size:           8
        .value_kind:     global_buffer
      - .actual_access:  read_only
        .address_space:  global
        .offset:         16
        .size:           8
        .value_kind:     global_buffer
      - .actual_access:  read_only
        .address_space:  global
        .offset:         24
        .size:           8
        .value_kind:     global_buffer
      - .actual_access:  read_only
        .address_space:  global
        .offset:         32
        .size:           8
        .value_kind:     global_buffer
      - .actual_access:  read_only
        .address_space:  global
        .offset:         40
        .size:           8
        .value_kind:     global_buffer
      - .offset:         48
        .size:           4
        .value_kind:     by_value
      - .offset:         52
        .size:           4
        .value_kind:     by_value
      - .offset:         56
        .size:           4
        .value_kind:     by_value
      - .offset:         60
        .size:           4
        .value_kind:     by_value
      - .offset:         64
        .size:           4
        .value_kind:     by_value
      - .offset:         68
        .size:           4
        .value_kind:     by_value
      - .offset:         72
        .size:           4
        .value_kind:     by_value
      - .offset:         76
        .size:           4
        .value_kind:     by_value
      - .offset:         80
        .size:           4
        .value_kind:     by_value
      - .offset:         84
        .size:           4
        .value_kind:     by_value
      - .offset:         88
        .size:           4
        .value_kind:     by_value
      - .offset:         92
        .size:           4
        .value_kind:     by_value
      - .offset:         96
        .size:           4
        .value_kind:     by_value
      - .offset:         100
        .size:           4
        .value_kind:     by_value
      - .offset:         104
        .size:           12
        .value_kind:     by_value
      - .offset:         116
        .size:           12
        .value_kind:     by_value
      - .offset:         128
        .size:           4
        .value_kind:     hidden_block_count_x
      - .offset:         132
        .size:           4
        .value_kind:     hidden_block_count_y
      - .offset:         136
        .size:           4
        .value_kind:     hidden_block_count_z
      - .offset:         140
        .size:           2
        .value_kind:     hidden_group_size_x
      - .offset:         142
        .size:           2
        .value_kind:     hidden_group_size_y
      - .offset:         144
        .size:           2
        .value_kind:     hidden_group_size_z
      - .offset:         146
        .size:           2
        .value_kind:     hidden_remainder_x
      - .offset:         148
        .size:           2
        .value_kind:     hidden_remainder_y
      - .offset:         150
        .size:           2
        .value_kind:     hidden_remainder_z
      - .offset:         168
        .size:           8
        .value_kind:     hidden_global_offset_x
      - .offset:         176
        .size:           8
        .value_kind:     hidden_global_offset_y
      - .offset:         184
        .size:           8
        .value_kind:     hidden_global_offset_z
      - .offset:         192
        .size:           2
        .value_kind:     hidden_grid_dims
      - .offset:         208
        .size:           8
        .value_kind:     hidden_hostcall_buffer
    .group_segment_fixed_size: 0
    .kernarg_segment_align: 8
    .kernarg_segment_size: 384
    .language:       OpenCL C
    .language_version:
      - 2
      - 0
    .max_flat_workgroup_size: 320
    .name:           _ZL13mul_mat_f_idsI15__hip_bfloat162Li32ELi3ELi5EEvPKT_PKfPKiS7_S7_Pfiiiiiiiiiiiiii15HIP_vector_typeIjLj3EESA_
    .private_segment_fixed_size: 16
    .sgpr_count:     40
    .sgpr_spill_count: 0
    .symbol:         _ZL13mul_mat_f_idsI15__hip_bfloat162Li32ELi3ELi5EEvPKT_PKfPKiS7_S7_Pfiiiiiiiiiiiiii15HIP_vector_typeIjLj3EESA_.kd
    .uniform_work_group_size: 1
    .uses_dynamic_stack: false
    .vgpr_count:     38
    .vgpr_spill_count: 0
    .wavefront_size: 64
  - .agpr_count:     0
    .args:
      - .actual_access:  read_only
        .address_space:  global
        .offset:         0
        .size:           8
        .value_kind:     global_buffer
      - .actual_access:  read_only
        .address_space:  global
        .offset:         8
        .size:           8
        .value_kind:     global_buffer
      - .actual_access:  read_only
        .address_space:  global
        .offset:         16
        .size:           8
        .value_kind:     global_buffer
      - .actual_access:  read_only
        .address_space:  global
        .offset:         24
        .size:           8
        .value_kind:     global_buffer
      - .offset:         32
        .size:           4
        .value_kind:     by_value
      - .offset:         36
        .size:           4
        .value_kind:     by_value
      - .offset:         40
        .size:           4
        .value_kind:     by_value
      - .offset:         44
        .size:           4
        .value_kind:     by_value
      - .offset:         48
        .size:           4
        .value_kind:     by_value
      - .offset:         52
        .size:           4
        .value_kind:     by_value
      - .offset:         56
        .size:           4
        .value_kind:     by_value
      - .offset:         60
        .size:           4
        .value_kind:     by_value
      - .offset:         64
        .size:           4
        .value_kind:     by_value
      - .offset:         68
        .size:           4
        .value_kind:     by_value
      - .offset:         72
        .size:           4
        .value_kind:     by_value
      - .offset:         76
        .size:           4
        .value_kind:     by_value
      - .offset:         80
        .size:           4
        .value_kind:     by_value
      - .offset:         84
        .size:           4
        .value_kind:     by_value
      - .offset:         88
        .size:           4
        .value_kind:     by_value
      - .offset:         92
        .size:           4
        .value_kind:     by_value
      - .offset:         96
        .size:           4
        .value_kind:     hidden_block_count_x
      - .offset:         100
        .size:           4
        .value_kind:     hidden_block_count_y
      - .offset:         104
        .size:           4
        .value_kind:     hidden_block_count_z
      - .offset:         108
        .size:           2
        .value_kind:     hidden_group_size_x
      - .offset:         110
        .size:           2
        .value_kind:     hidden_group_size_y
      - .offset:         112
        .size:           2
        .value_kind:     hidden_group_size_z
      - .offset:         114
        .size:           2
        .value_kind:     hidden_remainder_x
      - .offset:         116
        .size:           2
        .value_kind:     hidden_remainder_y
      - .offset:         118
        .size:           2
        .value_kind:     hidden_remainder_z
      - .offset:         136
        .size:           8
        .value_kind:     hidden_global_offset_x
      - .offset:         144
        .size:           8
        .value_kind:     hidden_global_offset_y
      - .offset:         152
        .size:           8
        .value_kind:     hidden_global_offset_z
      - .offset:         160
        .size:           2
        .value_kind:     hidden_grid_dims
      - .offset:         176
        .size:           8
        .value_kind:     hidden_hostcall_buffer
    .group_segment_fixed_size: 0
    .kernarg_segment_align: 8
    .kernarg_segment_size: 352
    .language:       OpenCL C
    .language_version:
      - 2
      - 0
    .max_flat_workgroup_size: 320
    .name:           _ZL9mul_mat_fI15__hip_bfloat162Li32ELi3ELi5ELb1EEvPKT_PKfPKiPfiiiiiiiiiiiiiiii
    .private_segment_fixed_size: 16
    .sgpr_count:     40
    .sgpr_spill_count: 0
    .symbol:         _ZL9mul_mat_fI15__hip_bfloat162Li32ELi3ELi5ELb1EEvPKT_PKfPKiPfiiiiiiiiiiiiiiii.kd
    .uniform_work_group_size: 1
    .uses_dynamic_stack: false
    .vgpr_count:     38
    .vgpr_spill_count: 0
    .wavefront_size: 64
  - .agpr_count:     0
    .args:
      - .actual_access:  read_only
        .address_space:  global
        .offset:         0
        .size:           8
        .value_kind:     global_buffer
      - .actual_access:  read_only
        .address_space:  global
        .offset:         8
        .size:           8
        .value_kind:     global_buffer
      - .actual_access:  read_only
        .address_space:  global
        .offset:         16
        .size:           8
        .value_kind:     global_buffer
      - .actual_access:  read_only
        .address_space:  global
        .offset:         24
        .size:           8
        .value_kind:     global_buffer
      - .offset:         32
        .size:           4
        .value_kind:     by_value
      - .offset:         36
        .size:           4
        .value_kind:     by_value
      - .offset:         40
        .size:           4
        .value_kind:     by_value
      - .offset:         44
        .size:           4
        .value_kind:     by_value
      - .offset:         48
        .size:           4
        .value_kind:     by_value
      - .offset:         52
        .size:           4
        .value_kind:     by_value
      - .offset:         56
        .size:           4
        .value_kind:     by_value
      - .offset:         60
        .size:           4
        .value_kind:     by_value
      - .offset:         64
        .size:           4
        .value_kind:     by_value
      - .offset:         68
        .size:           4
        .value_kind:     by_value
      - .offset:         72
        .size:           4
        .value_kind:     by_value
      - .offset:         76
        .size:           4
        .value_kind:     by_value
      - .offset:         80
        .size:           4
        .value_kind:     by_value
      - .offset:         84
        .size:           4
        .value_kind:     by_value
      - .offset:         88
        .size:           4
        .value_kind:     by_value
      - .offset:         92
        .size:           4
        .value_kind:     by_value
      - .offset:         96
        .size:           4
        .value_kind:     hidden_block_count_x
      - .offset:         100
        .size:           4
        .value_kind:     hidden_block_count_y
      - .offset:         104
        .size:           4
        .value_kind:     hidden_block_count_z
      - .offset:         108
        .size:           2
        .value_kind:     hidden_group_size_x
      - .offset:         110
        .size:           2
        .value_kind:     hidden_group_size_y
      - .offset:         112
        .size:           2
        .value_kind:     hidden_group_size_z
      - .offset:         114
        .size:           2
        .value_kind:     hidden_remainder_x
      - .offset:         116
        .size:           2
        .value_kind:     hidden_remainder_y
      - .offset:         118
        .size:           2
        .value_kind:     hidden_remainder_z
      - .offset:         136
        .size:           8
        .value_kind:     hidden_global_offset_x
      - .offset:         144
        .size:           8
        .value_kind:     hidden_global_offset_y
      - .offset:         152
        .size:           8
        .value_kind:     hidden_global_offset_z
      - .offset:         160
        .size:           2
        .value_kind:     hidden_grid_dims
      - .offset:         176
        .size:           8
        .value_kind:     hidden_hostcall_buffer
    .group_segment_fixed_size: 0
    .kernarg_segment_align: 8
    .kernarg_segment_size: 352
    .language:       OpenCL C
    .language_version:
      - 2
      - 0
    .max_flat_workgroup_size: 320
    .name:           _ZL9mul_mat_fI15__hip_bfloat162Li32ELi3ELi5ELb0EEvPKT_PKfPKiPfiiiiiiiiiiiiiiii
    .private_segment_fixed_size: 16
    .sgpr_count:     40
    .sgpr_spill_count: 0
    .symbol:         _ZL9mul_mat_fI15__hip_bfloat162Li32ELi3ELi5ELb0EEvPKT_PKfPKiPfiiiiiiiiiiiiiiii.kd
    .uniform_work_group_size: 1
    .uses_dynamic_stack: false
    .vgpr_count:     38
    .vgpr_spill_count: 0
    .wavefront_size: 64
  - .agpr_count:     0
    .args:
      - .actual_access:  read_only
        .address_space:  global
        .offset:         0
        .size:           8
        .value_kind:     global_buffer
      - .actual_access:  read_only
        .address_space:  global
        .offset:         8
        .size:           8
        .value_kind:     global_buffer
      - .actual_access:  read_only
        .address_space:  global
        .offset:         16
        .size:           8
        .value_kind:     global_buffer
      - .actual_access:  read_only
        .address_space:  global
        .offset:         24
        .size:           8
        .value_kind:     global_buffer
      - .actual_access:  read_only
        .address_space:  global
        .offset:         32
        .size:           8
        .value_kind:     global_buffer
      - .actual_access:  read_only
        .address_space:  global
        .offset:         40
        .size:           8
        .value_kind:     global_buffer
      - .offset:         48
        .size:           4
        .value_kind:     by_value
      - .offset:         52
        .size:           4
        .value_kind:     by_value
      - .offset:         56
        .size:           4
        .value_kind:     by_value
      - .offset:         60
        .size:           4
        .value_kind:     by_value
      - .offset:         64
        .size:           4
        .value_kind:     by_value
      - .offset:         68
        .size:           4
        .value_kind:     by_value
      - .offset:         72
        .size:           4
        .value_kind:     by_value
      - .offset:         76
        .size:           4
        .value_kind:     by_value
      - .offset:         80
        .size:           4
        .value_kind:     by_value
      - .offset:         84
        .size:           4
        .value_kind:     by_value
      - .offset:         88
        .size:           4
        .value_kind:     by_value
      - .offset:         92
        .size:           4
        .value_kind:     by_value
      - .offset:         96
        .size:           4
        .value_kind:     by_value
      - .offset:         100
        .size:           4
        .value_kind:     by_value
      - .offset:         104
        .size:           12
        .value_kind:     by_value
      - .offset:         116
        .size:           12
        .value_kind:     by_value
      - .offset:         128
        .size:           4
        .value_kind:     hidden_block_count_x
      - .offset:         132
        .size:           4
        .value_kind:     hidden_block_count_y
      - .offset:         136
        .size:           4
        .value_kind:     hidden_block_count_z
      - .offset:         140
        .size:           2
        .value_kind:     hidden_group_size_x
      - .offset:         142
        .size:           2
        .value_kind:     hidden_group_size_y
      - .offset:         144
        .size:           2
        .value_kind:     hidden_group_size_z
      - .offset:         146
        .size:           2
        .value_kind:     hidden_remainder_x
      - .offset:         148
        .size:           2
        .value_kind:     hidden_remainder_y
      - .offset:         150
        .size:           2
        .value_kind:     hidden_remainder_z
      - .offset:         168
        .size:           8
        .value_kind:     hidden_global_offset_x
      - .offset:         176
        .size:           8
        .value_kind:     hidden_global_offset_y
      - .offset:         184
        .size:           8
        .value_kind:     hidden_global_offset_z
      - .offset:         192
        .size:           2
        .value_kind:     hidden_grid_dims
      - .offset:         208
        .size:           8
        .value_kind:     hidden_hostcall_buffer
    .group_segment_fixed_size: 0
    .kernarg_segment_align: 8
    .kernarg_segment_size: 384
    .language:       OpenCL C
    .language_version:
      - 2
      - 0
    .max_flat_workgroup_size: 384
    .name:           _ZL13mul_mat_f_idsI15__hip_bfloat162Li32ELi3ELi6EEvPKT_PKfPKiS7_S7_Pfiiiiiiiiiiiiii15HIP_vector_typeIjLj3EESA_
    .private_segment_fixed_size: 16
    .sgpr_count:     40
    .sgpr_spill_count: 0
    .symbol:         _ZL13mul_mat_f_idsI15__hip_bfloat162Li32ELi3ELi6EEvPKT_PKfPKiS7_S7_Pfiiiiiiiiiiiiii15HIP_vector_typeIjLj3EESA_.kd
    .uniform_work_group_size: 1
    .uses_dynamic_stack: false
    .vgpr_count:     38
    .vgpr_spill_count: 0
    .wavefront_size: 64
  - .agpr_count:     0
    .args:
      - .actual_access:  read_only
        .address_space:  global
        .offset:         0
        .size:           8
        .value_kind:     global_buffer
      - .actual_access:  read_only
        .address_space:  global
        .offset:         8
        .size:           8
        .value_kind:     global_buffer
      - .actual_access:  read_only
        .address_space:  global
        .offset:         16
        .size:           8
        .value_kind:     global_buffer
      - .actual_access:  read_only
        .address_space:  global
        .offset:         24
        .size:           8
        .value_kind:     global_buffer
      - .offset:         32
        .size:           4
        .value_kind:     by_value
      - .offset:         36
        .size:           4
        .value_kind:     by_value
      - .offset:         40
        .size:           4
        .value_kind:     by_value
      - .offset:         44
        .size:           4
        .value_kind:     by_value
      - .offset:         48
        .size:           4
        .value_kind:     by_value
      - .offset:         52
        .size:           4
        .value_kind:     by_value
      - .offset:         56
        .size:           4
        .value_kind:     by_value
      - .offset:         60
        .size:           4
        .value_kind:     by_value
      - .offset:         64
        .size:           4
        .value_kind:     by_value
      - .offset:         68
        .size:           4
        .value_kind:     by_value
      - .offset:         72
        .size:           4
        .value_kind:     by_value
      - .offset:         76
        .size:           4
        .value_kind:     by_value
      - .offset:         80
        .size:           4
        .value_kind:     by_value
      - .offset:         84
        .size:           4
        .value_kind:     by_value
      - .offset:         88
        .size:           4
        .value_kind:     by_value
      - .offset:         92
        .size:           4
        .value_kind:     by_value
      - .offset:         96
        .size:           4
        .value_kind:     hidden_block_count_x
      - .offset:         100
        .size:           4
        .value_kind:     hidden_block_count_y
      - .offset:         104
        .size:           4
        .value_kind:     hidden_block_count_z
      - .offset:         108
        .size:           2
        .value_kind:     hidden_group_size_x
      - .offset:         110
        .size:           2
        .value_kind:     hidden_group_size_y
      - .offset:         112
        .size:           2
        .value_kind:     hidden_group_size_z
      - .offset:         114
        .size:           2
        .value_kind:     hidden_remainder_x
      - .offset:         116
        .size:           2
        .value_kind:     hidden_remainder_y
      - .offset:         118
        .size:           2
        .value_kind:     hidden_remainder_z
      - .offset:         136
        .size:           8
        .value_kind:     hidden_global_offset_x
      - .offset:         144
        .size:           8
        .value_kind:     hidden_global_offset_y
      - .offset:         152
        .size:           8
        .value_kind:     hidden_global_offset_z
      - .offset:         160
        .size:           2
        .value_kind:     hidden_grid_dims
      - .offset:         176
        .size:           8
        .value_kind:     hidden_hostcall_buffer
    .group_segment_fixed_size: 0
    .kernarg_segment_align: 8
    .kernarg_segment_size: 352
    .language:       OpenCL C
    .language_version:
      - 2
      - 0
    .max_flat_workgroup_size: 384
    .name:           _ZL9mul_mat_fI15__hip_bfloat162Li32ELi3ELi6ELb1EEvPKT_PKfPKiPfiiiiiiiiiiiiiiii
    .private_segment_fixed_size: 16
    .sgpr_count:     40
    .sgpr_spill_count: 0
    .symbol:         _ZL9mul_mat_fI15__hip_bfloat162Li32ELi3ELi6ELb1EEvPKT_PKfPKiPfiiiiiiiiiiiiiiii.kd
    .uniform_work_group_size: 1
    .uses_dynamic_stack: false
    .vgpr_count:     38
    .vgpr_spill_count: 0
    .wavefront_size: 64
  - .agpr_count:     0
    .args:
      - .actual_access:  read_only
        .address_space:  global
        .offset:         0
        .size:           8
        .value_kind:     global_buffer
      - .actual_access:  read_only
        .address_space:  global
        .offset:         8
        .size:           8
        .value_kind:     global_buffer
      - .actual_access:  read_only
        .address_space:  global
        .offset:         16
        .size:           8
        .value_kind:     global_buffer
      - .actual_access:  read_only
        .address_space:  global
        .offset:         24
        .size:           8
        .value_kind:     global_buffer
      - .offset:         32
        .size:           4
        .value_kind:     by_value
      - .offset:         36
        .size:           4
        .value_kind:     by_value
      - .offset:         40
        .size:           4
        .value_kind:     by_value
      - .offset:         44
        .size:           4
        .value_kind:     by_value
      - .offset:         48
        .size:           4
        .value_kind:     by_value
      - .offset:         52
        .size:           4
        .value_kind:     by_value
      - .offset:         56
        .size:           4
        .value_kind:     by_value
      - .offset:         60
        .size:           4
        .value_kind:     by_value
      - .offset:         64
        .size:           4
        .value_kind:     by_value
      - .offset:         68
        .size:           4
        .value_kind:     by_value
      - .offset:         72
        .size:           4
        .value_kind:     by_value
      - .offset:         76
        .size:           4
        .value_kind:     by_value
      - .offset:         80
        .size:           4
        .value_kind:     by_value
      - .offset:         84
        .size:           4
        .value_kind:     by_value
      - .offset:         88
        .size:           4
        .value_kind:     by_value
      - .offset:         92
        .size:           4
        .value_kind:     by_value
      - .offset:         96
        .size:           4
        .value_kind:     hidden_block_count_x
      - .offset:         100
        .size:           4
        .value_kind:     hidden_block_count_y
      - .offset:         104
        .size:           4
        .value_kind:     hidden_block_count_z
      - .offset:         108
        .size:           2
        .value_kind:     hidden_group_size_x
      - .offset:         110
        .size:           2
        .value_kind:     hidden_group_size_y
      - .offset:         112
        .size:           2
        .value_kind:     hidden_group_size_z
      - .offset:         114
        .size:           2
        .value_kind:     hidden_remainder_x
      - .offset:         116
        .size:           2
        .value_kind:     hidden_remainder_y
      - .offset:         118
        .size:           2
        .value_kind:     hidden_remainder_z
      - .offset:         136
        .size:           8
        .value_kind:     hidden_global_offset_x
      - .offset:         144
        .size:           8
        .value_kind:     hidden_global_offset_y
      - .offset:         152
        .size:           8
        .value_kind:     hidden_global_offset_z
      - .offset:         160
        .size:           2
        .value_kind:     hidden_grid_dims
      - .offset:         176
        .size:           8
        .value_kind:     hidden_hostcall_buffer
    .group_segment_fixed_size: 0
    .kernarg_segment_align: 8
    .kernarg_segment_size: 352
    .language:       OpenCL C
    .language_version:
      - 2
      - 0
    .max_flat_workgroup_size: 384
    .name:           _ZL9mul_mat_fI15__hip_bfloat162Li32ELi3ELi6ELb0EEvPKT_PKfPKiPfiiiiiiiiiiiiiiii
    .private_segment_fixed_size: 16
    .sgpr_count:     40
    .sgpr_spill_count: 0
    .symbol:         _ZL9mul_mat_fI15__hip_bfloat162Li32ELi3ELi6ELb0EEvPKT_PKfPKiPfiiiiiiiiiiiiiiii.kd
    .uniform_work_group_size: 1
    .uses_dynamic_stack: false
    .vgpr_count:     38
    .vgpr_spill_count: 0
    .wavefront_size: 64
  - .agpr_count:     0
    .args:
      - .actual_access:  read_only
        .address_space:  global
        .offset:         0
        .size:           8
        .value_kind:     global_buffer
      - .actual_access:  read_only
        .address_space:  global
        .offset:         8
        .size:           8
        .value_kind:     global_buffer
      - .actual_access:  read_only
        .address_space:  global
        .offset:         16
        .size:           8
        .value_kind:     global_buffer
      - .actual_access:  read_only
        .address_space:  global
        .offset:         24
        .size:           8
        .value_kind:     global_buffer
      - .actual_access:  read_only
        .address_space:  global
        .offset:         32
        .size:           8
        .value_kind:     global_buffer
      - .actual_access:  read_only
        .address_space:  global
        .offset:         40
        .size:           8
        .value_kind:     global_buffer
      - .offset:         48
        .size:           4
        .value_kind:     by_value
      - .offset:         52
        .size:           4
        .value_kind:     by_value
      - .offset:         56
        .size:           4
        .value_kind:     by_value
      - .offset:         60
        .size:           4
        .value_kind:     by_value
      - .offset:         64
        .size:           4
        .value_kind:     by_value
      - .offset:         68
        .size:           4
        .value_kind:     by_value
      - .offset:         72
        .size:           4
        .value_kind:     by_value
      - .offset:         76
        .size:           4
        .value_kind:     by_value
      - .offset:         80
        .size:           4
        .value_kind:     by_value
      - .offset:         84
        .size:           4
        .value_kind:     by_value
      - .offset:         88
        .size:           4
        .value_kind:     by_value
      - .offset:         92
        .size:           4
        .value_kind:     by_value
      - .offset:         96
        .size:           4
        .value_kind:     by_value
      - .offset:         100
        .size:           4
        .value_kind:     by_value
      - .offset:         104
        .size:           12
        .value_kind:     by_value
      - .offset:         116
        .size:           12
        .value_kind:     by_value
      - .offset:         128
        .size:           4
        .value_kind:     hidden_block_count_x
      - .offset:         132
        .size:           4
        .value_kind:     hidden_block_count_y
      - .offset:         136
        .size:           4
        .value_kind:     hidden_block_count_z
      - .offset:         140
        .size:           2
        .value_kind:     hidden_group_size_x
      - .offset:         142
        .size:           2
        .value_kind:     hidden_group_size_y
      - .offset:         144
        .size:           2
        .value_kind:     hidden_group_size_z
      - .offset:         146
        .size:           2
        .value_kind:     hidden_remainder_x
      - .offset:         148
        .size:           2
        .value_kind:     hidden_remainder_y
      - .offset:         150
        .size:           2
        .value_kind:     hidden_remainder_z
      - .offset:         168
        .size:           8
        .value_kind:     hidden_global_offset_x
      - .offset:         176
        .size:           8
        .value_kind:     hidden_global_offset_y
      - .offset:         184
        .size:           8
        .value_kind:     hidden_global_offset_z
      - .offset:         192
        .size:           2
        .value_kind:     hidden_grid_dims
      - .offset:         208
        .size:           8
        .value_kind:     hidden_hostcall_buffer
    .group_segment_fixed_size: 0
    .kernarg_segment_align: 8
    .kernarg_segment_size: 384
    .language:       OpenCL C
    .language_version:
      - 2
      - 0
    .max_flat_workgroup_size: 448
    .name:           _ZL13mul_mat_f_idsI15__hip_bfloat162Li32ELi3ELi7EEvPKT_PKfPKiS7_S7_Pfiiiiiiiiiiiiii15HIP_vector_typeIjLj3EESA_
    .private_segment_fixed_size: 16
    .sgpr_count:     40
    .sgpr_spill_count: 0
    .symbol:         _ZL13mul_mat_f_idsI15__hip_bfloat162Li32ELi3ELi7EEvPKT_PKfPKiS7_S7_Pfiiiiiiiiiiiiii15HIP_vector_typeIjLj3EESA_.kd
    .uniform_work_group_size: 1
    .uses_dynamic_stack: false
    .vgpr_count:     38
    .vgpr_spill_count: 0
    .wavefront_size: 64
  - .agpr_count:     0
    .args:
      - .actual_access:  read_only
        .address_space:  global
        .offset:         0
        .size:           8
        .value_kind:     global_buffer
      - .actual_access:  read_only
        .address_space:  global
        .offset:         8
        .size:           8
        .value_kind:     global_buffer
      - .actual_access:  read_only
        .address_space:  global
        .offset:         16
        .size:           8
        .value_kind:     global_buffer
      - .actual_access:  read_only
        .address_space:  global
        .offset:         24
        .size:           8
        .value_kind:     global_buffer
      - .offset:         32
        .size:           4
        .value_kind:     by_value
      - .offset:         36
        .size:           4
        .value_kind:     by_value
      - .offset:         40
        .size:           4
        .value_kind:     by_value
      - .offset:         44
        .size:           4
        .value_kind:     by_value
      - .offset:         48
        .size:           4
        .value_kind:     by_value
      - .offset:         52
        .size:           4
        .value_kind:     by_value
      - .offset:         56
        .size:           4
        .value_kind:     by_value
      - .offset:         60
        .size:           4
        .value_kind:     by_value
      - .offset:         64
        .size:           4
        .value_kind:     by_value
      - .offset:         68
        .size:           4
        .value_kind:     by_value
      - .offset:         72
        .size:           4
        .value_kind:     by_value
      - .offset:         76
        .size:           4
        .value_kind:     by_value
      - .offset:         80
        .size:           4
        .value_kind:     by_value
      - .offset:         84
        .size:           4
        .value_kind:     by_value
      - .offset:         88
        .size:           4
        .value_kind:     by_value
      - .offset:         92
        .size:           4
        .value_kind:     by_value
      - .offset:         96
        .size:           4
        .value_kind:     hidden_block_count_x
      - .offset:         100
        .size:           4
        .value_kind:     hidden_block_count_y
      - .offset:         104
        .size:           4
        .value_kind:     hidden_block_count_z
      - .offset:         108
        .size:           2
        .value_kind:     hidden_group_size_x
      - .offset:         110
        .size:           2
        .value_kind:     hidden_group_size_y
      - .offset:         112
        .size:           2
        .value_kind:     hidden_group_size_z
      - .offset:         114
        .size:           2
        .value_kind:     hidden_remainder_x
      - .offset:         116
        .size:           2
        .value_kind:     hidden_remainder_y
      - .offset:         118
        .size:           2
        .value_kind:     hidden_remainder_z
      - .offset:         136
        .size:           8
        .value_kind:     hidden_global_offset_x
      - .offset:         144
        .size:           8
        .value_kind:     hidden_global_offset_y
      - .offset:         152
        .size:           8
        .value_kind:     hidden_global_offset_z
      - .offset:         160
        .size:           2
        .value_kind:     hidden_grid_dims
      - .offset:         176
        .size:           8
        .value_kind:     hidden_hostcall_buffer
    .group_segment_fixed_size: 0
    .kernarg_segment_align: 8
    .kernarg_segment_size: 352
    .language:       OpenCL C
    .language_version:
      - 2
      - 0
    .max_flat_workgroup_size: 448
    .name:           _ZL9mul_mat_fI15__hip_bfloat162Li32ELi3ELi7ELb1EEvPKT_PKfPKiPfiiiiiiiiiiiiiiii
    .private_segment_fixed_size: 16
    .sgpr_count:     40
    .sgpr_spill_count: 0
    .symbol:         _ZL9mul_mat_fI15__hip_bfloat162Li32ELi3ELi7ELb1EEvPKT_PKfPKiPfiiiiiiiiiiiiiiii.kd
    .uniform_work_group_size: 1
    .uses_dynamic_stack: false
    .vgpr_count:     38
    .vgpr_spill_count: 0
    .wavefront_size: 64
  - .agpr_count:     0
    .args:
      - .actual_access:  read_only
        .address_space:  global
        .offset:         0
        .size:           8
        .value_kind:     global_buffer
      - .actual_access:  read_only
        .address_space:  global
        .offset:         8
        .size:           8
        .value_kind:     global_buffer
      - .actual_access:  read_only
        .address_space:  global
        .offset:         16
        .size:           8
        .value_kind:     global_buffer
      - .actual_access:  read_only
        .address_space:  global
        .offset:         24
        .size:           8
        .value_kind:     global_buffer
      - .offset:         32
        .size:           4
        .value_kind:     by_value
      - .offset:         36
        .size:           4
        .value_kind:     by_value
      - .offset:         40
        .size:           4
        .value_kind:     by_value
      - .offset:         44
        .size:           4
        .value_kind:     by_value
      - .offset:         48
        .size:           4
        .value_kind:     by_value
      - .offset:         52
        .size:           4
        .value_kind:     by_value
      - .offset:         56
        .size:           4
        .value_kind:     by_value
      - .offset:         60
        .size:           4
        .value_kind:     by_value
      - .offset:         64
        .size:           4
        .value_kind:     by_value
      - .offset:         68
        .size:           4
        .value_kind:     by_value
      - .offset:         72
        .size:           4
        .value_kind:     by_value
      - .offset:         76
        .size:           4
        .value_kind:     by_value
      - .offset:         80
        .size:           4
        .value_kind:     by_value
      - .offset:         84
        .size:           4
        .value_kind:     by_value
      - .offset:         88
        .size:           4
        .value_kind:     by_value
      - .offset:         92
        .size:           4
        .value_kind:     by_value
      - .offset:         96
        .size:           4
        .value_kind:     hidden_block_count_x
      - .offset:         100
        .size:           4
        .value_kind:     hidden_block_count_y
      - .offset:         104
        .size:           4
        .value_kind:     hidden_block_count_z
      - .offset:         108
        .size:           2
        .value_kind:     hidden_group_size_x
      - .offset:         110
        .size:           2
        .value_kind:     hidden_group_size_y
      - .offset:         112
        .size:           2
        .value_kind:     hidden_group_size_z
      - .offset:         114
        .size:           2
        .value_kind:     hidden_remainder_x
      - .offset:         116
        .size:           2
        .value_kind:     hidden_remainder_y
      - .offset:         118
        .size:           2
        .value_kind:     hidden_remainder_z
      - .offset:         136
        .size:           8
        .value_kind:     hidden_global_offset_x
      - .offset:         144
        .size:           8
        .value_kind:     hidden_global_offset_y
      - .offset:         152
        .size:           8
        .value_kind:     hidden_global_offset_z
      - .offset:         160
        .size:           2
        .value_kind:     hidden_grid_dims
      - .offset:         176
        .size:           8
        .value_kind:     hidden_hostcall_buffer
    .group_segment_fixed_size: 0
    .kernarg_segment_align: 8
    .kernarg_segment_size: 352
    .language:       OpenCL C
    .language_version:
      - 2
      - 0
    .max_flat_workgroup_size: 448
    .name:           _ZL9mul_mat_fI15__hip_bfloat162Li32ELi3ELi7ELb0EEvPKT_PKfPKiPfiiiiiiiiiiiiiiii
    .private_segment_fixed_size: 16
    .sgpr_count:     40
    .sgpr_spill_count: 0
    .symbol:         _ZL9mul_mat_fI15__hip_bfloat162Li32ELi3ELi7ELb0EEvPKT_PKfPKiPfiiiiiiiiiiiiiiii.kd
    .uniform_work_group_size: 1
    .uses_dynamic_stack: false
    .vgpr_count:     38
    .vgpr_spill_count: 0
    .wavefront_size: 64
  - .agpr_count:     0
    .args:
      - .actual_access:  read_only
        .address_space:  global
        .offset:         0
        .size:           8
        .value_kind:     global_buffer
      - .actual_access:  read_only
        .address_space:  global
        .offset:         8
        .size:           8
        .value_kind:     global_buffer
      - .actual_access:  read_only
        .address_space:  global
        .offset:         16
        .size:           8
        .value_kind:     global_buffer
      - .actual_access:  read_only
        .address_space:  global
        .offset:         24
        .size:           8
        .value_kind:     global_buffer
      - .actual_access:  read_only
        .address_space:  global
        .offset:         32
        .size:           8
        .value_kind:     global_buffer
      - .actual_access:  read_only
        .address_space:  global
        .offset:         40
        .size:           8
        .value_kind:     global_buffer
      - .offset:         48
        .size:           4
        .value_kind:     by_value
      - .offset:         52
        .size:           4
        .value_kind:     by_value
      - .offset:         56
        .size:           4
        .value_kind:     by_value
      - .offset:         60
        .size:           4
        .value_kind:     by_value
      - .offset:         64
        .size:           4
        .value_kind:     by_value
      - .offset:         68
        .size:           4
        .value_kind:     by_value
      - .offset:         72
        .size:           4
        .value_kind:     by_value
      - .offset:         76
        .size:           4
        .value_kind:     by_value
      - .offset:         80
        .size:           4
        .value_kind:     by_value
      - .offset:         84
        .size:           4
        .value_kind:     by_value
      - .offset:         88
        .size:           4
        .value_kind:     by_value
      - .offset:         92
        .size:           4
        .value_kind:     by_value
      - .offset:         96
        .size:           4
        .value_kind:     by_value
      - .offset:         100
        .size:           4
        .value_kind:     by_value
      - .offset:         104
        .size:           12
        .value_kind:     by_value
      - .offset:         116
        .size:           12
        .value_kind:     by_value
      - .offset:         128
        .size:           4
        .value_kind:     hidden_block_count_x
      - .offset:         132
        .size:           4
        .value_kind:     hidden_block_count_y
      - .offset:         136
        .size:           4
        .value_kind:     hidden_block_count_z
      - .offset:         140
        .size:           2
        .value_kind:     hidden_group_size_x
      - .offset:         142
        .size:           2
        .value_kind:     hidden_group_size_y
      - .offset:         144
        .size:           2
        .value_kind:     hidden_group_size_z
      - .offset:         146
        .size:           2
        .value_kind:     hidden_remainder_x
      - .offset:         148
        .size:           2
        .value_kind:     hidden_remainder_y
      - .offset:         150
        .size:           2
        .value_kind:     hidden_remainder_z
      - .offset:         168
        .size:           8
        .value_kind:     hidden_global_offset_x
      - .offset:         176
        .size:           8
        .value_kind:     hidden_global_offset_y
      - .offset:         184
        .size:           8
        .value_kind:     hidden_global_offset_z
      - .offset:         192
        .size:           2
        .value_kind:     hidden_grid_dims
      - .offset:         208
        .size:           8
        .value_kind:     hidden_hostcall_buffer
    .group_segment_fixed_size: 0
    .kernarg_segment_align: 8
    .kernarg_segment_size: 384
    .language:       OpenCL C
    .language_version:
      - 2
      - 0
    .max_flat_workgroup_size: 512
    .name:           _ZL13mul_mat_f_idsI15__hip_bfloat162Li32ELi3ELi8EEvPKT_PKfPKiS7_S7_Pfiiiiiiiiiiiiii15HIP_vector_typeIjLj3EESA_
    .private_segment_fixed_size: 16
    .sgpr_count:     40
    .sgpr_spill_count: 0
    .symbol:         _ZL13mul_mat_f_idsI15__hip_bfloat162Li32ELi3ELi8EEvPKT_PKfPKiS7_S7_Pfiiiiiiiiiiiiii15HIP_vector_typeIjLj3EESA_.kd
    .uniform_work_group_size: 1
    .uses_dynamic_stack: false
    .vgpr_count:     38
    .vgpr_spill_count: 0
    .wavefront_size: 64
  - .agpr_count:     0
    .args:
      - .actual_access:  read_only
        .address_space:  global
        .offset:         0
        .size:           8
        .value_kind:     global_buffer
      - .actual_access:  read_only
        .address_space:  global
        .offset:         8
        .size:           8
        .value_kind:     global_buffer
      - .actual_access:  read_only
        .address_space:  global
        .offset:         16
        .size:           8
        .value_kind:     global_buffer
      - .actual_access:  read_only
        .address_space:  global
        .offset:         24
        .size:           8
        .value_kind:     global_buffer
      - .offset:         32
        .size:           4
        .value_kind:     by_value
      - .offset:         36
        .size:           4
        .value_kind:     by_value
      - .offset:         40
        .size:           4
        .value_kind:     by_value
      - .offset:         44
        .size:           4
        .value_kind:     by_value
      - .offset:         48
        .size:           4
        .value_kind:     by_value
      - .offset:         52
        .size:           4
        .value_kind:     by_value
      - .offset:         56
        .size:           4
        .value_kind:     by_value
      - .offset:         60
        .size:           4
        .value_kind:     by_value
      - .offset:         64
        .size:           4
        .value_kind:     by_value
      - .offset:         68
        .size:           4
        .value_kind:     by_value
      - .offset:         72
        .size:           4
        .value_kind:     by_value
      - .offset:         76
        .size:           4
        .value_kind:     by_value
      - .offset:         80
        .size:           4
        .value_kind:     by_value
      - .offset:         84
        .size:           4
        .value_kind:     by_value
      - .offset:         88
        .size:           4
        .value_kind:     by_value
      - .offset:         92
        .size:           4
        .value_kind:     by_value
      - .offset:         96
        .size:           4
        .value_kind:     hidden_block_count_x
      - .offset:         100
        .size:           4
        .value_kind:     hidden_block_count_y
      - .offset:         104
        .size:           4
        .value_kind:     hidden_block_count_z
      - .offset:         108
        .size:           2
        .value_kind:     hidden_group_size_x
      - .offset:         110
        .size:           2
        .value_kind:     hidden_group_size_y
      - .offset:         112
        .size:           2
        .value_kind:     hidden_group_size_z
      - .offset:         114
        .size:           2
        .value_kind:     hidden_remainder_x
      - .offset:         116
        .size:           2
        .value_kind:     hidden_remainder_y
      - .offset:         118
        .size:           2
        .value_kind:     hidden_remainder_z
      - .offset:         136
        .size:           8
        .value_kind:     hidden_global_offset_x
      - .offset:         144
        .size:           8
        .value_kind:     hidden_global_offset_y
      - .offset:         152
        .size:           8
        .value_kind:     hidden_global_offset_z
      - .offset:         160
        .size:           2
        .value_kind:     hidden_grid_dims
      - .offset:         176
        .size:           8
        .value_kind:     hidden_hostcall_buffer
    .group_segment_fixed_size: 0
    .kernarg_segment_align: 8
    .kernarg_segment_size: 352
    .language:       OpenCL C
    .language_version:
      - 2
      - 0
    .max_flat_workgroup_size: 512
    .name:           _ZL9mul_mat_fI15__hip_bfloat162Li32ELi3ELi8ELb1EEvPKT_PKfPKiPfiiiiiiiiiiiiiiii
    .private_segment_fixed_size: 16
    .sgpr_count:     40
    .sgpr_spill_count: 0
    .symbol:         _ZL9mul_mat_fI15__hip_bfloat162Li32ELi3ELi8ELb1EEvPKT_PKfPKiPfiiiiiiiiiiiiiiii.kd
    .uniform_work_group_size: 1
    .uses_dynamic_stack: false
    .vgpr_count:     38
    .vgpr_spill_count: 0
    .wavefront_size: 64
  - .agpr_count:     0
    .args:
      - .actual_access:  read_only
        .address_space:  global
        .offset:         0
        .size:           8
        .value_kind:     global_buffer
      - .actual_access:  read_only
        .address_space:  global
        .offset:         8
        .size:           8
        .value_kind:     global_buffer
      - .actual_access:  read_only
        .address_space:  global
        .offset:         16
        .size:           8
        .value_kind:     global_buffer
      - .actual_access:  read_only
        .address_space:  global
        .offset:         24
        .size:           8
        .value_kind:     global_buffer
      - .offset:         32
        .size:           4
        .value_kind:     by_value
      - .offset:         36
        .size:           4
        .value_kind:     by_value
      - .offset:         40
        .size:           4
        .value_kind:     by_value
      - .offset:         44
        .size:           4
        .value_kind:     by_value
      - .offset:         48
        .size:           4
        .value_kind:     by_value
      - .offset:         52
        .size:           4
        .value_kind:     by_value
      - .offset:         56
        .size:           4
        .value_kind:     by_value
      - .offset:         60
        .size:           4
        .value_kind:     by_value
      - .offset:         64
        .size:           4
        .value_kind:     by_value
      - .offset:         68
        .size:           4
        .value_kind:     by_value
      - .offset:         72
        .size:           4
        .value_kind:     by_value
      - .offset:         76
        .size:           4
        .value_kind:     by_value
      - .offset:         80
        .size:           4
        .value_kind:     by_value
      - .offset:         84
        .size:           4
        .value_kind:     by_value
      - .offset:         88
        .size:           4
        .value_kind:     by_value
      - .offset:         92
        .size:           4
        .value_kind:     by_value
      - .offset:         96
        .size:           4
        .value_kind:     hidden_block_count_x
      - .offset:         100
        .size:           4
        .value_kind:     hidden_block_count_y
      - .offset:         104
        .size:           4
        .value_kind:     hidden_block_count_z
      - .offset:         108
        .size:           2
        .value_kind:     hidden_group_size_x
      - .offset:         110
        .size:           2
        .value_kind:     hidden_group_size_y
      - .offset:         112
        .size:           2
        .value_kind:     hidden_group_size_z
      - .offset:         114
        .size:           2
        .value_kind:     hidden_remainder_x
      - .offset:         116
        .size:           2
        .value_kind:     hidden_remainder_y
      - .offset:         118
        .size:           2
        .value_kind:     hidden_remainder_z
      - .offset:         136
        .size:           8
        .value_kind:     hidden_global_offset_x
      - .offset:         144
        .size:           8
        .value_kind:     hidden_global_offset_y
      - .offset:         152
        .size:           8
        .value_kind:     hidden_global_offset_z
      - .offset:         160
        .size:           2
        .value_kind:     hidden_grid_dims
      - .offset:         176
        .size:           8
        .value_kind:     hidden_hostcall_buffer
    .group_segment_fixed_size: 0
    .kernarg_segment_align: 8
    .kernarg_segment_size: 352
    .language:       OpenCL C
    .language_version:
      - 2
      - 0
    .max_flat_workgroup_size: 512
    .name:           _ZL9mul_mat_fI15__hip_bfloat162Li32ELi3ELi8ELb0EEvPKT_PKfPKiPfiiiiiiiiiiiiiiii
    .private_segment_fixed_size: 16
    .sgpr_count:     40
    .sgpr_spill_count: 0
    .symbol:         _ZL9mul_mat_fI15__hip_bfloat162Li32ELi3ELi8ELb0EEvPKT_PKfPKiPfiiiiiiiiiiiiiiii.kd
    .uniform_work_group_size: 1
    .uses_dynamic_stack: false
    .vgpr_count:     38
    .vgpr_spill_count: 0
    .wavefront_size: 64
  - .agpr_count:     16
    .args:
      - .actual_access:  read_only
        .address_space:  global
        .offset:         0
        .size:           8
        .value_kind:     global_buffer
      - .actual_access:  read_only
        .address_space:  global
        .offset:         8
        .size:           8
        .value_kind:     global_buffer
      - .actual_access:  read_only
        .address_space:  global
        .offset:         16
        .size:           8
        .value_kind:     global_buffer
      - .actual_access:  read_only
        .address_space:  global
        .offset:         24
        .size:           8
        .value_kind:     global_buffer
      - .actual_access:  read_only
        .address_space:  global
        .offset:         32
        .size:           8
        .value_kind:     global_buffer
      - .actual_access:  write_only
        .address_space:  global
        .offset:         40
        .size:           8
        .value_kind:     global_buffer
      - .offset:         48
        .size:           4
        .value_kind:     by_value
      - .offset:         52
        .size:           4
        .value_kind:     by_value
      - .offset:         56
        .size:           4
        .value_kind:     by_value
      - .offset:         60
        .size:           4
        .value_kind:     by_value
      - .offset:         64
        .size:           4
        .value_kind:     by_value
      - .offset:         68
        .size:           4
        .value_kind:     by_value
      - .offset:         72
        .size:           4
        .value_kind:     by_value
      - .offset:         76
        .size:           4
        .value_kind:     by_value
      - .offset:         80
        .size:           4
        .value_kind:     by_value
      - .offset:         84
        .size:           4
        .value_kind:     by_value
      - .offset:         88
        .size:           4
        .value_kind:     by_value
      - .offset:         92
        .size:           4
        .value_kind:     by_value
      - .offset:         96
        .size:           4
        .value_kind:     by_value
      - .offset:         100
        .size:           4
        .value_kind:     by_value
      - .offset:         104
        .size:           12
        .value_kind:     by_value
      - .offset:         116
        .size:           12
        .value_kind:     by_value
    .group_segment_fixed_size: 0
    .kernarg_segment_align: 8
    .kernarg_segment_size: 128
    .language:       OpenCL C
    .language_version:
      - 2
      - 0
    .max_flat_workgroup_size: 64
    .name:           _ZL13mul_mat_f_idsIfLi64ELi3ELi1EEvPKT_PKfPKiS6_S6_Pfiiiiiiiiiiiiii15HIP_vector_typeIjLj3EES9_
    .private_segment_fixed_size: 0
    .sgpr_count:     106
    .sgpr_spill_count: 5
    .symbol:         _ZL13mul_mat_f_idsIfLi64ELi3ELi1EEvPKT_PKfPKiS6_S6_Pfiiiiiiiiiiiiii15HIP_vector_typeIjLj3EES9_.kd
    .uniform_work_group_size: 1
    .uses_dynamic_stack: false
    .vgpr_count:     104
    .vgpr_spill_count: 0
    .wavefront_size: 64
  - .agpr_count:     16
    .args:
      - .actual_access:  read_only
        .address_space:  global
        .offset:         0
        .size:           8
        .value_kind:     global_buffer
      - .actual_access:  read_only
        .address_space:  global
        .offset:         8
        .size:           8
        .value_kind:     global_buffer
      - .actual_access:  read_only
        .address_space:  global
        .offset:         16
        .size:           8
        .value_kind:     global_buffer
      - .actual_access:  write_only
        .address_space:  global
        .offset:         24
        .size:           8
        .value_kind:     global_buffer
      - .offset:         32
        .size:           4
        .value_kind:     by_value
      - .offset:         36
        .size:           4
        .value_kind:     by_value
      - .offset:         40
        .size:           4
        .value_kind:     by_value
      - .offset:         44
        .size:           4
        .value_kind:     by_value
      - .offset:         48
        .size:           4
        .value_kind:     by_value
      - .offset:         52
        .size:           4
        .value_kind:     by_value
      - .offset:         56
        .size:           4
        .value_kind:     by_value
      - .offset:         60
        .size:           4
        .value_kind:     by_value
      - .offset:         64
        .size:           4
        .value_kind:     by_value
      - .offset:         68
        .size:           4
        .value_kind:     by_value
      - .offset:         72
        .size:           4
        .value_kind:     by_value
      - .offset:         76
        .size:           4
        .value_kind:     by_value
      - .offset:         80
        .size:           4
        .value_kind:     by_value
      - .offset:         84
        .size:           4
        .value_kind:     by_value
      - .offset:         88
        .size:           4
        .value_kind:     by_value
      - .offset:         92
        .size:           4
        .value_kind:     by_value
      - .offset:         96
        .size:           4
        .value_kind:     hidden_block_count_x
      - .offset:         100
        .size:           4
        .value_kind:     hidden_block_count_y
      - .offset:         104
        .size:           4
        .value_kind:     hidden_block_count_z
      - .offset:         108
        .size:           2
        .value_kind:     hidden_group_size_x
      - .offset:         110
        .size:           2
        .value_kind:     hidden_group_size_y
      - .offset:         112
        .size:           2
        .value_kind:     hidden_group_size_z
      - .offset:         114
        .size:           2
        .value_kind:     hidden_remainder_x
      - .offset:         116
        .size:           2
        .value_kind:     hidden_remainder_y
      - .offset:         118
        .size:           2
        .value_kind:     hidden_remainder_z
      - .offset:         136
        .size:           8
        .value_kind:     hidden_global_offset_x
      - .offset:         144
        .size:           8
        .value_kind:     hidden_global_offset_y
      - .offset:         152
        .size:           8
        .value_kind:     hidden_global_offset_z
      - .offset:         160
        .size:           2
        .value_kind:     hidden_grid_dims
      - .offset:         216
        .size:           4
        .value_kind:     hidden_dynamic_lds_size
    .group_segment_fixed_size: 256
    .kernarg_segment_align: 8
    .kernarg_segment_size: 352
    .language:       OpenCL C
    .language_version:
      - 2
      - 0
    .max_flat_workgroup_size: 64
    .name:           _ZL9mul_mat_fIfLi64ELi3ELi1ELb1EEvPKT_PKfPKiPfiiiiiiiiiiiiiiii
    .private_segment_fixed_size: 0
    .sgpr_count:     101
    .sgpr_spill_count: 0
    .symbol:         _ZL9mul_mat_fIfLi64ELi3ELi1ELb1EEvPKT_PKfPKiPfiiiiiiiiiiiiiiii.kd
    .uniform_work_group_size: 1
    .uses_dynamic_stack: false
    .vgpr_count:     108
    .vgpr_spill_count: 0
    .wavefront_size: 64
  - .agpr_count:     16
    .args:
      - .actual_access:  read_only
        .address_space:  global
        .offset:         0
        .size:           8
        .value_kind:     global_buffer
      - .actual_access:  read_only
        .address_space:  global
        .offset:         8
        .size:           8
        .value_kind:     global_buffer
      - .actual_access:  read_only
        .address_space:  global
        .offset:         16
        .size:           8
        .value_kind:     global_buffer
      - .actual_access:  write_only
        .address_space:  global
        .offset:         24
        .size:           8
        .value_kind:     global_buffer
      - .offset:         32
        .size:           4
        .value_kind:     by_value
      - .offset:         36
        .size:           4
        .value_kind:     by_value
      - .offset:         40
        .size:           4
        .value_kind:     by_value
      - .offset:         44
        .size:           4
        .value_kind:     by_value
      - .offset:         48
        .size:           4
        .value_kind:     by_value
      - .offset:         52
        .size:           4
        .value_kind:     by_value
      - .offset:         56
        .size:           4
        .value_kind:     by_value
      - .offset:         60
        .size:           4
        .value_kind:     by_value
      - .offset:         64
        .size:           4
        .value_kind:     by_value
      - .offset:         68
        .size:           4
        .value_kind:     by_value
      - .offset:         72
        .size:           4
        .value_kind:     by_value
      - .offset:         76
        .size:           4
        .value_kind:     by_value
      - .offset:         80
        .size:           4
        .value_kind:     by_value
      - .offset:         84
        .size:           4
        .value_kind:     by_value
      - .offset:         88
        .size:           4
        .value_kind:     by_value
      - .offset:         92
        .size:           4
        .value_kind:     by_value
    .group_segment_fixed_size: 0
    .kernarg_segment_align: 8
    .kernarg_segment_size: 96
    .language:       OpenCL C
    .language_version:
      - 2
      - 0
    .max_flat_workgroup_size: 64
    .name:           _ZL9mul_mat_fIfLi64ELi3ELi1ELb0EEvPKT_PKfPKiPfiiiiiiiiiiiiiiii
    .private_segment_fixed_size: 0
    .sgpr_count:     87
    .sgpr_spill_count: 0
    .symbol:         _ZL9mul_mat_fIfLi64ELi3ELi1ELb0EEvPKT_PKfPKiPfiiiiiiiiiiiiiiii.kd
    .uniform_work_group_size: 1
    .uses_dynamic_stack: false
    .vgpr_count:     120
    .vgpr_spill_count: 0
    .wavefront_size: 64
  - .agpr_count:     16
    .args:
      - .actual_access:  read_only
        .address_space:  global
        .offset:         0
        .size:           8
        .value_kind:     global_buffer
      - .actual_access:  read_only
        .address_space:  global
        .offset:         8
        .size:           8
        .value_kind:     global_buffer
      - .actual_access:  read_only
        .address_space:  global
        .offset:         16
        .size:           8
        .value_kind:     global_buffer
      - .actual_access:  read_only
        .address_space:  global
        .offset:         24
        .size:           8
        .value_kind:     global_buffer
      - .actual_access:  read_only
        .address_space:  global
        .offset:         32
        .size:           8
        .value_kind:     global_buffer
      - .actual_access:  write_only
        .address_space:  global
        .offset:         40
        .size:           8
        .value_kind:     global_buffer
      - .offset:         48
        .size:           4
        .value_kind:     by_value
      - .offset:         52
        .size:           4
        .value_kind:     by_value
      - .offset:         56
        .size:           4
        .value_kind:     by_value
      - .offset:         60
        .size:           4
        .value_kind:     by_value
      - .offset:         64
        .size:           4
        .value_kind:     by_value
      - .offset:         68
        .size:           4
        .value_kind:     by_value
      - .offset:         72
        .size:           4
        .value_kind:     by_value
      - .offset:         76
        .size:           4
        .value_kind:     by_value
      - .offset:         80
        .size:           4
        .value_kind:     by_value
      - .offset:         84
        .size:           4
        .value_kind:     by_value
      - .offset:         88
        .size:           4
        .value_kind:     by_value
      - .offset:         92
        .size:           4
        .value_kind:     by_value
      - .offset:         96
        .size:           4
        .value_kind:     by_value
      - .offset:         100
        .size:           4
        .value_kind:     by_value
      - .offset:         104
        .size:           12
        .value_kind:     by_value
      - .offset:         116
        .size:           12
        .value_kind:     by_value
    .group_segment_fixed_size: 0
    .kernarg_segment_align: 8
    .kernarg_segment_size: 128
    .language:       OpenCL C
    .language_version:
      - 2
      - 0
    .max_flat_workgroup_size: 128
    .name:           _ZL13mul_mat_f_idsIfLi64ELi3ELi2EEvPKT_PKfPKiS6_S6_Pfiiiiiiiiiiiiii15HIP_vector_typeIjLj3EES9_
    .private_segment_fixed_size: 0
    .sgpr_count:     106
    .sgpr_spill_count: 4
    .symbol:         _ZL13mul_mat_f_idsIfLi64ELi3ELi2EEvPKT_PKfPKiS6_S6_Pfiiiiiiiiiiiiii15HIP_vector_typeIjLj3EES9_.kd
    .uniform_work_group_size: 1
    .uses_dynamic_stack: false
    .vgpr_count:     104
    .vgpr_spill_count: 0
    .wavefront_size: 64
  - .agpr_count:     16
    .args:
      - .actual_access:  read_only
        .address_space:  global
        .offset:         0
        .size:           8
        .value_kind:     global_buffer
      - .actual_access:  read_only
        .address_space:  global
        .offset:         8
        .size:           8
        .value_kind:     global_buffer
      - .actual_access:  read_only
        .address_space:  global
        .offset:         16
        .size:           8
        .value_kind:     global_buffer
      - .actual_access:  write_only
        .address_space:  global
        .offset:         24
        .size:           8
        .value_kind:     global_buffer
      - .offset:         32
        .size:           4
        .value_kind:     by_value
      - .offset:         36
        .size:           4
        .value_kind:     by_value
      - .offset:         40
        .size:           4
        .value_kind:     by_value
      - .offset:         44
        .size:           4
        .value_kind:     by_value
      - .offset:         48
        .size:           4
        .value_kind:     by_value
      - .offset:         52
        .size:           4
        .value_kind:     by_value
      - .offset:         56
        .size:           4
        .value_kind:     by_value
      - .offset:         60
        .size:           4
        .value_kind:     by_value
      - .offset:         64
        .size:           4
        .value_kind:     by_value
      - .offset:         68
        .size:           4
        .value_kind:     by_value
      - .offset:         72
        .size:           4
        .value_kind:     by_value
      - .offset:         76
        .size:           4
        .value_kind:     by_value
      - .offset:         80
        .size:           4
        .value_kind:     by_value
      - .offset:         84
        .size:           4
        .value_kind:     by_value
      - .offset:         88
        .size:           4
        .value_kind:     by_value
      - .offset:         92
        .size:           4
        .value_kind:     by_value
      - .offset:         96
        .size:           4
        .value_kind:     hidden_block_count_x
      - .offset:         100
        .size:           4
        .value_kind:     hidden_block_count_y
      - .offset:         104
        .size:           4
        .value_kind:     hidden_block_count_z
      - .offset:         108
        .size:           2
        .value_kind:     hidden_group_size_x
      - .offset:         110
        .size:           2
        .value_kind:     hidden_group_size_y
      - .offset:         112
        .size:           2
        .value_kind:     hidden_group_size_z
      - .offset:         114
        .size:           2
        .value_kind:     hidden_remainder_x
      - .offset:         116
        .size:           2
        .value_kind:     hidden_remainder_y
      - .offset:         118
        .size:           2
        .value_kind:     hidden_remainder_z
      - .offset:         136
        .size:           8
        .value_kind:     hidden_global_offset_x
      - .offset:         144
        .size:           8
        .value_kind:     hidden_global_offset_y
      - .offset:         152
        .size:           8
        .value_kind:     hidden_global_offset_z
      - .offset:         160
        .size:           2
        .value_kind:     hidden_grid_dims
      - .offset:         216
        .size:           4
        .value_kind:     hidden_dynamic_lds_size
    .group_segment_fixed_size: 256
    .kernarg_segment_align: 8
    .kernarg_segment_size: 352
    .language:       OpenCL C
    .language_version:
      - 2
      - 0
    .max_flat_workgroup_size: 128
    .name:           _ZL9mul_mat_fIfLi64ELi3ELi2ELb1EEvPKT_PKfPKiPfiiiiiiiiiiiiiiii
    .private_segment_fixed_size: 0
    .sgpr_count:     99
    .sgpr_spill_count: 0
    .symbol:         _ZL9mul_mat_fIfLi64ELi3ELi2ELb1EEvPKT_PKfPKiPfiiiiiiiiiiiiiiii.kd
    .uniform_work_group_size: 1
    .uses_dynamic_stack: false
    .vgpr_count:     108
    .vgpr_spill_count: 0
    .wavefront_size: 64
  - .agpr_count:     16
    .args:
      - .actual_access:  read_only
        .address_space:  global
        .offset:         0
        .size:           8
        .value_kind:     global_buffer
      - .actual_access:  read_only
        .address_space:  global
        .offset:         8
        .size:           8
        .value_kind:     global_buffer
      - .actual_access:  read_only
        .address_space:  global
        .offset:         16
        .size:           8
        .value_kind:     global_buffer
      - .actual_access:  write_only
        .address_space:  global
        .offset:         24
        .size:           8
        .value_kind:     global_buffer
      - .offset:         32
        .size:           4
        .value_kind:     by_value
      - .offset:         36
        .size:           4
        .value_kind:     by_value
      - .offset:         40
        .size:           4
        .value_kind:     by_value
      - .offset:         44
        .size:           4
        .value_kind:     by_value
      - .offset:         48
        .size:           4
        .value_kind:     by_value
      - .offset:         52
        .size:           4
        .value_kind:     by_value
      - .offset:         56
        .size:           4
        .value_kind:     by_value
      - .offset:         60
        .size:           4
        .value_kind:     by_value
      - .offset:         64
        .size:           4
        .value_kind:     by_value
      - .offset:         68
        .size:           4
        .value_kind:     by_value
      - .offset:         72
        .size:           4
        .value_kind:     by_value
      - .offset:         76
        .size:           4
        .value_kind:     by_value
      - .offset:         80
        .size:           4
        .value_kind:     by_value
      - .offset:         84
        .size:           4
        .value_kind:     by_value
      - .offset:         88
        .size:           4
        .value_kind:     by_value
      - .offset:         92
        .size:           4
        .value_kind:     by_value
    .group_segment_fixed_size: 0
    .kernarg_segment_align: 8
    .kernarg_segment_size: 96
    .language:       OpenCL C
    .language_version:
      - 2
      - 0
    .max_flat_workgroup_size: 128
    .name:           _ZL9mul_mat_fIfLi64ELi3ELi2ELb0EEvPKT_PKfPKiPfiiiiiiiiiiiiiiii
    .private_segment_fixed_size: 0
    .sgpr_count:     87
    .sgpr_spill_count: 0
    .symbol:         _ZL9mul_mat_fIfLi64ELi3ELi2ELb0EEvPKT_PKfPKiPfiiiiiiiiiiiiiiii.kd
    .uniform_work_group_size: 1
    .uses_dynamic_stack: false
    .vgpr_count:     120
    .vgpr_spill_count: 0
    .wavefront_size: 64
  - .agpr_count:     16
    .args:
      - .actual_access:  read_only
        .address_space:  global
        .offset:         0
        .size:           8
        .value_kind:     global_buffer
      - .actual_access:  read_only
        .address_space:  global
        .offset:         8
        .size:           8
        .value_kind:     global_buffer
      - .actual_access:  read_only
        .address_space:  global
        .offset:         16
        .size:           8
        .value_kind:     global_buffer
      - .actual_access:  read_only
        .address_space:  global
        .offset:         24
        .size:           8
        .value_kind:     global_buffer
      - .actual_access:  read_only
        .address_space:  global
        .offset:         32
        .size:           8
        .value_kind:     global_buffer
      - .actual_access:  write_only
        .address_space:  global
        .offset:         40
        .size:           8
        .value_kind:     global_buffer
      - .offset:         48
        .size:           4
        .value_kind:     by_value
      - .offset:         52
        .size:           4
        .value_kind:     by_value
      - .offset:         56
        .size:           4
        .value_kind:     by_value
      - .offset:         60
        .size:           4
        .value_kind:     by_value
      - .offset:         64
        .size:           4
        .value_kind:     by_value
      - .offset:         68
        .size:           4
        .value_kind:     by_value
      - .offset:         72
        .size:           4
        .value_kind:     by_value
      - .offset:         76
        .size:           4
        .value_kind:     by_value
      - .offset:         80
        .size:           4
        .value_kind:     by_value
      - .offset:         84
        .size:           4
        .value_kind:     by_value
      - .offset:         88
        .size:           4
        .value_kind:     by_value
      - .offset:         92
        .size:           4
        .value_kind:     by_value
      - .offset:         96
        .size:           4
        .value_kind:     by_value
      - .offset:         100
        .size:           4
        .value_kind:     by_value
      - .offset:         104
        .size:           12
        .value_kind:     by_value
      - .offset:         116
        .size:           12
        .value_kind:     by_value
    .group_segment_fixed_size: 0
    .kernarg_segment_align: 8
    .kernarg_segment_size: 128
    .language:       OpenCL C
    .language_version:
      - 2
      - 0
    .max_flat_workgroup_size: 192
    .name:           _ZL13mul_mat_f_idsIfLi64ELi3ELi3EEvPKT_PKfPKiS6_S6_Pfiiiiiiiiiiiiii15HIP_vector_typeIjLj3EES9_
    .private_segment_fixed_size: 0
    .sgpr_count:     106
    .sgpr_spill_count: 4
    .symbol:         _ZL13mul_mat_f_idsIfLi64ELi3ELi3EEvPKT_PKfPKiS6_S6_Pfiiiiiiiiiiiiii15HIP_vector_typeIjLj3EES9_.kd
    .uniform_work_group_size: 1
    .uses_dynamic_stack: false
    .vgpr_count:     104
    .vgpr_spill_count: 0
    .wavefront_size: 64
  - .agpr_count:     16
    .args:
      - .actual_access:  read_only
        .address_space:  global
        .offset:         0
        .size:           8
        .value_kind:     global_buffer
      - .actual_access:  read_only
        .address_space:  global
        .offset:         8
        .size:           8
        .value_kind:     global_buffer
      - .actual_access:  read_only
        .address_space:  global
        .offset:         16
        .size:           8
        .value_kind:     global_buffer
      - .actual_access:  write_only
        .address_space:  global
        .offset:         24
        .size:           8
        .value_kind:     global_buffer
      - .offset:         32
        .size:           4
        .value_kind:     by_value
      - .offset:         36
        .size:           4
        .value_kind:     by_value
      - .offset:         40
        .size:           4
        .value_kind:     by_value
      - .offset:         44
        .size:           4
        .value_kind:     by_value
      - .offset:         48
        .size:           4
        .value_kind:     by_value
      - .offset:         52
        .size:           4
        .value_kind:     by_value
      - .offset:         56
        .size:           4
        .value_kind:     by_value
      - .offset:         60
        .size:           4
        .value_kind:     by_value
      - .offset:         64
        .size:           4
        .value_kind:     by_value
      - .offset:         68
        .size:           4
        .value_kind:     by_value
      - .offset:         72
        .size:           4
        .value_kind:     by_value
      - .offset:         76
        .size:           4
        .value_kind:     by_value
      - .offset:         80
        .size:           4
        .value_kind:     by_value
      - .offset:         84
        .size:           4
        .value_kind:     by_value
      - .offset:         88
        .size:           4
        .value_kind:     by_value
      - .offset:         92
        .size:           4
        .value_kind:     by_value
      - .offset:         96
        .size:           4
        .value_kind:     hidden_block_count_x
      - .offset:         100
        .size:           4
        .value_kind:     hidden_block_count_y
      - .offset:         104
        .size:           4
        .value_kind:     hidden_block_count_z
      - .offset:         108
        .size:           2
        .value_kind:     hidden_group_size_x
      - .offset:         110
        .size:           2
        .value_kind:     hidden_group_size_y
      - .offset:         112
        .size:           2
        .value_kind:     hidden_group_size_z
      - .offset:         114
        .size:           2
        .value_kind:     hidden_remainder_x
      - .offset:         116
        .size:           2
        .value_kind:     hidden_remainder_y
      - .offset:         118
        .size:           2
        .value_kind:     hidden_remainder_z
      - .offset:         136
        .size:           8
        .value_kind:     hidden_global_offset_x
      - .offset:         144
        .size:           8
        .value_kind:     hidden_global_offset_y
      - .offset:         152
        .size:           8
        .value_kind:     hidden_global_offset_z
      - .offset:         160
        .size:           2
        .value_kind:     hidden_grid_dims
      - .offset:         216
        .size:           4
        .value_kind:     hidden_dynamic_lds_size
    .group_segment_fixed_size: 256
    .kernarg_segment_align: 8
    .kernarg_segment_size: 352
    .language:       OpenCL C
    .language_version:
      - 2
      - 0
    .max_flat_workgroup_size: 192
    .name:           _ZL9mul_mat_fIfLi64ELi3ELi3ELb1EEvPKT_PKfPKiPfiiiiiiiiiiiiiiii
    .private_segment_fixed_size: 0
    .sgpr_count:     97
    .sgpr_spill_count: 0
    .symbol:         _ZL9mul_mat_fIfLi64ELi3ELi3ELb1EEvPKT_PKfPKiPfiiiiiiiiiiiiiiii.kd
    .uniform_work_group_size: 1
    .uses_dynamic_stack: false
    .vgpr_count:     108
    .vgpr_spill_count: 0
    .wavefront_size: 64
  - .agpr_count:     16
    .args:
      - .actual_access:  read_only
        .address_space:  global
        .offset:         0
        .size:           8
        .value_kind:     global_buffer
      - .actual_access:  read_only
        .address_space:  global
        .offset:         8
        .size:           8
        .value_kind:     global_buffer
      - .actual_access:  read_only
        .address_space:  global
        .offset:         16
        .size:           8
        .value_kind:     global_buffer
      - .actual_access:  write_only
        .address_space:  global
        .offset:         24
        .size:           8
        .value_kind:     global_buffer
      - .offset:         32
        .size:           4
        .value_kind:     by_value
      - .offset:         36
        .size:           4
        .value_kind:     by_value
      - .offset:         40
        .size:           4
        .value_kind:     by_value
      - .offset:         44
        .size:           4
        .value_kind:     by_value
      - .offset:         48
        .size:           4
        .value_kind:     by_value
      - .offset:         52
        .size:           4
        .value_kind:     by_value
      - .offset:         56
        .size:           4
        .value_kind:     by_value
      - .offset:         60
        .size:           4
        .value_kind:     by_value
      - .offset:         64
        .size:           4
        .value_kind:     by_value
      - .offset:         68
        .size:           4
        .value_kind:     by_value
      - .offset:         72
        .size:           4
        .value_kind:     by_value
      - .offset:         76
        .size:           4
        .value_kind:     by_value
      - .offset:         80
        .size:           4
        .value_kind:     by_value
      - .offset:         84
        .size:           4
        .value_kind:     by_value
      - .offset:         88
        .size:           4
        .value_kind:     by_value
      - .offset:         92
        .size:           4
        .value_kind:     by_value
    .group_segment_fixed_size: 0
    .kernarg_segment_align: 8
    .kernarg_segment_size: 96
    .language:       OpenCL C
    .language_version:
      - 2
      - 0
    .max_flat_workgroup_size: 192
    .name:           _ZL9mul_mat_fIfLi64ELi3ELi3ELb0EEvPKT_PKfPKiPfiiiiiiiiiiiiiiii
    .private_segment_fixed_size: 0
    .sgpr_count:     87
    .sgpr_spill_count: 0
    .symbol:         _ZL9mul_mat_fIfLi64ELi3ELi3ELb0EEvPKT_PKfPKiPfiiiiiiiiiiiiiiii.kd
    .uniform_work_group_size: 1
    .uses_dynamic_stack: false
    .vgpr_count:     120
    .vgpr_spill_count: 0
    .wavefront_size: 64
  - .agpr_count:     16
    .args:
      - .actual_access:  read_only
        .address_space:  global
        .offset:         0
        .size:           8
        .value_kind:     global_buffer
      - .actual_access:  read_only
        .address_space:  global
        .offset:         8
        .size:           8
        .value_kind:     global_buffer
      - .actual_access:  read_only
        .address_space:  global
        .offset:         16
        .size:           8
        .value_kind:     global_buffer
      - .actual_access:  read_only
        .address_space:  global
        .offset:         24
        .size:           8
        .value_kind:     global_buffer
      - .actual_access:  read_only
        .address_space:  global
        .offset:         32
        .size:           8
        .value_kind:     global_buffer
      - .actual_access:  write_only
        .address_space:  global
        .offset:         40
        .size:           8
        .value_kind:     global_buffer
      - .offset:         48
        .size:           4
        .value_kind:     by_value
      - .offset:         52
        .size:           4
        .value_kind:     by_value
      - .offset:         56
        .size:           4
        .value_kind:     by_value
      - .offset:         60
        .size:           4
        .value_kind:     by_value
      - .offset:         64
        .size:           4
        .value_kind:     by_value
      - .offset:         68
        .size:           4
        .value_kind:     by_value
      - .offset:         72
        .size:           4
        .value_kind:     by_value
      - .offset:         76
        .size:           4
        .value_kind:     by_value
      - .offset:         80
        .size:           4
        .value_kind:     by_value
      - .offset:         84
        .size:           4
        .value_kind:     by_value
      - .offset:         88
        .size:           4
        .value_kind:     by_value
      - .offset:         92
        .size:           4
        .value_kind:     by_value
      - .offset:         96
        .size:           4
        .value_kind:     by_value
      - .offset:         100
        .size:           4
        .value_kind:     by_value
      - .offset:         104
        .size:           12
        .value_kind:     by_value
      - .offset:         116
        .size:           12
        .value_kind:     by_value
    .group_segment_fixed_size: 0
    .kernarg_segment_align: 8
    .kernarg_segment_size: 128
    .language:       OpenCL C
    .language_version:
      - 2
      - 0
    .max_flat_workgroup_size: 256
    .name:           _ZL13mul_mat_f_idsIfLi64ELi3ELi4EEvPKT_PKfPKiS6_S6_Pfiiiiiiiiiiiiii15HIP_vector_typeIjLj3EES9_
    .private_segment_fixed_size: 0
    .sgpr_count:     106
    .sgpr_spill_count: 4
    .symbol:         _ZL13mul_mat_f_idsIfLi64ELi3ELi4EEvPKT_PKfPKiS6_S6_Pfiiiiiiiiiiiiii15HIP_vector_typeIjLj3EES9_.kd
    .uniform_work_group_size: 1
    .uses_dynamic_stack: false
    .vgpr_count:     104
    .vgpr_spill_count: 0
    .wavefront_size: 64
  - .agpr_count:     16
    .args:
      - .actual_access:  read_only
        .address_space:  global
        .offset:         0
        .size:           8
        .value_kind:     global_buffer
      - .actual_access:  read_only
        .address_space:  global
        .offset:         8
        .size:           8
        .value_kind:     global_buffer
      - .actual_access:  read_only
        .address_space:  global
        .offset:         16
        .size:           8
        .value_kind:     global_buffer
      - .actual_access:  write_only
        .address_space:  global
        .offset:         24
        .size:           8
        .value_kind:     global_buffer
      - .offset:         32
        .size:           4
        .value_kind:     by_value
      - .offset:         36
        .size:           4
        .value_kind:     by_value
      - .offset:         40
        .size:           4
        .value_kind:     by_value
      - .offset:         44
        .size:           4
        .value_kind:     by_value
      - .offset:         48
        .size:           4
        .value_kind:     by_value
      - .offset:         52
        .size:           4
        .value_kind:     by_value
      - .offset:         56
        .size:           4
        .value_kind:     by_value
      - .offset:         60
        .size:           4
        .value_kind:     by_value
      - .offset:         64
        .size:           4
        .value_kind:     by_value
      - .offset:         68
        .size:           4
        .value_kind:     by_value
      - .offset:         72
        .size:           4
        .value_kind:     by_value
      - .offset:         76
        .size:           4
        .value_kind:     by_value
      - .offset:         80
        .size:           4
        .value_kind:     by_value
      - .offset:         84
        .size:           4
        .value_kind:     by_value
      - .offset:         88
        .size:           4
        .value_kind:     by_value
      - .offset:         92
        .size:           4
        .value_kind:     by_value
      - .offset:         96
        .size:           4
        .value_kind:     hidden_block_count_x
      - .offset:         100
        .size:           4
        .value_kind:     hidden_block_count_y
      - .offset:         104
        .size:           4
        .value_kind:     hidden_block_count_z
      - .offset:         108
        .size:           2
        .value_kind:     hidden_group_size_x
      - .offset:         110
        .size:           2
        .value_kind:     hidden_group_size_y
      - .offset:         112
        .size:           2
        .value_kind:     hidden_group_size_z
      - .offset:         114
        .size:           2
        .value_kind:     hidden_remainder_x
      - .offset:         116
        .size:           2
        .value_kind:     hidden_remainder_y
      - .offset:         118
        .size:           2
        .value_kind:     hidden_remainder_z
      - .offset:         136
        .size:           8
        .value_kind:     hidden_global_offset_x
      - .offset:         144
        .size:           8
        .value_kind:     hidden_global_offset_y
      - .offset:         152
        .size:           8
        .value_kind:     hidden_global_offset_z
      - .offset:         160
        .size:           2
        .value_kind:     hidden_grid_dims
      - .offset:         216
        .size:           4
        .value_kind:     hidden_dynamic_lds_size
    .group_segment_fixed_size: 256
    .kernarg_segment_align: 8
    .kernarg_segment_size: 352
    .language:       OpenCL C
    .language_version:
      - 2
      - 0
    .max_flat_workgroup_size: 256
    .name:           _ZL9mul_mat_fIfLi64ELi3ELi4ELb1EEvPKT_PKfPKiPfiiiiiiiiiiiiiiii
    .private_segment_fixed_size: 0
    .sgpr_count:     95
    .sgpr_spill_count: 0
    .symbol:         _ZL9mul_mat_fIfLi64ELi3ELi4ELb1EEvPKT_PKfPKiPfiiiiiiiiiiiiiiii.kd
    .uniform_work_group_size: 1
    .uses_dynamic_stack: false
    .vgpr_count:     108
    .vgpr_spill_count: 0
    .wavefront_size: 64
  - .agpr_count:     16
    .args:
      - .actual_access:  read_only
        .address_space:  global
        .offset:         0
        .size:           8
        .value_kind:     global_buffer
      - .actual_access:  read_only
        .address_space:  global
        .offset:         8
        .size:           8
        .value_kind:     global_buffer
      - .actual_access:  read_only
        .address_space:  global
        .offset:         16
        .size:           8
        .value_kind:     global_buffer
      - .actual_access:  write_only
        .address_space:  global
        .offset:         24
        .size:           8
        .value_kind:     global_buffer
      - .offset:         32
        .size:           4
        .value_kind:     by_value
      - .offset:         36
        .size:           4
        .value_kind:     by_value
      - .offset:         40
        .size:           4
        .value_kind:     by_value
      - .offset:         44
        .size:           4
        .value_kind:     by_value
      - .offset:         48
        .size:           4
        .value_kind:     by_value
      - .offset:         52
        .size:           4
        .value_kind:     by_value
      - .offset:         56
        .size:           4
        .value_kind:     by_value
      - .offset:         60
        .size:           4
        .value_kind:     by_value
      - .offset:         64
        .size:           4
        .value_kind:     by_value
      - .offset:         68
        .size:           4
        .value_kind:     by_value
      - .offset:         72
        .size:           4
        .value_kind:     by_value
      - .offset:         76
        .size:           4
        .value_kind:     by_value
      - .offset:         80
        .size:           4
        .value_kind:     by_value
      - .offset:         84
        .size:           4
        .value_kind:     by_value
      - .offset:         88
        .size:           4
        .value_kind:     by_value
      - .offset:         92
        .size:           4
        .value_kind:     by_value
    .group_segment_fixed_size: 0
    .kernarg_segment_align: 8
    .kernarg_segment_size: 96
    .language:       OpenCL C
    .language_version:
      - 2
      - 0
    .max_flat_workgroup_size: 256
    .name:           _ZL9mul_mat_fIfLi64ELi3ELi4ELb0EEvPKT_PKfPKiPfiiiiiiiiiiiiiiii
    .private_segment_fixed_size: 0
    .sgpr_count:     87
    .sgpr_spill_count: 0
    .symbol:         _ZL9mul_mat_fIfLi64ELi3ELi4ELb0EEvPKT_PKfPKiPfiiiiiiiiiiiiiiii.kd
    .uniform_work_group_size: 1
    .uses_dynamic_stack: false
    .vgpr_count:     120
    .vgpr_spill_count: 0
    .wavefront_size: 64
  - .agpr_count:     0
    .args:
      - .actual_access:  read_only
        .address_space:  global
        .offset:         0
        .size:           8
        .value_kind:     global_buffer
      - .actual_access:  read_only
        .address_space:  global
        .offset:         8
        .size:           8
        .value_kind:     global_buffer
      - .actual_access:  read_only
        .address_space:  global
        .offset:         16
        .size:           8
        .value_kind:     global_buffer
      - .actual_access:  read_only
        .address_space:  global
        .offset:         24
        .size:           8
        .value_kind:     global_buffer
      - .actual_access:  read_only
        .address_space:  global
        .offset:         32
        .size:           8
        .value_kind:     global_buffer
      - .actual_access:  write_only
        .address_space:  global
        .offset:         40
        .size:           8
        .value_kind:     global_buffer
      - .offset:         48
        .size:           4
        .value_kind:     by_value
      - .offset:         52
        .size:           4
        .value_kind:     by_value
      - .offset:         56
        .size:           4
        .value_kind:     by_value
      - .offset:         60
        .size:           4
        .value_kind:     by_value
      - .offset:         64
        .size:           4
        .value_kind:     by_value
      - .offset:         68
        .size:           4
        .value_kind:     by_value
      - .offset:         72
        .size:           4
        .value_kind:     by_value
      - .offset:         76
        .size:           4
        .value_kind:     by_value
      - .offset:         80
        .size:           4
        .value_kind:     by_value
      - .offset:         84
        .size:           4
        .value_kind:     by_value
      - .offset:         88
        .size:           4
        .value_kind:     by_value
      - .offset:         92
        .size:           4
        .value_kind:     by_value
      - .offset:         96
        .size:           4
        .value_kind:     by_value
      - .offset:         100
        .size:           4
        .value_kind:     by_value
      - .offset:         104
        .size:           12
        .value_kind:     by_value
      - .offset:         116
        .size:           12
        .value_kind:     by_value
    .group_segment_fixed_size: 0
    .kernarg_segment_align: 8
    .kernarg_segment_size: 128
    .language:       OpenCL C
    .language_version:
      - 2
      - 0
    .max_flat_workgroup_size: 320
    .name:           _ZL13mul_mat_f_idsIfLi64ELi3ELi5EEvPKT_PKfPKiS6_S6_Pfiiiiiiiiiiiiii15HIP_vector_typeIjLj3EES9_
    .private_segment_fixed_size: 0
    .sgpr_count:     106
    .sgpr_spill_count: 4
    .symbol:         _ZL13mul_mat_f_idsIfLi64ELi3ELi5EEvPKT_PKfPKiS6_S6_Pfiiiiiiiiiiiiii15HIP_vector_typeIjLj3EES9_.kd
    .uniform_work_group_size: 1
    .uses_dynamic_stack: false
    .vgpr_count:     105
    .vgpr_spill_count: 0
    .wavefront_size: 64
  - .agpr_count:     0
    .args:
      - .actual_access:  read_only
        .address_space:  global
        .offset:         0
        .size:           8
        .value_kind:     global_buffer
      - .actual_access:  read_only
        .address_space:  global
        .offset:         8
        .size:           8
        .value_kind:     global_buffer
      - .actual_access:  read_only
        .address_space:  global
        .offset:         16
        .size:           8
        .value_kind:     global_buffer
      - .actual_access:  write_only
        .address_space:  global
        .offset:         24
        .size:           8
        .value_kind:     global_buffer
      - .offset:         32
        .size:           4
        .value_kind:     by_value
      - .offset:         36
        .size:           4
        .value_kind:     by_value
      - .offset:         40
        .size:           4
        .value_kind:     by_value
      - .offset:         44
        .size:           4
        .value_kind:     by_value
      - .offset:         48
        .size:           4
        .value_kind:     by_value
      - .offset:         52
        .size:           4
        .value_kind:     by_value
      - .offset:         56
        .size:           4
        .value_kind:     by_value
      - .offset:         60
        .size:           4
        .value_kind:     by_value
      - .offset:         64
        .size:           4
        .value_kind:     by_value
      - .offset:         68
        .size:           4
        .value_kind:     by_value
      - .offset:         72
        .size:           4
        .value_kind:     by_value
      - .offset:         76
        .size:           4
        .value_kind:     by_value
      - .offset:         80
        .size:           4
        .value_kind:     by_value
      - .offset:         84
        .size:           4
        .value_kind:     by_value
      - .offset:         88
        .size:           4
        .value_kind:     by_value
      - .offset:         92
        .size:           4
        .value_kind:     by_value
      - .offset:         96
        .size:           4
        .value_kind:     hidden_block_count_x
      - .offset:         100
        .size:           4
        .value_kind:     hidden_block_count_y
      - .offset:         104
        .size:           4
        .value_kind:     hidden_block_count_z
      - .offset:         108
        .size:           2
        .value_kind:     hidden_group_size_x
      - .offset:         110
        .size:           2
        .value_kind:     hidden_group_size_y
      - .offset:         112
        .size:           2
        .value_kind:     hidden_group_size_z
      - .offset:         114
        .size:           2
        .value_kind:     hidden_remainder_x
      - .offset:         116
        .size:           2
        .value_kind:     hidden_remainder_y
      - .offset:         118
        .size:           2
        .value_kind:     hidden_remainder_z
      - .offset:         136
        .size:           8
        .value_kind:     hidden_global_offset_x
      - .offset:         144
        .size:           8
        .value_kind:     hidden_global_offset_y
      - .offset:         152
        .size:           8
        .value_kind:     hidden_global_offset_z
      - .offset:         160
        .size:           2
        .value_kind:     hidden_grid_dims
      - .offset:         216
        .size:           4
        .value_kind:     hidden_dynamic_lds_size
    .group_segment_fixed_size: 256
    .kernarg_segment_align: 8
    .kernarg_segment_size: 352
    .language:       OpenCL C
    .language_version:
      - 2
      - 0
    .max_flat_workgroup_size: 320
    .name:           _ZL9mul_mat_fIfLi64ELi3ELi5ELb1EEvPKT_PKfPKiPfiiiiiiiiiiiiiiii
    .private_segment_fixed_size: 0
    .sgpr_count:     97
    .sgpr_spill_count: 0
    .symbol:         _ZL9mul_mat_fIfLi64ELi3ELi5ELb1EEvPKT_PKfPKiPfiiiiiiiiiiiiiiii.kd
    .uniform_work_group_size: 1
    .uses_dynamic_stack: false
    .vgpr_count:     110
    .vgpr_spill_count: 0
    .wavefront_size: 64
  - .agpr_count:     0
    .args:
      - .actual_access:  read_only
        .address_space:  global
        .offset:         0
        .size:           8
        .value_kind:     global_buffer
      - .actual_access:  read_only
        .address_space:  global
        .offset:         8
        .size:           8
        .value_kind:     global_buffer
      - .actual_access:  read_only
        .address_space:  global
        .offset:         16
        .size:           8
        .value_kind:     global_buffer
      - .actual_access:  write_only
        .address_space:  global
        .offset:         24
        .size:           8
        .value_kind:     global_buffer
      - .offset:         32
        .size:           4
        .value_kind:     by_value
      - .offset:         36
        .size:           4
        .value_kind:     by_value
      - .offset:         40
        .size:           4
        .value_kind:     by_value
      - .offset:         44
        .size:           4
        .value_kind:     by_value
      - .offset:         48
        .size:           4
        .value_kind:     by_value
      - .offset:         52
        .size:           4
        .value_kind:     by_value
      - .offset:         56
        .size:           4
        .value_kind:     by_value
      - .offset:         60
        .size:           4
        .value_kind:     by_value
      - .offset:         64
        .size:           4
        .value_kind:     by_value
      - .offset:         68
        .size:           4
        .value_kind:     by_value
      - .offset:         72
        .size:           4
        .value_kind:     by_value
      - .offset:         76
        .size:           4
        .value_kind:     by_value
      - .offset:         80
        .size:           4
        .value_kind:     by_value
      - .offset:         84
        .size:           4
        .value_kind:     by_value
      - .offset:         88
        .size:           4
        .value_kind:     by_value
      - .offset:         92
        .size:           4
        .value_kind:     by_value
    .group_segment_fixed_size: 0
    .kernarg_segment_align: 8
    .kernarg_segment_size: 96
    .language:       OpenCL C
    .language_version:
      - 2
      - 0
    .max_flat_workgroup_size: 320
    .name:           _ZL9mul_mat_fIfLi64ELi3ELi5ELb0EEvPKT_PKfPKiPfiiiiiiiiiiiiiiii
    .private_segment_fixed_size: 0
    .sgpr_count:     87
    .sgpr_spill_count: 0
    .symbol:         _ZL9mul_mat_fIfLi64ELi3ELi5ELb0EEvPKT_PKfPKiPfiiiiiiiiiiiiiiii.kd
    .uniform_work_group_size: 1
    .uses_dynamic_stack: false
    .vgpr_count:     110
    .vgpr_spill_count: 0
    .wavefront_size: 64
  - .agpr_count:     0
    .args:
      - .actual_access:  read_only
        .address_space:  global
        .offset:         0
        .size:           8
        .value_kind:     global_buffer
      - .actual_access:  read_only
        .address_space:  global
        .offset:         8
        .size:           8
        .value_kind:     global_buffer
      - .actual_access:  read_only
        .address_space:  global
        .offset:         16
        .size:           8
        .value_kind:     global_buffer
      - .actual_access:  read_only
        .address_space:  global
        .offset:         24
        .size:           8
        .value_kind:     global_buffer
      - .actual_access:  read_only
        .address_space:  global
        .offset:         32
        .size:           8
        .value_kind:     global_buffer
      - .actual_access:  write_only
        .address_space:  global
        .offset:         40
        .size:           8
        .value_kind:     global_buffer
      - .offset:         48
        .size:           4
        .value_kind:     by_value
      - .offset:         52
        .size:           4
        .value_kind:     by_value
      - .offset:         56
        .size:           4
        .value_kind:     by_value
      - .offset:         60
        .size:           4
        .value_kind:     by_value
      - .offset:         64
        .size:           4
        .value_kind:     by_value
      - .offset:         68
        .size:           4
        .value_kind:     by_value
      - .offset:         72
        .size:           4
        .value_kind:     by_value
      - .offset:         76
        .size:           4
        .value_kind:     by_value
      - .offset:         80
        .size:           4
        .value_kind:     by_value
      - .offset:         84
        .size:           4
        .value_kind:     by_value
      - .offset:         88
        .size:           4
        .value_kind:     by_value
      - .offset:         92
        .size:           4
        .value_kind:     by_value
      - .offset:         96
        .size:           4
        .value_kind:     by_value
      - .offset:         100
        .size:           4
        .value_kind:     by_value
      - .offset:         104
        .size:           12
        .value_kind:     by_value
      - .offset:         116
        .size:           12
        .value_kind:     by_value
    .group_segment_fixed_size: 0
    .kernarg_segment_align: 8
    .kernarg_segment_size: 128
    .language:       OpenCL C
    .language_version:
      - 2
      - 0
    .max_flat_workgroup_size: 384
    .name:           _ZL13mul_mat_f_idsIfLi64ELi3ELi6EEvPKT_PKfPKiS6_S6_Pfiiiiiiiiiiiiii15HIP_vector_typeIjLj3EES9_
    .private_segment_fixed_size: 0
    .sgpr_count:     106
    .sgpr_spill_count: 4
    .symbol:         _ZL13mul_mat_f_idsIfLi64ELi3ELi6EEvPKT_PKfPKiS6_S6_Pfiiiiiiiiiiiiii15HIP_vector_typeIjLj3EES9_.kd
    .uniform_work_group_size: 1
    .uses_dynamic_stack: false
    .vgpr_count:     105
    .vgpr_spill_count: 0
    .wavefront_size: 64
  - .agpr_count:     0
    .args:
      - .actual_access:  read_only
        .address_space:  global
        .offset:         0
        .size:           8
        .value_kind:     global_buffer
      - .actual_access:  read_only
        .address_space:  global
        .offset:         8
        .size:           8
        .value_kind:     global_buffer
      - .actual_access:  read_only
        .address_space:  global
        .offset:         16
        .size:           8
        .value_kind:     global_buffer
      - .actual_access:  write_only
        .address_space:  global
        .offset:         24
        .size:           8
        .value_kind:     global_buffer
      - .offset:         32
        .size:           4
        .value_kind:     by_value
      - .offset:         36
        .size:           4
        .value_kind:     by_value
      - .offset:         40
        .size:           4
        .value_kind:     by_value
      - .offset:         44
        .size:           4
        .value_kind:     by_value
      - .offset:         48
        .size:           4
        .value_kind:     by_value
      - .offset:         52
        .size:           4
        .value_kind:     by_value
      - .offset:         56
        .size:           4
        .value_kind:     by_value
      - .offset:         60
        .size:           4
        .value_kind:     by_value
      - .offset:         64
        .size:           4
        .value_kind:     by_value
      - .offset:         68
        .size:           4
        .value_kind:     by_value
      - .offset:         72
        .size:           4
        .value_kind:     by_value
      - .offset:         76
        .size:           4
        .value_kind:     by_value
      - .offset:         80
        .size:           4
        .value_kind:     by_value
      - .offset:         84
        .size:           4
        .value_kind:     by_value
      - .offset:         88
        .size:           4
        .value_kind:     by_value
      - .offset:         92
        .size:           4
        .value_kind:     by_value
      - .offset:         96
        .size:           4
        .value_kind:     hidden_block_count_x
      - .offset:         100
        .size:           4
        .value_kind:     hidden_block_count_y
      - .offset:         104
        .size:           4
        .value_kind:     hidden_block_count_z
      - .offset:         108
        .size:           2
        .value_kind:     hidden_group_size_x
      - .offset:         110
        .size:           2
        .value_kind:     hidden_group_size_y
      - .offset:         112
        .size:           2
        .value_kind:     hidden_group_size_z
      - .offset:         114
        .size:           2
        .value_kind:     hidden_remainder_x
      - .offset:         116
        .size:           2
        .value_kind:     hidden_remainder_y
      - .offset:         118
        .size:           2
        .value_kind:     hidden_remainder_z
      - .offset:         136
        .size:           8
        .value_kind:     hidden_global_offset_x
      - .offset:         144
        .size:           8
        .value_kind:     hidden_global_offset_y
      - .offset:         152
        .size:           8
        .value_kind:     hidden_global_offset_z
      - .offset:         160
        .size:           2
        .value_kind:     hidden_grid_dims
      - .offset:         216
        .size:           4
        .value_kind:     hidden_dynamic_lds_size
    .group_segment_fixed_size: 256
    .kernarg_segment_align: 8
    .kernarg_segment_size: 352
    .language:       OpenCL C
    .language_version:
      - 2
      - 0
    .max_flat_workgroup_size: 384
    .name:           _ZL9mul_mat_fIfLi64ELi3ELi6ELb1EEvPKT_PKfPKiPfiiiiiiiiiiiiiiii
    .private_segment_fixed_size: 0
    .sgpr_count:     97
    .sgpr_spill_count: 0
    .symbol:         _ZL9mul_mat_fIfLi64ELi3ELi6ELb1EEvPKT_PKfPKiPfiiiiiiiiiiiiiiii.kd
    .uniform_work_group_size: 1
    .uses_dynamic_stack: false
    .vgpr_count:     110
    .vgpr_spill_count: 0
    .wavefront_size: 64
  - .agpr_count:     0
    .args:
      - .actual_access:  read_only
        .address_space:  global
        .offset:         0
        .size:           8
        .value_kind:     global_buffer
      - .actual_access:  read_only
        .address_space:  global
        .offset:         8
        .size:           8
        .value_kind:     global_buffer
      - .actual_access:  read_only
        .address_space:  global
        .offset:         16
        .size:           8
        .value_kind:     global_buffer
      - .actual_access:  write_only
        .address_space:  global
        .offset:         24
        .size:           8
        .value_kind:     global_buffer
      - .offset:         32
        .size:           4
        .value_kind:     by_value
      - .offset:         36
        .size:           4
        .value_kind:     by_value
      - .offset:         40
        .size:           4
        .value_kind:     by_value
      - .offset:         44
        .size:           4
        .value_kind:     by_value
      - .offset:         48
        .size:           4
        .value_kind:     by_value
      - .offset:         52
        .size:           4
        .value_kind:     by_value
      - .offset:         56
        .size:           4
        .value_kind:     by_value
      - .offset:         60
        .size:           4
        .value_kind:     by_value
      - .offset:         64
        .size:           4
        .value_kind:     by_value
      - .offset:         68
        .size:           4
        .value_kind:     by_value
      - .offset:         72
        .size:           4
        .value_kind:     by_value
      - .offset:         76
        .size:           4
        .value_kind:     by_value
      - .offset:         80
        .size:           4
        .value_kind:     by_value
      - .offset:         84
        .size:           4
        .value_kind:     by_value
      - .offset:         88
        .size:           4
        .value_kind:     by_value
      - .offset:         92
        .size:           4
        .value_kind:     by_value
    .group_segment_fixed_size: 0
    .kernarg_segment_align: 8
    .kernarg_segment_size: 96
    .language:       OpenCL C
    .language_version:
      - 2
      - 0
    .max_flat_workgroup_size: 384
    .name:           _ZL9mul_mat_fIfLi64ELi3ELi6ELb0EEvPKT_PKfPKiPfiiiiiiiiiiiiiiii
    .private_segment_fixed_size: 0
    .sgpr_count:     87
    .sgpr_spill_count: 0
    .symbol:         _ZL9mul_mat_fIfLi64ELi3ELi6ELb0EEvPKT_PKfPKiPfiiiiiiiiiiiiiiii.kd
    .uniform_work_group_size: 1
    .uses_dynamic_stack: false
    .vgpr_count:     110
    .vgpr_spill_count: 0
    .wavefront_size: 64
  - .agpr_count:     0
    .args:
      - .actual_access:  read_only
        .address_space:  global
        .offset:         0
        .size:           8
        .value_kind:     global_buffer
      - .actual_access:  read_only
        .address_space:  global
        .offset:         8
        .size:           8
        .value_kind:     global_buffer
      - .actual_access:  read_only
        .address_space:  global
        .offset:         16
        .size:           8
        .value_kind:     global_buffer
      - .actual_access:  read_only
        .address_space:  global
        .offset:         24
        .size:           8
        .value_kind:     global_buffer
      - .actual_access:  read_only
        .address_space:  global
        .offset:         32
        .size:           8
        .value_kind:     global_buffer
      - .actual_access:  write_only
        .address_space:  global
        .offset:         40
        .size:           8
        .value_kind:     global_buffer
      - .offset:         48
        .size:           4
        .value_kind:     by_value
      - .offset:         52
        .size:           4
        .value_kind:     by_value
      - .offset:         56
        .size:           4
        .value_kind:     by_value
      - .offset:         60
        .size:           4
        .value_kind:     by_value
      - .offset:         64
        .size:           4
        .value_kind:     by_value
      - .offset:         68
        .size:           4
        .value_kind:     by_value
      - .offset:         72
        .size:           4
        .value_kind:     by_value
      - .offset:         76
        .size:           4
        .value_kind:     by_value
      - .offset:         80
        .size:           4
        .value_kind:     by_value
      - .offset:         84
        .size:           4
        .value_kind:     by_value
      - .offset:         88
        .size:           4
        .value_kind:     by_value
      - .offset:         92
        .size:           4
        .value_kind:     by_value
      - .offset:         96
        .size:           4
        .value_kind:     by_value
      - .offset:         100
        .size:           4
        .value_kind:     by_value
      - .offset:         104
        .size:           12
        .value_kind:     by_value
      - .offset:         116
        .size:           12
        .value_kind:     by_value
    .group_segment_fixed_size: 0
    .kernarg_segment_align: 8
    .kernarg_segment_size: 128
    .language:       OpenCL C
    .language_version:
      - 2
      - 0
    .max_flat_workgroup_size: 448
    .name:           _ZL13mul_mat_f_idsIfLi64ELi3ELi7EEvPKT_PKfPKiS6_S6_Pfiiiiiiiiiiiiii15HIP_vector_typeIjLj3EES9_
    .private_segment_fixed_size: 0
    .sgpr_count:     106
    .sgpr_spill_count: 4
    .symbol:         _ZL13mul_mat_f_idsIfLi64ELi3ELi7EEvPKT_PKfPKiS6_S6_Pfiiiiiiiiiiiiii15HIP_vector_typeIjLj3EES9_.kd
    .uniform_work_group_size: 1
    .uses_dynamic_stack: false
    .vgpr_count:     105
    .vgpr_spill_count: 0
    .wavefront_size: 64
  - .agpr_count:     0
    .args:
      - .actual_access:  read_only
        .address_space:  global
        .offset:         0
        .size:           8
        .value_kind:     global_buffer
      - .actual_access:  read_only
        .address_space:  global
        .offset:         8
        .size:           8
        .value_kind:     global_buffer
      - .actual_access:  read_only
        .address_space:  global
        .offset:         16
        .size:           8
        .value_kind:     global_buffer
      - .actual_access:  write_only
        .address_space:  global
        .offset:         24
        .size:           8
        .value_kind:     global_buffer
      - .offset:         32
        .size:           4
        .value_kind:     by_value
      - .offset:         36
        .size:           4
        .value_kind:     by_value
      - .offset:         40
        .size:           4
        .value_kind:     by_value
      - .offset:         44
        .size:           4
        .value_kind:     by_value
      - .offset:         48
        .size:           4
        .value_kind:     by_value
      - .offset:         52
        .size:           4
        .value_kind:     by_value
      - .offset:         56
        .size:           4
        .value_kind:     by_value
      - .offset:         60
        .size:           4
        .value_kind:     by_value
      - .offset:         64
        .size:           4
        .value_kind:     by_value
      - .offset:         68
        .size:           4
        .value_kind:     by_value
      - .offset:         72
        .size:           4
        .value_kind:     by_value
      - .offset:         76
        .size:           4
        .value_kind:     by_value
      - .offset:         80
        .size:           4
        .value_kind:     by_value
      - .offset:         84
        .size:           4
        .value_kind:     by_value
      - .offset:         88
        .size:           4
        .value_kind:     by_value
      - .offset:         92
        .size:           4
        .value_kind:     by_value
      - .offset:         96
        .size:           4
        .value_kind:     hidden_block_count_x
      - .offset:         100
        .size:           4
        .value_kind:     hidden_block_count_y
      - .offset:         104
        .size:           4
        .value_kind:     hidden_block_count_z
      - .offset:         108
        .size:           2
        .value_kind:     hidden_group_size_x
      - .offset:         110
        .size:           2
        .value_kind:     hidden_group_size_y
      - .offset:         112
        .size:           2
        .value_kind:     hidden_group_size_z
      - .offset:         114
        .size:           2
        .value_kind:     hidden_remainder_x
      - .offset:         116
        .size:           2
        .value_kind:     hidden_remainder_y
      - .offset:         118
        .size:           2
        .value_kind:     hidden_remainder_z
      - .offset:         136
        .size:           8
        .value_kind:     hidden_global_offset_x
      - .offset:         144
        .size:           8
        .value_kind:     hidden_global_offset_y
      - .offset:         152
        .size:           8
        .value_kind:     hidden_global_offset_z
      - .offset:         160
        .size:           2
        .value_kind:     hidden_grid_dims
      - .offset:         216
        .size:           4
        .value_kind:     hidden_dynamic_lds_size
    .group_segment_fixed_size: 256
    .kernarg_segment_align: 8
    .kernarg_segment_size: 352
    .language:       OpenCL C
    .language_version:
      - 2
      - 0
    .max_flat_workgroup_size: 448
    .name:           _ZL9mul_mat_fIfLi64ELi3ELi7ELb1EEvPKT_PKfPKiPfiiiiiiiiiiiiiiii
    .private_segment_fixed_size: 0
    .sgpr_count:     97
    .sgpr_spill_count: 0
    .symbol:         _ZL9mul_mat_fIfLi64ELi3ELi7ELb1EEvPKT_PKfPKiPfiiiiiiiiiiiiiiii.kd
    .uniform_work_group_size: 1
    .uses_dynamic_stack: false
    .vgpr_count:     110
    .vgpr_spill_count: 0
    .wavefront_size: 64
  - .agpr_count:     0
    .args:
      - .actual_access:  read_only
        .address_space:  global
        .offset:         0
        .size:           8
        .value_kind:     global_buffer
      - .actual_access:  read_only
        .address_space:  global
        .offset:         8
        .size:           8
        .value_kind:     global_buffer
      - .actual_access:  read_only
        .address_space:  global
        .offset:         16
        .size:           8
        .value_kind:     global_buffer
      - .actual_access:  write_only
        .address_space:  global
        .offset:         24
        .size:           8
        .value_kind:     global_buffer
      - .offset:         32
        .size:           4
        .value_kind:     by_value
      - .offset:         36
        .size:           4
        .value_kind:     by_value
      - .offset:         40
        .size:           4
        .value_kind:     by_value
      - .offset:         44
        .size:           4
        .value_kind:     by_value
      - .offset:         48
        .size:           4
        .value_kind:     by_value
      - .offset:         52
        .size:           4
        .value_kind:     by_value
      - .offset:         56
        .size:           4
        .value_kind:     by_value
      - .offset:         60
        .size:           4
        .value_kind:     by_value
      - .offset:         64
        .size:           4
        .value_kind:     by_value
      - .offset:         68
        .size:           4
        .value_kind:     by_value
      - .offset:         72
        .size:           4
        .value_kind:     by_value
      - .offset:         76
        .size:           4
        .value_kind:     by_value
      - .offset:         80
        .size:           4
        .value_kind:     by_value
      - .offset:         84
        .size:           4
        .value_kind:     by_value
      - .offset:         88
        .size:           4
        .value_kind:     by_value
      - .offset:         92
        .size:           4
        .value_kind:     by_value
    .group_segment_fixed_size: 0
    .kernarg_segment_align: 8
    .kernarg_segment_size: 96
    .language:       OpenCL C
    .language_version:
      - 2
      - 0
    .max_flat_workgroup_size: 448
    .name:           _ZL9mul_mat_fIfLi64ELi3ELi7ELb0EEvPKT_PKfPKiPfiiiiiiiiiiiiiiii
    .private_segment_fixed_size: 0
    .sgpr_count:     87
    .sgpr_spill_count: 0
    .symbol:         _ZL9mul_mat_fIfLi64ELi3ELi7ELb0EEvPKT_PKfPKiPfiiiiiiiiiiiiiiii.kd
    .uniform_work_group_size: 1
    .uses_dynamic_stack: false
    .vgpr_count:     110
    .vgpr_spill_count: 0
    .wavefront_size: 64
  - .agpr_count:     0
    .args:
      - .actual_access:  read_only
        .address_space:  global
        .offset:         0
        .size:           8
        .value_kind:     global_buffer
      - .actual_access:  read_only
        .address_space:  global
        .offset:         8
        .size:           8
        .value_kind:     global_buffer
      - .actual_access:  read_only
        .address_space:  global
        .offset:         16
        .size:           8
        .value_kind:     global_buffer
      - .actual_access:  read_only
        .address_space:  global
        .offset:         24
        .size:           8
        .value_kind:     global_buffer
      - .actual_access:  read_only
        .address_space:  global
        .offset:         32
        .size:           8
        .value_kind:     global_buffer
      - .actual_access:  write_only
        .address_space:  global
        .offset:         40
        .size:           8
        .value_kind:     global_buffer
      - .offset:         48
        .size:           4
        .value_kind:     by_value
      - .offset:         52
        .size:           4
        .value_kind:     by_value
      - .offset:         56
        .size:           4
        .value_kind:     by_value
      - .offset:         60
        .size:           4
        .value_kind:     by_value
      - .offset:         64
        .size:           4
        .value_kind:     by_value
      - .offset:         68
        .size:           4
        .value_kind:     by_value
      - .offset:         72
        .size:           4
        .value_kind:     by_value
      - .offset:         76
        .size:           4
        .value_kind:     by_value
      - .offset:         80
        .size:           4
        .value_kind:     by_value
      - .offset:         84
        .size:           4
        .value_kind:     by_value
      - .offset:         88
        .size:           4
        .value_kind:     by_value
      - .offset:         92
        .size:           4
        .value_kind:     by_value
      - .offset:         96
        .size:           4
        .value_kind:     by_value
      - .offset:         100
        .size:           4
        .value_kind:     by_value
      - .offset:         104
        .size:           12
        .value_kind:     by_value
      - .offset:         116
        .size:           12
        .value_kind:     by_value
    .group_segment_fixed_size: 0
    .kernarg_segment_align: 8
    .kernarg_segment_size: 128
    .language:       OpenCL C
    .language_version:
      - 2
      - 0
    .max_flat_workgroup_size: 512
    .name:           _ZL13mul_mat_f_idsIfLi64ELi3ELi8EEvPKT_PKfPKiS6_S6_Pfiiiiiiiiiiiiii15HIP_vector_typeIjLj3EES9_
    .private_segment_fixed_size: 0
    .sgpr_count:     106
    .sgpr_spill_count: 4
    .symbol:         _ZL13mul_mat_f_idsIfLi64ELi3ELi8EEvPKT_PKfPKiS6_S6_Pfiiiiiiiiiiiiii15HIP_vector_typeIjLj3EES9_.kd
    .uniform_work_group_size: 1
    .uses_dynamic_stack: false
    .vgpr_count:     105
    .vgpr_spill_count: 0
    .wavefront_size: 64
  - .agpr_count:     0
    .args:
      - .actual_access:  read_only
        .address_space:  global
        .offset:         0
        .size:           8
        .value_kind:     global_buffer
      - .actual_access:  read_only
        .address_space:  global
        .offset:         8
        .size:           8
        .value_kind:     global_buffer
      - .actual_access:  read_only
        .address_space:  global
        .offset:         16
        .size:           8
        .value_kind:     global_buffer
      - .actual_access:  write_only
        .address_space:  global
        .offset:         24
        .size:           8
        .value_kind:     global_buffer
      - .offset:         32
        .size:           4
        .value_kind:     by_value
      - .offset:         36
        .size:           4
        .value_kind:     by_value
      - .offset:         40
        .size:           4
        .value_kind:     by_value
      - .offset:         44
        .size:           4
        .value_kind:     by_value
      - .offset:         48
        .size:           4
        .value_kind:     by_value
      - .offset:         52
        .size:           4
        .value_kind:     by_value
      - .offset:         56
        .size:           4
        .value_kind:     by_value
      - .offset:         60
        .size:           4
        .value_kind:     by_value
      - .offset:         64
        .size:           4
        .value_kind:     by_value
      - .offset:         68
        .size:           4
        .value_kind:     by_value
      - .offset:         72
        .size:           4
        .value_kind:     by_value
      - .offset:         76
        .size:           4
        .value_kind:     by_value
      - .offset:         80
        .size:           4
        .value_kind:     by_value
      - .offset:         84
        .size:           4
        .value_kind:     by_value
      - .offset:         88
        .size:           4
        .value_kind:     by_value
      - .offset:         92
        .size:           4
        .value_kind:     by_value
      - .offset:         96
        .size:           4
        .value_kind:     hidden_block_count_x
      - .offset:         100
        .size:           4
        .value_kind:     hidden_block_count_y
      - .offset:         104
        .size:           4
        .value_kind:     hidden_block_count_z
      - .offset:         108
        .size:           2
        .value_kind:     hidden_group_size_x
      - .offset:         110
        .size:           2
        .value_kind:     hidden_group_size_y
      - .offset:         112
        .size:           2
        .value_kind:     hidden_group_size_z
      - .offset:         114
        .size:           2
        .value_kind:     hidden_remainder_x
      - .offset:         116
        .size:           2
        .value_kind:     hidden_remainder_y
      - .offset:         118
        .size:           2
        .value_kind:     hidden_remainder_z
      - .offset:         136
        .size:           8
        .value_kind:     hidden_global_offset_x
      - .offset:         144
        .size:           8
        .value_kind:     hidden_global_offset_y
      - .offset:         152
        .size:           8
        .value_kind:     hidden_global_offset_z
      - .offset:         160
        .size:           2
        .value_kind:     hidden_grid_dims
      - .offset:         216
        .size:           4
        .value_kind:     hidden_dynamic_lds_size
    .group_segment_fixed_size: 256
    .kernarg_segment_align: 8
    .kernarg_segment_size: 352
    .language:       OpenCL C
    .language_version:
      - 2
      - 0
    .max_flat_workgroup_size: 512
    .name:           _ZL9mul_mat_fIfLi64ELi3ELi8ELb1EEvPKT_PKfPKiPfiiiiiiiiiiiiiiii
    .private_segment_fixed_size: 0
    .sgpr_count:     95
    .sgpr_spill_count: 0
    .symbol:         _ZL9mul_mat_fIfLi64ELi3ELi8ELb1EEvPKT_PKfPKiPfiiiiiiiiiiiiiiii.kd
    .uniform_work_group_size: 1
    .uses_dynamic_stack: false
    .vgpr_count:     113
    .vgpr_spill_count: 0
    .wavefront_size: 64
  - .agpr_count:     0
    .args:
      - .actual_access:  read_only
        .address_space:  global
        .offset:         0
        .size:           8
        .value_kind:     global_buffer
      - .actual_access:  read_only
        .address_space:  global
        .offset:         8
        .size:           8
        .value_kind:     global_buffer
      - .actual_access:  read_only
        .address_space:  global
        .offset:         16
        .size:           8
        .value_kind:     global_buffer
      - .actual_access:  write_only
        .address_space:  global
        .offset:         24
        .size:           8
        .value_kind:     global_buffer
      - .offset:         32
        .size:           4
        .value_kind:     by_value
      - .offset:         36
        .size:           4
        .value_kind:     by_value
      - .offset:         40
        .size:           4
        .value_kind:     by_value
      - .offset:         44
        .size:           4
        .value_kind:     by_value
      - .offset:         48
        .size:           4
        .value_kind:     by_value
      - .offset:         52
        .size:           4
        .value_kind:     by_value
      - .offset:         56
        .size:           4
        .value_kind:     by_value
      - .offset:         60
        .size:           4
        .value_kind:     by_value
      - .offset:         64
        .size:           4
        .value_kind:     by_value
      - .offset:         68
        .size:           4
        .value_kind:     by_value
      - .offset:         72
        .size:           4
        .value_kind:     by_value
      - .offset:         76
        .size:           4
        .value_kind:     by_value
      - .offset:         80
        .size:           4
        .value_kind:     by_value
      - .offset:         84
        .size:           4
        .value_kind:     by_value
      - .offset:         88
        .size:           4
        .value_kind:     by_value
      - .offset:         92
        .size:           4
        .value_kind:     by_value
    .group_segment_fixed_size: 0
    .kernarg_segment_align: 8
    .kernarg_segment_size: 96
    .language:       OpenCL C
    .language_version:
      - 2
      - 0
    .max_flat_workgroup_size: 512
    .name:           _ZL9mul_mat_fIfLi64ELi3ELi8ELb0EEvPKT_PKfPKiPfiiiiiiiiiiiiiiii
    .private_segment_fixed_size: 0
    .sgpr_count:     87
    .sgpr_spill_count: 0
    .symbol:         _ZL9mul_mat_fIfLi64ELi3ELi8ELb0EEvPKT_PKfPKiPfiiiiiiiiiiiiiiii.kd
    .uniform_work_group_size: 1
    .uses_dynamic_stack: false
    .vgpr_count:     110
    .vgpr_spill_count: 0
    .wavefront_size: 64
  - .agpr_count:     16
    .args:
      - .actual_access:  read_only
        .address_space:  global
        .offset:         0
        .size:           8
        .value_kind:     global_buffer
      - .actual_access:  read_only
        .address_space:  global
        .offset:         8
        .size:           8
        .value_kind:     global_buffer
      - .actual_access:  read_only
        .address_space:  global
        .offset:         16
        .size:           8
        .value_kind:     global_buffer
      - .actual_access:  read_only
        .address_space:  global
        .offset:         24
        .size:           8
        .value_kind:     global_buffer
      - .actual_access:  read_only
        .address_space:  global
        .offset:         32
        .size:           8
        .value_kind:     global_buffer
      - .actual_access:  write_only
        .address_space:  global
        .offset:         40
        .size:           8
        .value_kind:     global_buffer
      - .offset:         48
        .size:           4
        .value_kind:     by_value
      - .offset:         52
        .size:           4
        .value_kind:     by_value
      - .offset:         56
        .size:           4
        .value_kind:     by_value
      - .offset:         60
        .size:           4
        .value_kind:     by_value
      - .offset:         64
        .size:           4
        .value_kind:     by_value
      - .offset:         68
        .size:           4
        .value_kind:     by_value
      - .offset:         72
        .size:           4
        .value_kind:     by_value
      - .offset:         76
        .size:           4
        .value_kind:     by_value
      - .offset:         80
        .size:           4
        .value_kind:     by_value
      - .offset:         84
        .size:           4
        .value_kind:     by_value
      - .offset:         88
        .size:           4
        .value_kind:     by_value
      - .offset:         92
        .size:           4
        .value_kind:     by_value
      - .offset:         96
        .size:           4
        .value_kind:     by_value
      - .offset:         100
        .size:           4
        .value_kind:     by_value
      - .offset:         104
        .size:           12
        .value_kind:     by_value
      - .offset:         116
        .size:           12
        .value_kind:     by_value
    .group_segment_fixed_size: 0
    .kernarg_segment_align: 8
    .kernarg_segment_size: 128
    .language:       OpenCL C
    .language_version:
      - 2
      - 0
    .max_flat_workgroup_size: 64
    .name:           _ZL13mul_mat_f_idsI7__half2Li64ELi3ELi1EEvPKT_PKfPKiS7_S7_Pfiiiiiiiiiiiiii15HIP_vector_typeIjLj3EESA_
    .private_segment_fixed_size: 0
    .sgpr_count:     106
    .sgpr_spill_count: 5
    .symbol:         _ZL13mul_mat_f_idsI7__half2Li64ELi3ELi1EEvPKT_PKfPKiS7_S7_Pfiiiiiiiiiiiiii15HIP_vector_typeIjLj3EESA_.kd
    .uniform_work_group_size: 1
    .uses_dynamic_stack: false
    .vgpr_count:     100
    .vgpr_spill_count: 0
    .wavefront_size: 64
  - .agpr_count:     16
    .args:
      - .actual_access:  read_only
        .address_space:  global
        .offset:         0
        .size:           8
        .value_kind:     global_buffer
      - .actual_access:  read_only
        .address_space:  global
        .offset:         8
        .size:           8
        .value_kind:     global_buffer
      - .actual_access:  read_only
        .address_space:  global
        .offset:         16
        .size:           8
        .value_kind:     global_buffer
      - .actual_access:  write_only
        .address_space:  global
        .offset:         24
        .size:           8
        .value_kind:     global_buffer
      - .offset:         32
        .size:           4
        .value_kind:     by_value
      - .offset:         36
        .size:           4
        .value_kind:     by_value
      - .offset:         40
        .size:           4
        .value_kind:     by_value
      - .offset:         44
        .size:           4
        .value_kind:     by_value
      - .offset:         48
        .size:           4
        .value_kind:     by_value
      - .offset:         52
        .size:           4
        .value_kind:     by_value
      - .offset:         56
        .size:           4
        .value_kind:     by_value
      - .offset:         60
        .size:           4
        .value_kind:     by_value
      - .offset:         64
        .size:           4
        .value_kind:     by_value
      - .offset:         68
        .size:           4
        .value_kind:     by_value
      - .offset:         72
        .size:           4
        .value_kind:     by_value
      - .offset:         76
        .size:           4
        .value_kind:     by_value
      - .offset:         80
        .size:           4
        .value_kind:     by_value
      - .offset:         84
        .size:           4
        .value_kind:     by_value
      - .offset:         88
        .size:           4
        .value_kind:     by_value
      - .offset:         92
        .size:           4
        .value_kind:     by_value
      - .offset:         96
        .size:           4
        .value_kind:     hidden_block_count_x
      - .offset:         100
        .size:           4
        .value_kind:     hidden_block_count_y
      - .offset:         104
        .size:           4
        .value_kind:     hidden_block_count_z
      - .offset:         108
        .size:           2
        .value_kind:     hidden_group_size_x
      - .offset:         110
        .size:           2
        .value_kind:     hidden_group_size_y
      - .offset:         112
        .size:           2
        .value_kind:     hidden_group_size_z
      - .offset:         114
        .size:           2
        .value_kind:     hidden_remainder_x
      - .offset:         116
        .size:           2
        .value_kind:     hidden_remainder_y
      - .offset:         118
        .size:           2
        .value_kind:     hidden_remainder_z
      - .offset:         136
        .size:           8
        .value_kind:     hidden_global_offset_x
      - .offset:         144
        .size:           8
        .value_kind:     hidden_global_offset_y
      - .offset:         152
        .size:           8
        .value_kind:     hidden_global_offset_z
      - .offset:         160
        .size:           2
        .value_kind:     hidden_grid_dims
      - .offset:         216
        .size:           4
        .value_kind:     hidden_dynamic_lds_size
    .group_segment_fixed_size: 256
    .kernarg_segment_align: 8
    .kernarg_segment_size: 352
    .language:       OpenCL C
    .language_version:
      - 2
      - 0
    .max_flat_workgroup_size: 64
    .name:           _ZL9mul_mat_fI7__half2Li64ELi3ELi1ELb1EEvPKT_PKfPKiPfiiiiiiiiiiiiiiii
    .private_segment_fixed_size: 0
    .sgpr_count:     101
    .sgpr_spill_count: 0
    .symbol:         _ZL9mul_mat_fI7__half2Li64ELi3ELi1ELb1EEvPKT_PKfPKiPfiiiiiiiiiiiiiiii.kd
    .uniform_work_group_size: 1
    .uses_dynamic_stack: false
    .vgpr_count:     104
    .vgpr_spill_count: 0
    .wavefront_size: 64
  - .agpr_count:     20
    .args:
      - .actual_access:  read_only
        .address_space:  global
        .offset:         0
        .size:           8
        .value_kind:     global_buffer
      - .actual_access:  read_only
        .address_space:  global
        .offset:         8
        .size:           8
        .value_kind:     global_buffer
      - .actual_access:  read_only
        .address_space:  global
        .offset:         16
        .size:           8
        .value_kind:     global_buffer
      - .actual_access:  write_only
        .address_space:  global
        .offset:         24
        .size:           8
        .value_kind:     global_buffer
      - .offset:         32
        .size:           4
        .value_kind:     by_value
      - .offset:         36
        .size:           4
        .value_kind:     by_value
      - .offset:         40
        .size:           4
        .value_kind:     by_value
      - .offset:         44
        .size:           4
        .value_kind:     by_value
      - .offset:         48
        .size:           4
        .value_kind:     by_value
      - .offset:         52
        .size:           4
        .value_kind:     by_value
      - .offset:         56
        .size:           4
        .value_kind:     by_value
      - .offset:         60
        .size:           4
        .value_kind:     by_value
      - .offset:         64
        .size:           4
        .value_kind:     by_value
      - .offset:         68
        .size:           4
        .value_kind:     by_value
      - .offset:         72
        .size:           4
        .value_kind:     by_value
      - .offset:         76
        .size:           4
        .value_kind:     by_value
      - .offset:         80
        .size:           4
        .value_kind:     by_value
      - .offset:         84
        .size:           4
        .value_kind:     by_value
      - .offset:         88
        .size:           4
        .value_kind:     by_value
      - .offset:         92
        .size:           4
        .value_kind:     by_value
    .group_segment_fixed_size: 0
    .kernarg_segment_align: 8
    .kernarg_segment_size: 96
    .language:       OpenCL C
    .language_version:
      - 2
      - 0
    .max_flat_workgroup_size: 64
    .name:           _ZL9mul_mat_fI7__half2Li64ELi3ELi1ELb0EEvPKT_PKfPKiPfiiiiiiiiiiiiiiii
    .private_segment_fixed_size: 0
    .sgpr_count:     93
    .sgpr_spill_count: 0
    .symbol:         _ZL9mul_mat_fI7__half2Li64ELi3ELi1ELb0EEvPKT_PKfPKiPfiiiiiiiiiiiiiiii.kd
    .uniform_work_group_size: 1
    .uses_dynamic_stack: false
    .vgpr_count:     124
    .vgpr_spill_count: 0
    .wavefront_size: 64
  - .agpr_count:     16
    .args:
      - .actual_access:  read_only
        .address_space:  global
        .offset:         0
        .size:           8
        .value_kind:     global_buffer
      - .actual_access:  read_only
        .address_space:  global
        .offset:         8
        .size:           8
        .value_kind:     global_buffer
      - .actual_access:  read_only
        .address_space:  global
        .offset:         16
        .size:           8
        .value_kind:     global_buffer
      - .actual_access:  read_only
        .address_space:  global
        .offset:         24
        .size:           8
        .value_kind:     global_buffer
      - .actual_access:  read_only
        .address_space:  global
        .offset:         32
        .size:           8
        .value_kind:     global_buffer
      - .actual_access:  write_only
        .address_space:  global
        .offset:         40
        .size:           8
        .value_kind:     global_buffer
      - .offset:         48
        .size:           4
        .value_kind:     by_value
      - .offset:         52
        .size:           4
        .value_kind:     by_value
      - .offset:         56
        .size:           4
        .value_kind:     by_value
      - .offset:         60
        .size:           4
        .value_kind:     by_value
      - .offset:         64
        .size:           4
        .value_kind:     by_value
      - .offset:         68
        .size:           4
        .value_kind:     by_value
      - .offset:         72
        .size:           4
        .value_kind:     by_value
      - .offset:         76
        .size:           4
        .value_kind:     by_value
      - .offset:         80
        .size:           4
        .value_kind:     by_value
      - .offset:         84
        .size:           4
        .value_kind:     by_value
      - .offset:         88
        .size:           4
        .value_kind:     by_value
      - .offset:         92
        .size:           4
        .value_kind:     by_value
      - .offset:         96
        .size:           4
        .value_kind:     by_value
      - .offset:         100
        .size:           4
        .value_kind:     by_value
      - .offset:         104
        .size:           12
        .value_kind:     by_value
      - .offset:         116
        .size:           12
        .value_kind:     by_value
    .group_segment_fixed_size: 0
    .kernarg_segment_align: 8
    .kernarg_segment_size: 128
    .language:       OpenCL C
    .language_version:
      - 2
      - 0
    .max_flat_workgroup_size: 128
    .name:           _ZL13mul_mat_f_idsI7__half2Li64ELi3ELi2EEvPKT_PKfPKiS7_S7_Pfiiiiiiiiiiiiii15HIP_vector_typeIjLj3EESA_
    .private_segment_fixed_size: 0
    .sgpr_count:     106
    .sgpr_spill_count: 5
    .symbol:         _ZL13mul_mat_f_idsI7__half2Li64ELi3ELi2EEvPKT_PKfPKiS7_S7_Pfiiiiiiiiiiiiii15HIP_vector_typeIjLj3EESA_.kd
    .uniform_work_group_size: 1
    .uses_dynamic_stack: false
    .vgpr_count:     100
    .vgpr_spill_count: 0
    .wavefront_size: 64
  - .agpr_count:     16
    .args:
      - .actual_access:  read_only
        .address_space:  global
        .offset:         0
        .size:           8
        .value_kind:     global_buffer
      - .actual_access:  read_only
        .address_space:  global
        .offset:         8
        .size:           8
        .value_kind:     global_buffer
      - .actual_access:  read_only
        .address_space:  global
        .offset:         16
        .size:           8
        .value_kind:     global_buffer
      - .actual_access:  write_only
        .address_space:  global
        .offset:         24
        .size:           8
        .value_kind:     global_buffer
      - .offset:         32
        .size:           4
        .value_kind:     by_value
      - .offset:         36
        .size:           4
        .value_kind:     by_value
      - .offset:         40
        .size:           4
        .value_kind:     by_value
      - .offset:         44
        .size:           4
        .value_kind:     by_value
      - .offset:         48
        .size:           4
        .value_kind:     by_value
      - .offset:         52
        .size:           4
        .value_kind:     by_value
      - .offset:         56
        .size:           4
        .value_kind:     by_value
      - .offset:         60
        .size:           4
        .value_kind:     by_value
      - .offset:         64
        .size:           4
        .value_kind:     by_value
      - .offset:         68
        .size:           4
        .value_kind:     by_value
      - .offset:         72
        .size:           4
        .value_kind:     by_value
      - .offset:         76
        .size:           4
        .value_kind:     by_value
      - .offset:         80
        .size:           4
        .value_kind:     by_value
      - .offset:         84
        .size:           4
        .value_kind:     by_value
      - .offset:         88
        .size:           4
        .value_kind:     by_value
      - .offset:         92
        .size:           4
        .value_kind:     by_value
      - .offset:         96
        .size:           4
        .value_kind:     hidden_block_count_x
      - .offset:         100
        .size:           4
        .value_kind:     hidden_block_count_y
      - .offset:         104
        .size:           4
        .value_kind:     hidden_block_count_z
      - .offset:         108
        .size:           2
        .value_kind:     hidden_group_size_x
      - .offset:         110
        .size:           2
        .value_kind:     hidden_group_size_y
      - .offset:         112
        .size:           2
        .value_kind:     hidden_group_size_z
      - .offset:         114
        .size:           2
        .value_kind:     hidden_remainder_x
      - .offset:         116
        .size:           2
        .value_kind:     hidden_remainder_y
      - .offset:         118
        .size:           2
        .value_kind:     hidden_remainder_z
      - .offset:         136
        .size:           8
        .value_kind:     hidden_global_offset_x
      - .offset:         144
        .size:           8
        .value_kind:     hidden_global_offset_y
      - .offset:         152
        .size:           8
        .value_kind:     hidden_global_offset_z
      - .offset:         160
        .size:           2
        .value_kind:     hidden_grid_dims
      - .offset:         216
        .size:           4
        .value_kind:     hidden_dynamic_lds_size
    .group_segment_fixed_size: 256
    .kernarg_segment_align: 8
    .kernarg_segment_size: 352
    .language:       OpenCL C
    .language_version:
      - 2
      - 0
    .max_flat_workgroup_size: 128
    .name:           _ZL9mul_mat_fI7__half2Li64ELi3ELi2ELb1EEvPKT_PKfPKiPfiiiiiiiiiiiiiiii
    .private_segment_fixed_size: 0
    .sgpr_count:     99
    .sgpr_spill_count: 0
    .symbol:         _ZL9mul_mat_fI7__half2Li64ELi3ELi2ELb1EEvPKT_PKfPKiPfiiiiiiiiiiiiiiii.kd
    .uniform_work_group_size: 1
    .uses_dynamic_stack: false
    .vgpr_count:     104
    .vgpr_spill_count: 0
    .wavefront_size: 64
  - .agpr_count:     20
    .args:
      - .actual_access:  read_only
        .address_space:  global
        .offset:         0
        .size:           8
        .value_kind:     global_buffer
      - .actual_access:  read_only
        .address_space:  global
        .offset:         8
        .size:           8
        .value_kind:     global_buffer
      - .actual_access:  read_only
        .address_space:  global
        .offset:         16
        .size:           8
        .value_kind:     global_buffer
      - .actual_access:  write_only
        .address_space:  global
        .offset:         24
        .size:           8
        .value_kind:     global_buffer
      - .offset:         32
        .size:           4
        .value_kind:     by_value
      - .offset:         36
        .size:           4
        .value_kind:     by_value
      - .offset:         40
        .size:           4
        .value_kind:     by_value
      - .offset:         44
        .size:           4
        .value_kind:     by_value
      - .offset:         48
        .size:           4
        .value_kind:     by_value
      - .offset:         52
        .size:           4
        .value_kind:     by_value
      - .offset:         56
        .size:           4
        .value_kind:     by_value
      - .offset:         60
        .size:           4
        .value_kind:     by_value
      - .offset:         64
        .size:           4
        .value_kind:     by_value
      - .offset:         68
        .size:           4
        .value_kind:     by_value
      - .offset:         72
        .size:           4
        .value_kind:     by_value
      - .offset:         76
        .size:           4
        .value_kind:     by_value
      - .offset:         80
        .size:           4
        .value_kind:     by_value
      - .offset:         84
        .size:           4
        .value_kind:     by_value
      - .offset:         88
        .size:           4
        .value_kind:     by_value
      - .offset:         92
        .size:           4
        .value_kind:     by_value
    .group_segment_fixed_size: 0
    .kernarg_segment_align: 8
    .kernarg_segment_size: 96
    .language:       OpenCL C
    .language_version:
      - 2
      - 0
    .max_flat_workgroup_size: 128
    .name:           _ZL9mul_mat_fI7__half2Li64ELi3ELi2ELb0EEvPKT_PKfPKiPfiiiiiiiiiiiiiiii
    .private_segment_fixed_size: 0
    .sgpr_count:     93
    .sgpr_spill_count: 0
    .symbol:         _ZL9mul_mat_fI7__half2Li64ELi3ELi2ELb0EEvPKT_PKfPKiPfiiiiiiiiiiiiiiii.kd
    .uniform_work_group_size: 1
    .uses_dynamic_stack: false
    .vgpr_count:     124
    .vgpr_spill_count: 0
    .wavefront_size: 64
  - .agpr_count:     16
    .args:
      - .actual_access:  read_only
        .address_space:  global
        .offset:         0
        .size:           8
        .value_kind:     global_buffer
      - .actual_access:  read_only
        .address_space:  global
        .offset:         8
        .size:           8
        .value_kind:     global_buffer
      - .actual_access:  read_only
        .address_space:  global
        .offset:         16
        .size:           8
        .value_kind:     global_buffer
      - .actual_access:  read_only
        .address_space:  global
        .offset:         24
        .size:           8
        .value_kind:     global_buffer
      - .actual_access:  read_only
        .address_space:  global
        .offset:         32
        .size:           8
        .value_kind:     global_buffer
      - .actual_access:  write_only
        .address_space:  global
        .offset:         40
        .size:           8
        .value_kind:     global_buffer
      - .offset:         48
        .size:           4
        .value_kind:     by_value
      - .offset:         52
        .size:           4
        .value_kind:     by_value
      - .offset:         56
        .size:           4
        .value_kind:     by_value
      - .offset:         60
        .size:           4
        .value_kind:     by_value
      - .offset:         64
        .size:           4
        .value_kind:     by_value
      - .offset:         68
        .size:           4
        .value_kind:     by_value
      - .offset:         72
        .size:           4
        .value_kind:     by_value
      - .offset:         76
        .size:           4
        .value_kind:     by_value
      - .offset:         80
        .size:           4
        .value_kind:     by_value
      - .offset:         84
        .size:           4
        .value_kind:     by_value
      - .offset:         88
        .size:           4
        .value_kind:     by_value
      - .offset:         92
        .size:           4
        .value_kind:     by_value
      - .offset:         96
        .size:           4
        .value_kind:     by_value
      - .offset:         100
        .size:           4
        .value_kind:     by_value
      - .offset:         104
        .size:           12
        .value_kind:     by_value
      - .offset:         116
        .size:           12
        .value_kind:     by_value
    .group_segment_fixed_size: 0
    .kernarg_segment_align: 8
    .kernarg_segment_size: 128
    .language:       OpenCL C
    .language_version:
      - 2
      - 0
    .max_flat_workgroup_size: 192
    .name:           _ZL13mul_mat_f_idsI7__half2Li64ELi3ELi3EEvPKT_PKfPKiS7_S7_Pfiiiiiiiiiiiiii15HIP_vector_typeIjLj3EESA_
    .private_segment_fixed_size: 0
    .sgpr_count:     106
    .sgpr_spill_count: 5
    .symbol:         _ZL13mul_mat_f_idsI7__half2Li64ELi3ELi3EEvPKT_PKfPKiS7_S7_Pfiiiiiiiiiiiiii15HIP_vector_typeIjLj3EESA_.kd
    .uniform_work_group_size: 1
    .uses_dynamic_stack: false
    .vgpr_count:     100
    .vgpr_spill_count: 0
    .wavefront_size: 64
  - .agpr_count:     16
    .args:
      - .actual_access:  read_only
        .address_space:  global
        .offset:         0
        .size:           8
        .value_kind:     global_buffer
      - .actual_access:  read_only
        .address_space:  global
        .offset:         8
        .size:           8
        .value_kind:     global_buffer
      - .actual_access:  read_only
        .address_space:  global
        .offset:         16
        .size:           8
        .value_kind:     global_buffer
      - .actual_access:  write_only
        .address_space:  global
        .offset:         24
        .size:           8
        .value_kind:     global_buffer
      - .offset:         32
        .size:           4
        .value_kind:     by_value
      - .offset:         36
        .size:           4
        .value_kind:     by_value
      - .offset:         40
        .size:           4
        .value_kind:     by_value
      - .offset:         44
        .size:           4
        .value_kind:     by_value
      - .offset:         48
        .size:           4
        .value_kind:     by_value
      - .offset:         52
        .size:           4
        .value_kind:     by_value
      - .offset:         56
        .size:           4
        .value_kind:     by_value
      - .offset:         60
        .size:           4
        .value_kind:     by_value
      - .offset:         64
        .size:           4
        .value_kind:     by_value
      - .offset:         68
        .size:           4
        .value_kind:     by_value
      - .offset:         72
        .size:           4
        .value_kind:     by_value
      - .offset:         76
        .size:           4
        .value_kind:     by_value
      - .offset:         80
        .size:           4
        .value_kind:     by_value
      - .offset:         84
        .size:           4
        .value_kind:     by_value
      - .offset:         88
        .size:           4
        .value_kind:     by_value
      - .offset:         92
        .size:           4
        .value_kind:     by_value
      - .offset:         96
        .size:           4
        .value_kind:     hidden_block_count_x
      - .offset:         100
        .size:           4
        .value_kind:     hidden_block_count_y
      - .offset:         104
        .size:           4
        .value_kind:     hidden_block_count_z
      - .offset:         108
        .size:           2
        .value_kind:     hidden_group_size_x
      - .offset:         110
        .size:           2
        .value_kind:     hidden_group_size_y
      - .offset:         112
        .size:           2
        .value_kind:     hidden_group_size_z
      - .offset:         114
        .size:           2
        .value_kind:     hidden_remainder_x
      - .offset:         116
        .size:           2
        .value_kind:     hidden_remainder_y
      - .offset:         118
        .size:           2
        .value_kind:     hidden_remainder_z
      - .offset:         136
        .size:           8
        .value_kind:     hidden_global_offset_x
      - .offset:         144
        .size:           8
        .value_kind:     hidden_global_offset_y
      - .offset:         152
        .size:           8
        .value_kind:     hidden_global_offset_z
      - .offset:         160
        .size:           2
        .value_kind:     hidden_grid_dims
      - .offset:         216
        .size:           4
        .value_kind:     hidden_dynamic_lds_size
    .group_segment_fixed_size: 256
    .kernarg_segment_align: 8
    .kernarg_segment_size: 352
    .language:       OpenCL C
    .language_version:
      - 2
      - 0
    .max_flat_workgroup_size: 192
    .name:           _ZL9mul_mat_fI7__half2Li64ELi3ELi3ELb1EEvPKT_PKfPKiPfiiiiiiiiiiiiiiii
    .private_segment_fixed_size: 0
    .sgpr_count:     97
    .sgpr_spill_count: 0
    .symbol:         _ZL9mul_mat_fI7__half2Li64ELi3ELi3ELb1EEvPKT_PKfPKiPfiiiiiiiiiiiiiiii.kd
    .uniform_work_group_size: 1
    .uses_dynamic_stack: false
    .vgpr_count:     104
    .vgpr_spill_count: 0
    .wavefront_size: 64
  - .agpr_count:     20
    .args:
      - .actual_access:  read_only
        .address_space:  global
        .offset:         0
        .size:           8
        .value_kind:     global_buffer
      - .actual_access:  read_only
        .address_space:  global
        .offset:         8
        .size:           8
        .value_kind:     global_buffer
      - .actual_access:  read_only
        .address_space:  global
        .offset:         16
        .size:           8
        .value_kind:     global_buffer
      - .actual_access:  write_only
        .address_space:  global
        .offset:         24
        .size:           8
        .value_kind:     global_buffer
      - .offset:         32
        .size:           4
        .value_kind:     by_value
      - .offset:         36
        .size:           4
        .value_kind:     by_value
      - .offset:         40
        .size:           4
        .value_kind:     by_value
      - .offset:         44
        .size:           4
        .value_kind:     by_value
      - .offset:         48
        .size:           4
        .value_kind:     by_value
      - .offset:         52
        .size:           4
        .value_kind:     by_value
      - .offset:         56
        .size:           4
        .value_kind:     by_value
      - .offset:         60
        .size:           4
        .value_kind:     by_value
      - .offset:         64
        .size:           4
        .value_kind:     by_value
      - .offset:         68
        .size:           4
        .value_kind:     by_value
      - .offset:         72
        .size:           4
        .value_kind:     by_value
      - .offset:         76
        .size:           4
        .value_kind:     by_value
      - .offset:         80
        .size:           4
        .value_kind:     by_value
      - .offset:         84
        .size:           4
        .value_kind:     by_value
      - .offset:         88
        .size:           4
        .value_kind:     by_value
      - .offset:         92
        .size:           4
        .value_kind:     by_value
    .group_segment_fixed_size: 0
    .kernarg_segment_align: 8
    .kernarg_segment_size: 96
    .language:       OpenCL C
    .language_version:
      - 2
      - 0
    .max_flat_workgroup_size: 192
    .name:           _ZL9mul_mat_fI7__half2Li64ELi3ELi3ELb0EEvPKT_PKfPKiPfiiiiiiiiiiiiiiii
    .private_segment_fixed_size: 0
    .sgpr_count:     93
    .sgpr_spill_count: 0
    .symbol:         _ZL9mul_mat_fI7__half2Li64ELi3ELi3ELb0EEvPKT_PKfPKiPfiiiiiiiiiiiiiiii.kd
    .uniform_work_group_size: 1
    .uses_dynamic_stack: false
    .vgpr_count:     124
    .vgpr_spill_count: 0
    .wavefront_size: 64
  - .agpr_count:     16
    .args:
      - .actual_access:  read_only
        .address_space:  global
        .offset:         0
        .size:           8
        .value_kind:     global_buffer
      - .actual_access:  read_only
        .address_space:  global
        .offset:         8
        .size:           8
        .value_kind:     global_buffer
      - .actual_access:  read_only
        .address_space:  global
        .offset:         16
        .size:           8
        .value_kind:     global_buffer
      - .actual_access:  read_only
        .address_space:  global
        .offset:         24
        .size:           8
        .value_kind:     global_buffer
      - .actual_access:  read_only
        .address_space:  global
        .offset:         32
        .size:           8
        .value_kind:     global_buffer
      - .actual_access:  write_only
        .address_space:  global
        .offset:         40
        .size:           8
        .value_kind:     global_buffer
      - .offset:         48
        .size:           4
        .value_kind:     by_value
      - .offset:         52
        .size:           4
        .value_kind:     by_value
      - .offset:         56
        .size:           4
        .value_kind:     by_value
      - .offset:         60
        .size:           4
        .value_kind:     by_value
      - .offset:         64
        .size:           4
        .value_kind:     by_value
      - .offset:         68
        .size:           4
        .value_kind:     by_value
      - .offset:         72
        .size:           4
        .value_kind:     by_value
      - .offset:         76
        .size:           4
        .value_kind:     by_value
      - .offset:         80
        .size:           4
        .value_kind:     by_value
      - .offset:         84
        .size:           4
        .value_kind:     by_value
      - .offset:         88
        .size:           4
        .value_kind:     by_value
      - .offset:         92
        .size:           4
        .value_kind:     by_value
      - .offset:         96
        .size:           4
        .value_kind:     by_value
      - .offset:         100
        .size:           4
        .value_kind:     by_value
      - .offset:         104
        .size:           12
        .value_kind:     by_value
      - .offset:         116
        .size:           12
        .value_kind:     by_value
    .group_segment_fixed_size: 0
    .kernarg_segment_align: 8
    .kernarg_segment_size: 128
    .language:       OpenCL C
    .language_version:
      - 2
      - 0
    .max_flat_workgroup_size: 256
    .name:           _ZL13mul_mat_f_idsI7__half2Li64ELi3ELi4EEvPKT_PKfPKiS7_S7_Pfiiiiiiiiiiiiii15HIP_vector_typeIjLj3EESA_
    .private_segment_fixed_size: 0
    .sgpr_count:     106
    .sgpr_spill_count: 6
    .symbol:         _ZL13mul_mat_f_idsI7__half2Li64ELi3ELi4EEvPKT_PKfPKiS7_S7_Pfiiiiiiiiiiiiii15HIP_vector_typeIjLj3EESA_.kd
    .uniform_work_group_size: 1
    .uses_dynamic_stack: false
    .vgpr_count:     100
    .vgpr_spill_count: 0
    .wavefront_size: 64
  - .agpr_count:     16
    .args:
      - .actual_access:  read_only
        .address_space:  global
        .offset:         0
        .size:           8
        .value_kind:     global_buffer
      - .actual_access:  read_only
        .address_space:  global
        .offset:         8
        .size:           8
        .value_kind:     global_buffer
      - .actual_access:  read_only
        .address_space:  global
        .offset:         16
        .size:           8
        .value_kind:     global_buffer
      - .actual_access:  write_only
        .address_space:  global
        .offset:         24
        .size:           8
        .value_kind:     global_buffer
      - .offset:         32
        .size:           4
        .value_kind:     by_value
      - .offset:         36
        .size:           4
        .value_kind:     by_value
      - .offset:         40
        .size:           4
        .value_kind:     by_value
      - .offset:         44
        .size:           4
        .value_kind:     by_value
      - .offset:         48
        .size:           4
        .value_kind:     by_value
      - .offset:         52
        .size:           4
        .value_kind:     by_value
      - .offset:         56
        .size:           4
        .value_kind:     by_value
      - .offset:         60
        .size:           4
        .value_kind:     by_value
      - .offset:         64
        .size:           4
        .value_kind:     by_value
      - .offset:         68
        .size:           4
        .value_kind:     by_value
      - .offset:         72
        .size:           4
        .value_kind:     by_value
      - .offset:         76
        .size:           4
        .value_kind:     by_value
      - .offset:         80
        .size:           4
        .value_kind:     by_value
      - .offset:         84
        .size:           4
        .value_kind:     by_value
      - .offset:         88
        .size:           4
        .value_kind:     by_value
      - .offset:         92
        .size:           4
        .value_kind:     by_value
      - .offset:         96
        .size:           4
        .value_kind:     hidden_block_count_x
      - .offset:         100
        .size:           4
        .value_kind:     hidden_block_count_y
      - .offset:         104
        .size:           4
        .value_kind:     hidden_block_count_z
      - .offset:         108
        .size:           2
        .value_kind:     hidden_group_size_x
      - .offset:         110
        .size:           2
        .value_kind:     hidden_group_size_y
      - .offset:         112
        .size:           2
        .value_kind:     hidden_group_size_z
      - .offset:         114
        .size:           2
        .value_kind:     hidden_remainder_x
      - .offset:         116
        .size:           2
        .value_kind:     hidden_remainder_y
      - .offset:         118
        .size:           2
        .value_kind:     hidden_remainder_z
      - .offset:         136
        .size:           8
        .value_kind:     hidden_global_offset_x
      - .offset:         144
        .size:           8
        .value_kind:     hidden_global_offset_y
      - .offset:         152
        .size:           8
        .value_kind:     hidden_global_offset_z
      - .offset:         160
        .size:           2
        .value_kind:     hidden_grid_dims
      - .offset:         216
        .size:           4
        .value_kind:     hidden_dynamic_lds_size
    .group_segment_fixed_size: 256
    .kernarg_segment_align: 8
    .kernarg_segment_size: 352
    .language:       OpenCL C
    .language_version:
      - 2
      - 0
    .max_flat_workgroup_size: 256
    .name:           _ZL9mul_mat_fI7__half2Li64ELi3ELi4ELb1EEvPKT_PKfPKiPfiiiiiiiiiiiiiiii
    .private_segment_fixed_size: 0
    .sgpr_count:     95
    .sgpr_spill_count: 0
    .symbol:         _ZL9mul_mat_fI7__half2Li64ELi3ELi4ELb1EEvPKT_PKfPKiPfiiiiiiiiiiiiiiii.kd
    .uniform_work_group_size: 1
    .uses_dynamic_stack: false
    .vgpr_count:     104
    .vgpr_spill_count: 0
    .wavefront_size: 64
  - .agpr_count:     20
    .args:
      - .actual_access:  read_only
        .address_space:  global
        .offset:         0
        .size:           8
        .value_kind:     global_buffer
      - .actual_access:  read_only
        .address_space:  global
        .offset:         8
        .size:           8
        .value_kind:     global_buffer
      - .actual_access:  read_only
        .address_space:  global
        .offset:         16
        .size:           8
        .value_kind:     global_buffer
      - .actual_access:  write_only
        .address_space:  global
        .offset:         24
        .size:           8
        .value_kind:     global_buffer
      - .offset:         32
        .size:           4
        .value_kind:     by_value
      - .offset:         36
        .size:           4
        .value_kind:     by_value
      - .offset:         40
        .size:           4
        .value_kind:     by_value
      - .offset:         44
        .size:           4
        .value_kind:     by_value
      - .offset:         48
        .size:           4
        .value_kind:     by_value
      - .offset:         52
        .size:           4
        .value_kind:     by_value
      - .offset:         56
        .size:           4
        .value_kind:     by_value
      - .offset:         60
        .size:           4
        .value_kind:     by_value
      - .offset:         64
        .size:           4
        .value_kind:     by_value
      - .offset:         68
        .size:           4
        .value_kind:     by_value
      - .offset:         72
        .size:           4
        .value_kind:     by_value
      - .offset:         76
        .size:           4
        .value_kind:     by_value
      - .offset:         80
        .size:           4
        .value_kind:     by_value
      - .offset:         84
        .size:           4
        .value_kind:     by_value
      - .offset:         88
        .size:           4
        .value_kind:     by_value
      - .offset:         92
        .size:           4
        .value_kind:     by_value
    .group_segment_fixed_size: 0
    .kernarg_segment_align: 8
    .kernarg_segment_size: 96
    .language:       OpenCL C
    .language_version:
      - 2
      - 0
    .max_flat_workgroup_size: 256
    .name:           _ZL9mul_mat_fI7__half2Li64ELi3ELi4ELb0EEvPKT_PKfPKiPfiiiiiiiiiiiiiiii
    .private_segment_fixed_size: 0
    .sgpr_count:     93
    .sgpr_spill_count: 0
    .symbol:         _ZL9mul_mat_fI7__half2Li64ELi3ELi4ELb0EEvPKT_PKfPKiPfiiiiiiiiiiiiiiii.kd
    .uniform_work_group_size: 1
    .uses_dynamic_stack: false
    .vgpr_count:     124
    .vgpr_spill_count: 0
    .wavefront_size: 64
  - .agpr_count:     0
    .args:
      - .actual_access:  read_only
        .address_space:  global
        .offset:         0
        .size:           8
        .value_kind:     global_buffer
      - .actual_access:  read_only
        .address_space:  global
        .offset:         8
        .size:           8
        .value_kind:     global_buffer
      - .actual_access:  read_only
        .address_space:  global
        .offset:         16
        .size:           8
        .value_kind:     global_buffer
      - .actual_access:  read_only
        .address_space:  global
        .offset:         24
        .size:           8
        .value_kind:     global_buffer
      - .actual_access:  read_only
        .address_space:  global
        .offset:         32
        .size:           8
        .value_kind:     global_buffer
      - .actual_access:  write_only
        .address_space:  global
        .offset:         40
        .size:           8
        .value_kind:     global_buffer
      - .offset:         48
        .size:           4
        .value_kind:     by_value
      - .offset:         52
        .size:           4
        .value_kind:     by_value
      - .offset:         56
        .size:           4
        .value_kind:     by_value
      - .offset:         60
        .size:           4
        .value_kind:     by_value
      - .offset:         64
        .size:           4
        .value_kind:     by_value
      - .offset:         68
        .size:           4
        .value_kind:     by_value
      - .offset:         72
        .size:           4
        .value_kind:     by_value
      - .offset:         76
        .size:           4
        .value_kind:     by_value
      - .offset:         80
        .size:           4
        .value_kind:     by_value
      - .offset:         84
        .size:           4
        .value_kind:     by_value
      - .offset:         88
        .size:           4
        .value_kind:     by_value
      - .offset:         92
        .size:           4
        .value_kind:     by_value
      - .offset:         96
        .size:           4
        .value_kind:     by_value
      - .offset:         100
        .size:           4
        .value_kind:     by_value
      - .offset:         104
        .size:           12
        .value_kind:     by_value
      - .offset:         116
        .size:           12
        .value_kind:     by_value
    .group_segment_fixed_size: 0
    .kernarg_segment_align: 8
    .kernarg_segment_size: 128
    .language:       OpenCL C
    .language_version:
      - 2
      - 0
    .max_flat_workgroup_size: 320
    .name:           _ZL13mul_mat_f_idsI7__half2Li64ELi3ELi5EEvPKT_PKfPKiS7_S7_Pfiiiiiiiiiiiiii15HIP_vector_typeIjLj3EESA_
    .private_segment_fixed_size: 0
    .sgpr_count:     106
    .sgpr_spill_count: 6
    .symbol:         _ZL13mul_mat_f_idsI7__half2Li64ELi3ELi5EEvPKT_PKfPKiS7_S7_Pfiiiiiiiiiiiiii15HIP_vector_typeIjLj3EESA_.kd
    .uniform_work_group_size: 1
    .uses_dynamic_stack: false
    .vgpr_count:     102
    .vgpr_spill_count: 0
    .wavefront_size: 64
  - .agpr_count:     0
    .args:
      - .actual_access:  read_only
        .address_space:  global
        .offset:         0
        .size:           8
        .value_kind:     global_buffer
      - .actual_access:  read_only
        .address_space:  global
        .offset:         8
        .size:           8
        .value_kind:     global_buffer
      - .actual_access:  read_only
        .address_space:  global
        .offset:         16
        .size:           8
        .value_kind:     global_buffer
      - .actual_access:  write_only
        .address_space:  global
        .offset:         24
        .size:           8
        .value_kind:     global_buffer
      - .offset:         32
        .size:           4
        .value_kind:     by_value
      - .offset:         36
        .size:           4
        .value_kind:     by_value
      - .offset:         40
        .size:           4
        .value_kind:     by_value
      - .offset:         44
        .size:           4
        .value_kind:     by_value
      - .offset:         48
        .size:           4
        .value_kind:     by_value
      - .offset:         52
        .size:           4
        .value_kind:     by_value
      - .offset:         56
        .size:           4
        .value_kind:     by_value
      - .offset:         60
        .size:           4
        .value_kind:     by_value
      - .offset:         64
        .size:           4
        .value_kind:     by_value
      - .offset:         68
        .size:           4
        .value_kind:     by_value
      - .offset:         72
        .size:           4
        .value_kind:     by_value
      - .offset:         76
        .size:           4
        .value_kind:     by_value
      - .offset:         80
        .size:           4
        .value_kind:     by_value
      - .offset:         84
        .size:           4
        .value_kind:     by_value
      - .offset:         88
        .size:           4
        .value_kind:     by_value
      - .offset:         92
        .size:           4
        .value_kind:     by_value
      - .offset:         96
        .size:           4
        .value_kind:     hidden_block_count_x
      - .offset:         100
        .size:           4
        .value_kind:     hidden_block_count_y
      - .offset:         104
        .size:           4
        .value_kind:     hidden_block_count_z
      - .offset:         108
        .size:           2
        .value_kind:     hidden_group_size_x
      - .offset:         110
        .size:           2
        .value_kind:     hidden_group_size_y
      - .offset:         112
        .size:           2
        .value_kind:     hidden_group_size_z
      - .offset:         114
        .size:           2
        .value_kind:     hidden_remainder_x
      - .offset:         116
        .size:           2
        .value_kind:     hidden_remainder_y
      - .offset:         118
        .size:           2
        .value_kind:     hidden_remainder_z
      - .offset:         136
        .size:           8
        .value_kind:     hidden_global_offset_x
      - .offset:         144
        .size:           8
        .value_kind:     hidden_global_offset_y
      - .offset:         152
        .size:           8
        .value_kind:     hidden_global_offset_z
      - .offset:         160
        .size:           2
        .value_kind:     hidden_grid_dims
      - .offset:         216
        .size:           4
        .value_kind:     hidden_dynamic_lds_size
    .group_segment_fixed_size: 256
    .kernarg_segment_align: 8
    .kernarg_segment_size: 352
    .language:       OpenCL C
    .language_version:
      - 2
      - 0
    .max_flat_workgroup_size: 320
    .name:           _ZL9mul_mat_fI7__half2Li64ELi3ELi5ELb1EEvPKT_PKfPKiPfiiiiiiiiiiiiiiii
    .private_segment_fixed_size: 0
    .sgpr_count:     97
    .sgpr_spill_count: 0
    .symbol:         _ZL9mul_mat_fI7__half2Li64ELi3ELi5ELb1EEvPKT_PKfPKiPfiiiiiiiiiiiiiiii.kd
    .uniform_work_group_size: 1
    .uses_dynamic_stack: false
    .vgpr_count:     108
    .vgpr_spill_count: 0
    .wavefront_size: 64
  - .agpr_count:     0
    .args:
      - .actual_access:  read_only
        .address_space:  global
        .offset:         0
        .size:           8
        .value_kind:     global_buffer
      - .actual_access:  read_only
        .address_space:  global
        .offset:         8
        .size:           8
        .value_kind:     global_buffer
      - .actual_access:  read_only
        .address_space:  global
        .offset:         16
        .size:           8
        .value_kind:     global_buffer
      - .actual_access:  write_only
        .address_space:  global
        .offset:         24
        .size:           8
        .value_kind:     global_buffer
      - .offset:         32
        .size:           4
        .value_kind:     by_value
      - .offset:         36
        .size:           4
        .value_kind:     by_value
      - .offset:         40
        .size:           4
        .value_kind:     by_value
      - .offset:         44
        .size:           4
        .value_kind:     by_value
      - .offset:         48
        .size:           4
        .value_kind:     by_value
      - .offset:         52
        .size:           4
        .value_kind:     by_value
      - .offset:         56
        .size:           4
        .value_kind:     by_value
      - .offset:         60
        .size:           4
        .value_kind:     by_value
      - .offset:         64
        .size:           4
        .value_kind:     by_value
      - .offset:         68
        .size:           4
        .value_kind:     by_value
      - .offset:         72
        .size:           4
        .value_kind:     by_value
      - .offset:         76
        .size:           4
        .value_kind:     by_value
      - .offset:         80
        .size:           4
        .value_kind:     by_value
      - .offset:         84
        .size:           4
        .value_kind:     by_value
      - .offset:         88
        .size:           4
        .value_kind:     by_value
      - .offset:         92
        .size:           4
        .value_kind:     by_value
    .group_segment_fixed_size: 0
    .kernarg_segment_align: 8
    .kernarg_segment_size: 96
    .language:       OpenCL C
    .language_version:
      - 2
      - 0
    .max_flat_workgroup_size: 320
    .name:           _ZL9mul_mat_fI7__half2Li64ELi3ELi5ELb0EEvPKT_PKfPKiPfiiiiiiiiiiiiiiii
    .private_segment_fixed_size: 0
    .sgpr_count:     93
    .sgpr_spill_count: 0
    .symbol:         _ZL9mul_mat_fI7__half2Li64ELi3ELi5ELb0EEvPKT_PKfPKiPfiiiiiiiiiiiiiiii.kd
    .uniform_work_group_size: 1
    .uses_dynamic_stack: false
    .vgpr_count:     107
    .vgpr_spill_count: 0
    .wavefront_size: 64
  - .agpr_count:     0
    .args:
      - .actual_access:  read_only
        .address_space:  global
        .offset:         0
        .size:           8
        .value_kind:     global_buffer
      - .actual_access:  read_only
        .address_space:  global
        .offset:         8
        .size:           8
        .value_kind:     global_buffer
      - .actual_access:  read_only
        .address_space:  global
        .offset:         16
        .size:           8
        .value_kind:     global_buffer
      - .actual_access:  read_only
        .address_space:  global
        .offset:         24
        .size:           8
        .value_kind:     global_buffer
      - .actual_access:  read_only
        .address_space:  global
        .offset:         32
        .size:           8
        .value_kind:     global_buffer
      - .actual_access:  write_only
        .address_space:  global
        .offset:         40
        .size:           8
        .value_kind:     global_buffer
      - .offset:         48
        .size:           4
        .value_kind:     by_value
      - .offset:         52
        .size:           4
        .value_kind:     by_value
      - .offset:         56
        .size:           4
        .value_kind:     by_value
      - .offset:         60
        .size:           4
        .value_kind:     by_value
      - .offset:         64
        .size:           4
        .value_kind:     by_value
      - .offset:         68
        .size:           4
        .value_kind:     by_value
      - .offset:         72
        .size:           4
        .value_kind:     by_value
      - .offset:         76
        .size:           4
        .value_kind:     by_value
      - .offset:         80
        .size:           4
        .value_kind:     by_value
      - .offset:         84
        .size:           4
        .value_kind:     by_value
      - .offset:         88
        .size:           4
        .value_kind:     by_value
      - .offset:         92
        .size:           4
        .value_kind:     by_value
      - .offset:         96
        .size:           4
        .value_kind:     by_value
      - .offset:         100
        .size:           4
        .value_kind:     by_value
      - .offset:         104
        .size:           12
        .value_kind:     by_value
      - .offset:         116
        .size:           12
        .value_kind:     by_value
    .group_segment_fixed_size: 0
    .kernarg_segment_align: 8
    .kernarg_segment_size: 128
    .language:       OpenCL C
    .language_version:
      - 2
      - 0
    .max_flat_workgroup_size: 384
    .name:           _ZL13mul_mat_f_idsI7__half2Li64ELi3ELi6EEvPKT_PKfPKiS7_S7_Pfiiiiiiiiiiiiii15HIP_vector_typeIjLj3EESA_
    .private_segment_fixed_size: 0
    .sgpr_count:     106
    .sgpr_spill_count: 6
    .symbol:         _ZL13mul_mat_f_idsI7__half2Li64ELi3ELi6EEvPKT_PKfPKiS7_S7_Pfiiiiiiiiiiiiii15HIP_vector_typeIjLj3EESA_.kd
    .uniform_work_group_size: 1
    .uses_dynamic_stack: false
    .vgpr_count:     102
    .vgpr_spill_count: 0
    .wavefront_size: 64
  - .agpr_count:     0
    .args:
      - .actual_access:  read_only
        .address_space:  global
        .offset:         0
        .size:           8
        .value_kind:     global_buffer
      - .actual_access:  read_only
        .address_space:  global
        .offset:         8
        .size:           8
        .value_kind:     global_buffer
      - .actual_access:  read_only
        .address_space:  global
        .offset:         16
        .size:           8
        .value_kind:     global_buffer
      - .actual_access:  write_only
        .address_space:  global
        .offset:         24
        .size:           8
        .value_kind:     global_buffer
      - .offset:         32
        .size:           4
        .value_kind:     by_value
      - .offset:         36
        .size:           4
        .value_kind:     by_value
      - .offset:         40
        .size:           4
        .value_kind:     by_value
      - .offset:         44
        .size:           4
        .value_kind:     by_value
      - .offset:         48
        .size:           4
        .value_kind:     by_value
      - .offset:         52
        .size:           4
        .value_kind:     by_value
      - .offset:         56
        .size:           4
        .value_kind:     by_value
      - .offset:         60
        .size:           4
        .value_kind:     by_value
      - .offset:         64
        .size:           4
        .value_kind:     by_value
      - .offset:         68
        .size:           4
        .value_kind:     by_value
      - .offset:         72
        .size:           4
        .value_kind:     by_value
      - .offset:         76
        .size:           4
        .value_kind:     by_value
      - .offset:         80
        .size:           4
        .value_kind:     by_value
      - .offset:         84
        .size:           4
        .value_kind:     by_value
      - .offset:         88
        .size:           4
        .value_kind:     by_value
      - .offset:         92
        .size:           4
        .value_kind:     by_value
      - .offset:         96
        .size:           4
        .value_kind:     hidden_block_count_x
      - .offset:         100
        .size:           4
        .value_kind:     hidden_block_count_y
      - .offset:         104
        .size:           4
        .value_kind:     hidden_block_count_z
      - .offset:         108
        .size:           2
        .value_kind:     hidden_group_size_x
      - .offset:         110
        .size:           2
        .value_kind:     hidden_group_size_y
      - .offset:         112
        .size:           2
        .value_kind:     hidden_group_size_z
      - .offset:         114
        .size:           2
        .value_kind:     hidden_remainder_x
      - .offset:         116
        .size:           2
        .value_kind:     hidden_remainder_y
      - .offset:         118
        .size:           2
        .value_kind:     hidden_remainder_z
      - .offset:         136
        .size:           8
        .value_kind:     hidden_global_offset_x
      - .offset:         144
        .size:           8
        .value_kind:     hidden_global_offset_y
      - .offset:         152
        .size:           8
        .value_kind:     hidden_global_offset_z
      - .offset:         160
        .size:           2
        .value_kind:     hidden_grid_dims
      - .offset:         216
        .size:           4
        .value_kind:     hidden_dynamic_lds_size
    .group_segment_fixed_size: 256
    .kernarg_segment_align: 8
    .kernarg_segment_size: 352
    .language:       OpenCL C
    .language_version:
      - 2
      - 0
    .max_flat_workgroup_size: 384
    .name:           _ZL9mul_mat_fI7__half2Li64ELi3ELi6ELb1EEvPKT_PKfPKiPfiiiiiiiiiiiiiiii
    .private_segment_fixed_size: 0
    .sgpr_count:     97
    .sgpr_spill_count: 0
    .symbol:         _ZL9mul_mat_fI7__half2Li64ELi3ELi6ELb1EEvPKT_PKfPKiPfiiiiiiiiiiiiiiii.kd
    .uniform_work_group_size: 1
    .uses_dynamic_stack: false
    .vgpr_count:     108
    .vgpr_spill_count: 0
    .wavefront_size: 64
  - .agpr_count:     0
    .args:
      - .actual_access:  read_only
        .address_space:  global
        .offset:         0
        .size:           8
        .value_kind:     global_buffer
      - .actual_access:  read_only
        .address_space:  global
        .offset:         8
        .size:           8
        .value_kind:     global_buffer
      - .actual_access:  read_only
        .address_space:  global
        .offset:         16
        .size:           8
        .value_kind:     global_buffer
      - .actual_access:  write_only
        .address_space:  global
        .offset:         24
        .size:           8
        .value_kind:     global_buffer
      - .offset:         32
        .size:           4
        .value_kind:     by_value
      - .offset:         36
        .size:           4
        .value_kind:     by_value
      - .offset:         40
        .size:           4
        .value_kind:     by_value
      - .offset:         44
        .size:           4
        .value_kind:     by_value
      - .offset:         48
        .size:           4
        .value_kind:     by_value
      - .offset:         52
        .size:           4
        .value_kind:     by_value
      - .offset:         56
        .size:           4
        .value_kind:     by_value
      - .offset:         60
        .size:           4
        .value_kind:     by_value
      - .offset:         64
        .size:           4
        .value_kind:     by_value
      - .offset:         68
        .size:           4
        .value_kind:     by_value
      - .offset:         72
        .size:           4
        .value_kind:     by_value
      - .offset:         76
        .size:           4
        .value_kind:     by_value
      - .offset:         80
        .size:           4
        .value_kind:     by_value
      - .offset:         84
        .size:           4
        .value_kind:     by_value
      - .offset:         88
        .size:           4
        .value_kind:     by_value
      - .offset:         92
        .size:           4
        .value_kind:     by_value
    .group_segment_fixed_size: 0
    .kernarg_segment_align: 8
    .kernarg_segment_size: 96
    .language:       OpenCL C
    .language_version:
      - 2
      - 0
    .max_flat_workgroup_size: 384
    .name:           _ZL9mul_mat_fI7__half2Li64ELi3ELi6ELb0EEvPKT_PKfPKiPfiiiiiiiiiiiiiiii
    .private_segment_fixed_size: 0
    .sgpr_count:     93
    .sgpr_spill_count: 0
    .symbol:         _ZL9mul_mat_fI7__half2Li64ELi3ELi6ELb0EEvPKT_PKfPKiPfiiiiiiiiiiiiiiii.kd
    .uniform_work_group_size: 1
    .uses_dynamic_stack: false
    .vgpr_count:     107
    .vgpr_spill_count: 0
    .wavefront_size: 64
  - .agpr_count:     0
    .args:
      - .actual_access:  read_only
        .address_space:  global
        .offset:         0
        .size:           8
        .value_kind:     global_buffer
      - .actual_access:  read_only
        .address_space:  global
        .offset:         8
        .size:           8
        .value_kind:     global_buffer
      - .actual_access:  read_only
        .address_space:  global
        .offset:         16
        .size:           8
        .value_kind:     global_buffer
      - .actual_access:  read_only
        .address_space:  global
        .offset:         24
        .size:           8
        .value_kind:     global_buffer
      - .actual_access:  read_only
        .address_space:  global
        .offset:         32
        .size:           8
        .value_kind:     global_buffer
      - .actual_access:  write_only
        .address_space:  global
        .offset:         40
        .size:           8
        .value_kind:     global_buffer
      - .offset:         48
        .size:           4
        .value_kind:     by_value
      - .offset:         52
        .size:           4
        .value_kind:     by_value
      - .offset:         56
        .size:           4
        .value_kind:     by_value
      - .offset:         60
        .size:           4
        .value_kind:     by_value
      - .offset:         64
        .size:           4
        .value_kind:     by_value
      - .offset:         68
        .size:           4
        .value_kind:     by_value
      - .offset:         72
        .size:           4
        .value_kind:     by_value
      - .offset:         76
        .size:           4
        .value_kind:     by_value
      - .offset:         80
        .size:           4
        .value_kind:     by_value
      - .offset:         84
        .size:           4
        .value_kind:     by_value
      - .offset:         88
        .size:           4
        .value_kind:     by_value
      - .offset:         92
        .size:           4
        .value_kind:     by_value
      - .offset:         96
        .size:           4
        .value_kind:     by_value
      - .offset:         100
        .size:           4
        .value_kind:     by_value
      - .offset:         104
        .size:           12
        .value_kind:     by_value
      - .offset:         116
        .size:           12
        .value_kind:     by_value
    .group_segment_fixed_size: 0
    .kernarg_segment_align: 8
    .kernarg_segment_size: 128
    .language:       OpenCL C
    .language_version:
      - 2
      - 0
    .max_flat_workgroup_size: 448
    .name:           _ZL13mul_mat_f_idsI7__half2Li64ELi3ELi7EEvPKT_PKfPKiS7_S7_Pfiiiiiiiiiiiiii15HIP_vector_typeIjLj3EESA_
    .private_segment_fixed_size: 0
    .sgpr_count:     106
    .sgpr_spill_count: 6
    .symbol:         _ZL13mul_mat_f_idsI7__half2Li64ELi3ELi7EEvPKT_PKfPKiS7_S7_Pfiiiiiiiiiiiiii15HIP_vector_typeIjLj3EESA_.kd
    .uniform_work_group_size: 1
    .uses_dynamic_stack: false
    .vgpr_count:     102
    .vgpr_spill_count: 0
    .wavefront_size: 64
  - .agpr_count:     0
    .args:
      - .actual_access:  read_only
        .address_space:  global
        .offset:         0
        .size:           8
        .value_kind:     global_buffer
      - .actual_access:  read_only
        .address_space:  global
        .offset:         8
        .size:           8
        .value_kind:     global_buffer
      - .actual_access:  read_only
        .address_space:  global
        .offset:         16
        .size:           8
        .value_kind:     global_buffer
      - .actual_access:  write_only
        .address_space:  global
        .offset:         24
        .size:           8
        .value_kind:     global_buffer
      - .offset:         32
        .size:           4
        .value_kind:     by_value
      - .offset:         36
        .size:           4
        .value_kind:     by_value
      - .offset:         40
        .size:           4
        .value_kind:     by_value
      - .offset:         44
        .size:           4
        .value_kind:     by_value
      - .offset:         48
        .size:           4
        .value_kind:     by_value
      - .offset:         52
        .size:           4
        .value_kind:     by_value
      - .offset:         56
        .size:           4
        .value_kind:     by_value
      - .offset:         60
        .size:           4
        .value_kind:     by_value
      - .offset:         64
        .size:           4
        .value_kind:     by_value
      - .offset:         68
        .size:           4
        .value_kind:     by_value
      - .offset:         72
        .size:           4
        .value_kind:     by_value
      - .offset:         76
        .size:           4
        .value_kind:     by_value
      - .offset:         80
        .size:           4
        .value_kind:     by_value
      - .offset:         84
        .size:           4
        .value_kind:     by_value
      - .offset:         88
        .size:           4
        .value_kind:     by_value
      - .offset:         92
        .size:           4
        .value_kind:     by_value
      - .offset:         96
        .size:           4
        .value_kind:     hidden_block_count_x
      - .offset:         100
        .size:           4
        .value_kind:     hidden_block_count_y
      - .offset:         104
        .size:           4
        .value_kind:     hidden_block_count_z
      - .offset:         108
        .size:           2
        .value_kind:     hidden_group_size_x
      - .offset:         110
        .size:           2
        .value_kind:     hidden_group_size_y
      - .offset:         112
        .size:           2
        .value_kind:     hidden_group_size_z
      - .offset:         114
        .size:           2
        .value_kind:     hidden_remainder_x
      - .offset:         116
        .size:           2
        .value_kind:     hidden_remainder_y
      - .offset:         118
        .size:           2
        .value_kind:     hidden_remainder_z
      - .offset:         136
        .size:           8
        .value_kind:     hidden_global_offset_x
      - .offset:         144
        .size:           8
        .value_kind:     hidden_global_offset_y
      - .offset:         152
        .size:           8
        .value_kind:     hidden_global_offset_z
      - .offset:         160
        .size:           2
        .value_kind:     hidden_grid_dims
      - .offset:         216
        .size:           4
        .value_kind:     hidden_dynamic_lds_size
    .group_segment_fixed_size: 256
    .kernarg_segment_align: 8
    .kernarg_segment_size: 352
    .language:       OpenCL C
    .language_version:
      - 2
      - 0
    .max_flat_workgroup_size: 448
    .name:           _ZL9mul_mat_fI7__half2Li64ELi3ELi7ELb1EEvPKT_PKfPKiPfiiiiiiiiiiiiiiii
    .private_segment_fixed_size: 0
    .sgpr_count:     97
    .sgpr_spill_count: 0
    .symbol:         _ZL9mul_mat_fI7__half2Li64ELi3ELi7ELb1EEvPKT_PKfPKiPfiiiiiiiiiiiiiiii.kd
    .uniform_work_group_size: 1
    .uses_dynamic_stack: false
    .vgpr_count:     108
    .vgpr_spill_count: 0
    .wavefront_size: 64
  - .agpr_count:     0
    .args:
      - .actual_access:  read_only
        .address_space:  global
        .offset:         0
        .size:           8
        .value_kind:     global_buffer
      - .actual_access:  read_only
        .address_space:  global
        .offset:         8
        .size:           8
        .value_kind:     global_buffer
      - .actual_access:  read_only
        .address_space:  global
        .offset:         16
        .size:           8
        .value_kind:     global_buffer
      - .actual_access:  write_only
        .address_space:  global
        .offset:         24
        .size:           8
        .value_kind:     global_buffer
      - .offset:         32
        .size:           4
        .value_kind:     by_value
      - .offset:         36
        .size:           4
        .value_kind:     by_value
      - .offset:         40
        .size:           4
        .value_kind:     by_value
      - .offset:         44
        .size:           4
        .value_kind:     by_value
      - .offset:         48
        .size:           4
        .value_kind:     by_value
      - .offset:         52
        .size:           4
        .value_kind:     by_value
      - .offset:         56
        .size:           4
        .value_kind:     by_value
      - .offset:         60
        .size:           4
        .value_kind:     by_value
      - .offset:         64
        .size:           4
        .value_kind:     by_value
      - .offset:         68
        .size:           4
        .value_kind:     by_value
      - .offset:         72
        .size:           4
        .value_kind:     by_value
      - .offset:         76
        .size:           4
        .value_kind:     by_value
      - .offset:         80
        .size:           4
        .value_kind:     by_value
      - .offset:         84
        .size:           4
        .value_kind:     by_value
      - .offset:         88
        .size:           4
        .value_kind:     by_value
      - .offset:         92
        .size:           4
        .value_kind:     by_value
    .group_segment_fixed_size: 0
    .kernarg_segment_align: 8
    .kernarg_segment_size: 96
    .language:       OpenCL C
    .language_version:
      - 2
      - 0
    .max_flat_workgroup_size: 448
    .name:           _ZL9mul_mat_fI7__half2Li64ELi3ELi7ELb0EEvPKT_PKfPKiPfiiiiiiiiiiiiiiii
    .private_segment_fixed_size: 0
    .sgpr_count:     93
    .sgpr_spill_count: 0
    .symbol:         _ZL9mul_mat_fI7__half2Li64ELi3ELi7ELb0EEvPKT_PKfPKiPfiiiiiiiiiiiiiiii.kd
    .uniform_work_group_size: 1
    .uses_dynamic_stack: false
    .vgpr_count:     107
    .vgpr_spill_count: 0
    .wavefront_size: 64
  - .agpr_count:     0
    .args:
      - .actual_access:  read_only
        .address_space:  global
        .offset:         0
        .size:           8
        .value_kind:     global_buffer
      - .actual_access:  read_only
        .address_space:  global
        .offset:         8
        .size:           8
        .value_kind:     global_buffer
      - .actual_access:  read_only
        .address_space:  global
        .offset:         16
        .size:           8
        .value_kind:     global_buffer
      - .actual_access:  read_only
        .address_space:  global
        .offset:         24
        .size:           8
        .value_kind:     global_buffer
      - .actual_access:  read_only
        .address_space:  global
        .offset:         32
        .size:           8
        .value_kind:     global_buffer
      - .actual_access:  write_only
        .address_space:  global
        .offset:         40
        .size:           8
        .value_kind:     global_buffer
      - .offset:         48
        .size:           4
        .value_kind:     by_value
      - .offset:         52
        .size:           4
        .value_kind:     by_value
      - .offset:         56
        .size:           4
        .value_kind:     by_value
      - .offset:         60
        .size:           4
        .value_kind:     by_value
      - .offset:         64
        .size:           4
        .value_kind:     by_value
      - .offset:         68
        .size:           4
        .value_kind:     by_value
      - .offset:         72
        .size:           4
        .value_kind:     by_value
      - .offset:         76
        .size:           4
        .value_kind:     by_value
      - .offset:         80
        .size:           4
        .value_kind:     by_value
      - .offset:         84
        .size:           4
        .value_kind:     by_value
      - .offset:         88
        .size:           4
        .value_kind:     by_value
      - .offset:         92
        .size:           4
        .value_kind:     by_value
      - .offset:         96
        .size:           4
        .value_kind:     by_value
      - .offset:         100
        .size:           4
        .value_kind:     by_value
      - .offset:         104
        .size:           12
        .value_kind:     by_value
      - .offset:         116
        .size:           12
        .value_kind:     by_value
    .group_segment_fixed_size: 0
    .kernarg_segment_align: 8
    .kernarg_segment_size: 128
    .language:       OpenCL C
    .language_version:
      - 2
      - 0
    .max_flat_workgroup_size: 512
    .name:           _ZL13mul_mat_f_idsI7__half2Li64ELi3ELi8EEvPKT_PKfPKiS7_S7_Pfiiiiiiiiiiiiii15HIP_vector_typeIjLj3EESA_
    .private_segment_fixed_size: 0
    .sgpr_count:     106
    .sgpr_spill_count: 6
    .symbol:         _ZL13mul_mat_f_idsI7__half2Li64ELi3ELi8EEvPKT_PKfPKiS7_S7_Pfiiiiiiiiiiiiii15HIP_vector_typeIjLj3EESA_.kd
    .uniform_work_group_size: 1
    .uses_dynamic_stack: false
    .vgpr_count:     102
    .vgpr_spill_count: 0
    .wavefront_size: 64
  - .agpr_count:     0
    .args:
      - .actual_access:  read_only
        .address_space:  global
        .offset:         0
        .size:           8
        .value_kind:     global_buffer
      - .actual_access:  read_only
        .address_space:  global
        .offset:         8
        .size:           8
        .value_kind:     global_buffer
      - .actual_access:  read_only
        .address_space:  global
        .offset:         16
        .size:           8
        .value_kind:     global_buffer
      - .actual_access:  write_only
        .address_space:  global
        .offset:         24
        .size:           8
        .value_kind:     global_buffer
      - .offset:         32
        .size:           4
        .value_kind:     by_value
      - .offset:         36
        .size:           4
        .value_kind:     by_value
      - .offset:         40
        .size:           4
        .value_kind:     by_value
      - .offset:         44
        .size:           4
        .value_kind:     by_value
      - .offset:         48
        .size:           4
        .value_kind:     by_value
      - .offset:         52
        .size:           4
        .value_kind:     by_value
      - .offset:         56
        .size:           4
        .value_kind:     by_value
      - .offset:         60
        .size:           4
        .value_kind:     by_value
      - .offset:         64
        .size:           4
        .value_kind:     by_value
      - .offset:         68
        .size:           4
        .value_kind:     by_value
      - .offset:         72
        .size:           4
        .value_kind:     by_value
      - .offset:         76
        .size:           4
        .value_kind:     by_value
      - .offset:         80
        .size:           4
        .value_kind:     by_value
      - .offset:         84
        .size:           4
        .value_kind:     by_value
      - .offset:         88
        .size:           4
        .value_kind:     by_value
      - .offset:         92
        .size:           4
        .value_kind:     by_value
      - .offset:         96
        .size:           4
        .value_kind:     hidden_block_count_x
      - .offset:         100
        .size:           4
        .value_kind:     hidden_block_count_y
      - .offset:         104
        .size:           4
        .value_kind:     hidden_block_count_z
      - .offset:         108
        .size:           2
        .value_kind:     hidden_group_size_x
      - .offset:         110
        .size:           2
        .value_kind:     hidden_group_size_y
      - .offset:         112
        .size:           2
        .value_kind:     hidden_group_size_z
      - .offset:         114
        .size:           2
        .value_kind:     hidden_remainder_x
      - .offset:         116
        .size:           2
        .value_kind:     hidden_remainder_y
      - .offset:         118
        .size:           2
        .value_kind:     hidden_remainder_z
      - .offset:         136
        .size:           8
        .value_kind:     hidden_global_offset_x
      - .offset:         144
        .size:           8
        .value_kind:     hidden_global_offset_y
      - .offset:         152
        .size:           8
        .value_kind:     hidden_global_offset_z
      - .offset:         160
        .size:           2
        .value_kind:     hidden_grid_dims
      - .offset:         216
        .size:           4
        .value_kind:     hidden_dynamic_lds_size
    .group_segment_fixed_size: 256
    .kernarg_segment_align: 8
    .kernarg_segment_size: 352
    .language:       OpenCL C
    .language_version:
      - 2
      - 0
    .max_flat_workgroup_size: 512
    .name:           _ZL9mul_mat_fI7__half2Li64ELi3ELi8ELb1EEvPKT_PKfPKiPfiiiiiiiiiiiiiiii
    .private_segment_fixed_size: 0
    .sgpr_count:     95
    .sgpr_spill_count: 0
    .symbol:         _ZL9mul_mat_fI7__half2Li64ELi3ELi8ELb1EEvPKT_PKfPKiPfiiiiiiiiiiiiiiii.kd
    .uniform_work_group_size: 1
    .uses_dynamic_stack: false
    .vgpr_count:     111
    .vgpr_spill_count: 0
    .wavefront_size: 64
  - .agpr_count:     0
    .args:
      - .actual_access:  read_only
        .address_space:  global
        .offset:         0
        .size:           8
        .value_kind:     global_buffer
      - .actual_access:  read_only
        .address_space:  global
        .offset:         8
        .size:           8
        .value_kind:     global_buffer
      - .actual_access:  read_only
        .address_space:  global
        .offset:         16
        .size:           8
        .value_kind:     global_buffer
      - .actual_access:  write_only
        .address_space:  global
        .offset:         24
        .size:           8
        .value_kind:     global_buffer
      - .offset:         32
        .size:           4
        .value_kind:     by_value
      - .offset:         36
        .size:           4
        .value_kind:     by_value
      - .offset:         40
        .size:           4
        .value_kind:     by_value
      - .offset:         44
        .size:           4
        .value_kind:     by_value
      - .offset:         48
        .size:           4
        .value_kind:     by_value
      - .offset:         52
        .size:           4
        .value_kind:     by_value
      - .offset:         56
        .size:           4
        .value_kind:     by_value
      - .offset:         60
        .size:           4
        .value_kind:     by_value
      - .offset:         64
        .size:           4
        .value_kind:     by_value
      - .offset:         68
        .size:           4
        .value_kind:     by_value
      - .offset:         72
        .size:           4
        .value_kind:     by_value
      - .offset:         76
        .size:           4
        .value_kind:     by_value
      - .offset:         80
        .size:           4
        .value_kind:     by_value
      - .offset:         84
        .size:           4
        .value_kind:     by_value
      - .offset:         88
        .size:           4
        .value_kind:     by_value
      - .offset:         92
        .size:           4
        .value_kind:     by_value
    .group_segment_fixed_size: 0
    .kernarg_segment_align: 8
    .kernarg_segment_size: 96
    .language:       OpenCL C
    .language_version:
      - 2
      - 0
    .max_flat_workgroup_size: 512
    .name:           _ZL9mul_mat_fI7__half2Li64ELi3ELi8ELb0EEvPKT_PKfPKiPfiiiiiiiiiiiiiiii
    .private_segment_fixed_size: 0
    .sgpr_count:     93
    .sgpr_spill_count: 0
    .symbol:         _ZL9mul_mat_fI7__half2Li64ELi3ELi8ELb0EEvPKT_PKfPKiPfiiiiiiiiiiiiiiii.kd
    .uniform_work_group_size: 1
    .uses_dynamic_stack: false
    .vgpr_count:     107
    .vgpr_spill_count: 0
    .wavefront_size: 64
  - .agpr_count:     16
    .args:
      - .actual_access:  read_only
        .address_space:  global
        .offset:         0
        .size:           8
        .value_kind:     global_buffer
      - .actual_access:  read_only
        .address_space:  global
        .offset:         8
        .size:           8
        .value_kind:     global_buffer
      - .actual_access:  read_only
        .address_space:  global
        .offset:         16
        .size:           8
        .value_kind:     global_buffer
      - .actual_access:  read_only
        .address_space:  global
        .offset:         24
        .size:           8
        .value_kind:     global_buffer
      - .actual_access:  read_only
        .address_space:  global
        .offset:         32
        .size:           8
        .value_kind:     global_buffer
      - .actual_access:  write_only
        .address_space:  global
        .offset:         40
        .size:           8
        .value_kind:     global_buffer
      - .offset:         48
        .size:           4
        .value_kind:     by_value
      - .offset:         52
        .size:           4
        .value_kind:     by_value
      - .offset:         56
        .size:           4
        .value_kind:     by_value
      - .offset:         60
        .size:           4
        .value_kind:     by_value
      - .offset:         64
        .size:           4
        .value_kind:     by_value
      - .offset:         68
        .size:           4
        .value_kind:     by_value
      - .offset:         72
        .size:           4
        .value_kind:     by_value
      - .offset:         76
        .size:           4
        .value_kind:     by_value
      - .offset:         80
        .size:           4
        .value_kind:     by_value
      - .offset:         84
        .size:           4
        .value_kind:     by_value
      - .offset:         88
        .size:           4
        .value_kind:     by_value
      - .offset:         92
        .size:           4
        .value_kind:     by_value
      - .offset:         96
        .size:           4
        .value_kind:     by_value
      - .offset:         100
        .size:           4
        .value_kind:     by_value
      - .offset:         104
        .size:           12
        .value_kind:     by_value
      - .offset:         116
        .size:           12
        .value_kind:     by_value
    .group_segment_fixed_size: 0
    .kernarg_segment_align: 8
    .kernarg_segment_size: 128
    .language:       OpenCL C
    .language_version:
      - 2
      - 0
    .max_flat_workgroup_size: 64
    .name:           _ZL13mul_mat_f_idsI15__hip_bfloat162Li64ELi3ELi1EEvPKT_PKfPKiS7_S7_Pfiiiiiiiiiiiiii15HIP_vector_typeIjLj3EESA_
    .private_segment_fixed_size: 0
    .sgpr_count:     106
    .sgpr_spill_count: 5
    .symbol:         _ZL13mul_mat_f_idsI15__hip_bfloat162Li64ELi3ELi1EEvPKT_PKfPKiS7_S7_Pfiiiiiiiiiiiiii15HIP_vector_typeIjLj3EESA_.kd
    .uniform_work_group_size: 1
    .uses_dynamic_stack: false
    .vgpr_count:     100
    .vgpr_spill_count: 0
    .wavefront_size: 64
  - .agpr_count:     16
    .args:
      - .actual_access:  read_only
        .address_space:  global
        .offset:         0
        .size:           8
        .value_kind:     global_buffer
      - .actual_access:  read_only
        .address_space:  global
        .offset:         8
        .size:           8
        .value_kind:     global_buffer
      - .actual_access:  read_only
        .address_space:  global
        .offset:         16
        .size:           8
        .value_kind:     global_buffer
      - .actual_access:  write_only
        .address_space:  global
        .offset:         24
        .size:           8
        .value_kind:     global_buffer
      - .offset:         32
        .size:           4
        .value_kind:     by_value
      - .offset:         36
        .size:           4
        .value_kind:     by_value
      - .offset:         40
        .size:           4
        .value_kind:     by_value
      - .offset:         44
        .size:           4
        .value_kind:     by_value
      - .offset:         48
        .size:           4
        .value_kind:     by_value
      - .offset:         52
        .size:           4
        .value_kind:     by_value
      - .offset:         56
        .size:           4
        .value_kind:     by_value
      - .offset:         60
        .size:           4
        .value_kind:     by_value
      - .offset:         64
        .size:           4
        .value_kind:     by_value
      - .offset:         68
        .size:           4
        .value_kind:     by_value
      - .offset:         72
        .size:           4
        .value_kind:     by_value
      - .offset:         76
        .size:           4
        .value_kind:     by_value
      - .offset:         80
        .size:           4
        .value_kind:     by_value
      - .offset:         84
        .size:           4
        .value_kind:     by_value
      - .offset:         88
        .size:           4
        .value_kind:     by_value
      - .offset:         92
        .size:           4
        .value_kind:     by_value
      - .offset:         96
        .size:           4
        .value_kind:     hidden_block_count_x
      - .offset:         100
        .size:           4
        .value_kind:     hidden_block_count_y
      - .offset:         104
        .size:           4
        .value_kind:     hidden_block_count_z
      - .offset:         108
        .size:           2
        .value_kind:     hidden_group_size_x
      - .offset:         110
        .size:           2
        .value_kind:     hidden_group_size_y
      - .offset:         112
        .size:           2
        .value_kind:     hidden_group_size_z
      - .offset:         114
        .size:           2
        .value_kind:     hidden_remainder_x
      - .offset:         116
        .size:           2
        .value_kind:     hidden_remainder_y
      - .offset:         118
        .size:           2
        .value_kind:     hidden_remainder_z
      - .offset:         136
        .size:           8
        .value_kind:     hidden_global_offset_x
      - .offset:         144
        .size:           8
        .value_kind:     hidden_global_offset_y
      - .offset:         152
        .size:           8
        .value_kind:     hidden_global_offset_z
      - .offset:         160
        .size:           2
        .value_kind:     hidden_grid_dims
      - .offset:         216
        .size:           4
        .value_kind:     hidden_dynamic_lds_size
    .group_segment_fixed_size: 256
    .kernarg_segment_align: 8
    .kernarg_segment_size: 352
    .language:       OpenCL C
    .language_version:
      - 2
      - 0
    .max_flat_workgroup_size: 64
    .name:           _ZL9mul_mat_fI15__hip_bfloat162Li64ELi3ELi1ELb1EEvPKT_PKfPKiPfiiiiiiiiiiiiiiii
    .private_segment_fixed_size: 0
    .sgpr_count:     101
    .sgpr_spill_count: 0
    .symbol:         _ZL9mul_mat_fI15__hip_bfloat162Li64ELi3ELi1ELb1EEvPKT_PKfPKiPfiiiiiiiiiiiiiiii.kd
    .uniform_work_group_size: 1
    .uses_dynamic_stack: false
    .vgpr_count:     104
    .vgpr_spill_count: 0
    .wavefront_size: 64
  - .agpr_count:     20
    .args:
      - .actual_access:  read_only
        .address_space:  global
        .offset:         0
        .size:           8
        .value_kind:     global_buffer
      - .actual_access:  read_only
        .address_space:  global
        .offset:         8
        .size:           8
        .value_kind:     global_buffer
      - .actual_access:  read_only
        .address_space:  global
        .offset:         16
        .size:           8
        .value_kind:     global_buffer
      - .actual_access:  write_only
        .address_space:  global
        .offset:         24
        .size:           8
        .value_kind:     global_buffer
      - .offset:         32
        .size:           4
        .value_kind:     by_value
      - .offset:         36
        .size:           4
        .value_kind:     by_value
      - .offset:         40
        .size:           4
        .value_kind:     by_value
      - .offset:         44
        .size:           4
        .value_kind:     by_value
      - .offset:         48
        .size:           4
        .value_kind:     by_value
      - .offset:         52
        .size:           4
        .value_kind:     by_value
      - .offset:         56
        .size:           4
        .value_kind:     by_value
      - .offset:         60
        .size:           4
        .value_kind:     by_value
      - .offset:         64
        .size:           4
        .value_kind:     by_value
      - .offset:         68
        .size:           4
        .value_kind:     by_value
      - .offset:         72
        .size:           4
        .value_kind:     by_value
      - .offset:         76
        .size:           4
        .value_kind:     by_value
      - .offset:         80
        .size:           4
        .value_kind:     by_value
      - .offset:         84
        .size:           4
        .value_kind:     by_value
      - .offset:         88
        .size:           4
        .value_kind:     by_value
      - .offset:         92
        .size:           4
        .value_kind:     by_value
    .group_segment_fixed_size: 0
    .kernarg_segment_align: 8
    .kernarg_segment_size: 96
    .language:       OpenCL C
    .language_version:
      - 2
      - 0
    .max_flat_workgroup_size: 64
    .name:           _ZL9mul_mat_fI15__hip_bfloat162Li64ELi3ELi1ELb0EEvPKT_PKfPKiPfiiiiiiiiiiiiiiii
    .private_segment_fixed_size: 0
    .sgpr_count:     93
    .sgpr_spill_count: 0
    .symbol:         _ZL9mul_mat_fI15__hip_bfloat162Li64ELi3ELi1ELb0EEvPKT_PKfPKiPfiiiiiiiiiiiiiiii.kd
    .uniform_work_group_size: 1
    .uses_dynamic_stack: false
    .vgpr_count:     124
    .vgpr_spill_count: 0
    .wavefront_size: 64
  - .agpr_count:     16
    .args:
      - .actual_access:  read_only
        .address_space:  global
        .offset:         0
        .size:           8
        .value_kind:     global_buffer
      - .actual_access:  read_only
        .address_space:  global
        .offset:         8
        .size:           8
        .value_kind:     global_buffer
      - .actual_access:  read_only
        .address_space:  global
        .offset:         16
        .size:           8
        .value_kind:     global_buffer
      - .actual_access:  read_only
        .address_space:  global
        .offset:         24
        .size:           8
        .value_kind:     global_buffer
      - .actual_access:  read_only
        .address_space:  global
        .offset:         32
        .size:           8
        .value_kind:     global_buffer
      - .actual_access:  write_only
        .address_space:  global
        .offset:         40
        .size:           8
        .value_kind:     global_buffer
      - .offset:         48
        .size:           4
        .value_kind:     by_value
      - .offset:         52
        .size:           4
        .value_kind:     by_value
      - .offset:         56
        .size:           4
        .value_kind:     by_value
      - .offset:         60
        .size:           4
        .value_kind:     by_value
      - .offset:         64
        .size:           4
        .value_kind:     by_value
      - .offset:         68
        .size:           4
        .value_kind:     by_value
      - .offset:         72
        .size:           4
        .value_kind:     by_value
      - .offset:         76
        .size:           4
        .value_kind:     by_value
      - .offset:         80
        .size:           4
        .value_kind:     by_value
      - .offset:         84
        .size:           4
        .value_kind:     by_value
      - .offset:         88
        .size:           4
        .value_kind:     by_value
      - .offset:         92
        .size:           4
        .value_kind:     by_value
      - .offset:         96
        .size:           4
        .value_kind:     by_value
      - .offset:         100
        .size:           4
        .value_kind:     by_value
      - .offset:         104
        .size:           12
        .value_kind:     by_value
      - .offset:         116
        .size:           12
        .value_kind:     by_value
    .group_segment_fixed_size: 0
    .kernarg_segment_align: 8
    .kernarg_segment_size: 128
    .language:       OpenCL C
    .language_version:
      - 2
      - 0
    .max_flat_workgroup_size: 128
    .name:           _ZL13mul_mat_f_idsI15__hip_bfloat162Li64ELi3ELi2EEvPKT_PKfPKiS7_S7_Pfiiiiiiiiiiiiii15HIP_vector_typeIjLj3EESA_
    .private_segment_fixed_size: 0
    .sgpr_count:     106
    .sgpr_spill_count: 5
    .symbol:         _ZL13mul_mat_f_idsI15__hip_bfloat162Li64ELi3ELi2EEvPKT_PKfPKiS7_S7_Pfiiiiiiiiiiiiii15HIP_vector_typeIjLj3EESA_.kd
    .uniform_work_group_size: 1
    .uses_dynamic_stack: false
    .vgpr_count:     100
    .vgpr_spill_count: 0
    .wavefront_size: 64
  - .agpr_count:     16
    .args:
      - .actual_access:  read_only
        .address_space:  global
        .offset:         0
        .size:           8
        .value_kind:     global_buffer
      - .actual_access:  read_only
        .address_space:  global
        .offset:         8
        .size:           8
        .value_kind:     global_buffer
      - .actual_access:  read_only
        .address_space:  global
        .offset:         16
        .size:           8
        .value_kind:     global_buffer
      - .actual_access:  write_only
        .address_space:  global
        .offset:         24
        .size:           8
        .value_kind:     global_buffer
      - .offset:         32
        .size:           4
        .value_kind:     by_value
      - .offset:         36
        .size:           4
        .value_kind:     by_value
      - .offset:         40
        .size:           4
        .value_kind:     by_value
      - .offset:         44
        .size:           4
        .value_kind:     by_value
      - .offset:         48
        .size:           4
        .value_kind:     by_value
      - .offset:         52
        .size:           4
        .value_kind:     by_value
      - .offset:         56
        .size:           4
        .value_kind:     by_value
      - .offset:         60
        .size:           4
        .value_kind:     by_value
      - .offset:         64
        .size:           4
        .value_kind:     by_value
      - .offset:         68
        .size:           4
        .value_kind:     by_value
      - .offset:         72
        .size:           4
        .value_kind:     by_value
      - .offset:         76
        .size:           4
        .value_kind:     by_value
      - .offset:         80
        .size:           4
        .value_kind:     by_value
      - .offset:         84
        .size:           4
        .value_kind:     by_value
      - .offset:         88
        .size:           4
        .value_kind:     by_value
      - .offset:         92
        .size:           4
        .value_kind:     by_value
      - .offset:         96
        .size:           4
        .value_kind:     hidden_block_count_x
      - .offset:         100
        .size:           4
        .value_kind:     hidden_block_count_y
      - .offset:         104
        .size:           4
        .value_kind:     hidden_block_count_z
      - .offset:         108
        .size:           2
        .value_kind:     hidden_group_size_x
      - .offset:         110
        .size:           2
        .value_kind:     hidden_group_size_y
      - .offset:         112
        .size:           2
        .value_kind:     hidden_group_size_z
      - .offset:         114
        .size:           2
        .value_kind:     hidden_remainder_x
      - .offset:         116
        .size:           2
        .value_kind:     hidden_remainder_y
      - .offset:         118
        .size:           2
        .value_kind:     hidden_remainder_z
      - .offset:         136
        .size:           8
        .value_kind:     hidden_global_offset_x
      - .offset:         144
        .size:           8
        .value_kind:     hidden_global_offset_y
      - .offset:         152
        .size:           8
        .value_kind:     hidden_global_offset_z
      - .offset:         160
        .size:           2
        .value_kind:     hidden_grid_dims
      - .offset:         216
        .size:           4
        .value_kind:     hidden_dynamic_lds_size
    .group_segment_fixed_size: 256
    .kernarg_segment_align: 8
    .kernarg_segment_size: 352
    .language:       OpenCL C
    .language_version:
      - 2
      - 0
    .max_flat_workgroup_size: 128
    .name:           _ZL9mul_mat_fI15__hip_bfloat162Li64ELi3ELi2ELb1EEvPKT_PKfPKiPfiiiiiiiiiiiiiiii
    .private_segment_fixed_size: 0
    .sgpr_count:     99
    .sgpr_spill_count: 0
    .symbol:         _ZL9mul_mat_fI15__hip_bfloat162Li64ELi3ELi2ELb1EEvPKT_PKfPKiPfiiiiiiiiiiiiiiii.kd
    .uniform_work_group_size: 1
    .uses_dynamic_stack: false
    .vgpr_count:     104
    .vgpr_spill_count: 0
    .wavefront_size: 64
  - .agpr_count:     20
    .args:
      - .actual_access:  read_only
        .address_space:  global
        .offset:         0
        .size:           8
        .value_kind:     global_buffer
      - .actual_access:  read_only
        .address_space:  global
        .offset:         8
        .size:           8
        .value_kind:     global_buffer
      - .actual_access:  read_only
        .address_space:  global
        .offset:         16
        .size:           8
        .value_kind:     global_buffer
      - .actual_access:  write_only
        .address_space:  global
        .offset:         24
        .size:           8
        .value_kind:     global_buffer
      - .offset:         32
        .size:           4
        .value_kind:     by_value
      - .offset:         36
        .size:           4
        .value_kind:     by_value
      - .offset:         40
        .size:           4
        .value_kind:     by_value
      - .offset:         44
        .size:           4
        .value_kind:     by_value
      - .offset:         48
        .size:           4
        .value_kind:     by_value
      - .offset:         52
        .size:           4
        .value_kind:     by_value
      - .offset:         56
        .size:           4
        .value_kind:     by_value
      - .offset:         60
        .size:           4
        .value_kind:     by_value
      - .offset:         64
        .size:           4
        .value_kind:     by_value
      - .offset:         68
        .size:           4
        .value_kind:     by_value
      - .offset:         72
        .size:           4
        .value_kind:     by_value
      - .offset:         76
        .size:           4
        .value_kind:     by_value
      - .offset:         80
        .size:           4
        .value_kind:     by_value
      - .offset:         84
        .size:           4
        .value_kind:     by_value
      - .offset:         88
        .size:           4
        .value_kind:     by_value
      - .offset:         92
        .size:           4
        .value_kind:     by_value
    .group_segment_fixed_size: 0
    .kernarg_segment_align: 8
    .kernarg_segment_size: 96
    .language:       OpenCL C
    .language_version:
      - 2
      - 0
    .max_flat_workgroup_size: 128
    .name:           _ZL9mul_mat_fI15__hip_bfloat162Li64ELi3ELi2ELb0EEvPKT_PKfPKiPfiiiiiiiiiiiiiiii
    .private_segment_fixed_size: 0
    .sgpr_count:     93
    .sgpr_spill_count: 0
    .symbol:         _ZL9mul_mat_fI15__hip_bfloat162Li64ELi3ELi2ELb0EEvPKT_PKfPKiPfiiiiiiiiiiiiiiii.kd
    .uniform_work_group_size: 1
    .uses_dynamic_stack: false
    .vgpr_count:     124
    .vgpr_spill_count: 0
    .wavefront_size: 64
  - .agpr_count:     16
    .args:
      - .actual_access:  read_only
        .address_space:  global
        .offset:         0
        .size:           8
        .value_kind:     global_buffer
      - .actual_access:  read_only
        .address_space:  global
        .offset:         8
        .size:           8
        .value_kind:     global_buffer
      - .actual_access:  read_only
        .address_space:  global
        .offset:         16
        .size:           8
        .value_kind:     global_buffer
      - .actual_access:  read_only
        .address_space:  global
        .offset:         24
        .size:           8
        .value_kind:     global_buffer
      - .actual_access:  read_only
        .address_space:  global
        .offset:         32
        .size:           8
        .value_kind:     global_buffer
      - .actual_access:  write_only
        .address_space:  global
        .offset:         40
        .size:           8
        .value_kind:     global_buffer
      - .offset:         48
        .size:           4
        .value_kind:     by_value
      - .offset:         52
        .size:           4
        .value_kind:     by_value
      - .offset:         56
        .size:           4
        .value_kind:     by_value
      - .offset:         60
        .size:           4
        .value_kind:     by_value
      - .offset:         64
        .size:           4
        .value_kind:     by_value
      - .offset:         68
        .size:           4
        .value_kind:     by_value
      - .offset:         72
        .size:           4
        .value_kind:     by_value
      - .offset:         76
        .size:           4
        .value_kind:     by_value
      - .offset:         80
        .size:           4
        .value_kind:     by_value
      - .offset:         84
        .size:           4
        .value_kind:     by_value
      - .offset:         88
        .size:           4
        .value_kind:     by_value
      - .offset:         92
        .size:           4
        .value_kind:     by_value
      - .offset:         96
        .size:           4
        .value_kind:     by_value
      - .offset:         100
        .size:           4
        .value_kind:     by_value
      - .offset:         104
        .size:           12
        .value_kind:     by_value
      - .offset:         116
        .size:           12
        .value_kind:     by_value
    .group_segment_fixed_size: 0
    .kernarg_segment_align: 8
    .kernarg_segment_size: 128
    .language:       OpenCL C
    .language_version:
      - 2
      - 0
    .max_flat_workgroup_size: 192
    .name:           _ZL13mul_mat_f_idsI15__hip_bfloat162Li64ELi3ELi3EEvPKT_PKfPKiS7_S7_Pfiiiiiiiiiiiiii15HIP_vector_typeIjLj3EESA_
    .private_segment_fixed_size: 0
    .sgpr_count:     106
    .sgpr_spill_count: 5
    .symbol:         _ZL13mul_mat_f_idsI15__hip_bfloat162Li64ELi3ELi3EEvPKT_PKfPKiS7_S7_Pfiiiiiiiiiiiiii15HIP_vector_typeIjLj3EESA_.kd
    .uniform_work_group_size: 1
    .uses_dynamic_stack: false
    .vgpr_count:     100
    .vgpr_spill_count: 0
    .wavefront_size: 64
  - .agpr_count:     16
    .args:
      - .actual_access:  read_only
        .address_space:  global
        .offset:         0
        .size:           8
        .value_kind:     global_buffer
      - .actual_access:  read_only
        .address_space:  global
        .offset:         8
        .size:           8
        .value_kind:     global_buffer
      - .actual_access:  read_only
        .address_space:  global
        .offset:         16
        .size:           8
        .value_kind:     global_buffer
      - .actual_access:  write_only
        .address_space:  global
        .offset:         24
        .size:           8
        .value_kind:     global_buffer
      - .offset:         32
        .size:           4
        .value_kind:     by_value
      - .offset:         36
        .size:           4
        .value_kind:     by_value
      - .offset:         40
        .size:           4
        .value_kind:     by_value
      - .offset:         44
        .size:           4
        .value_kind:     by_value
      - .offset:         48
        .size:           4
        .value_kind:     by_value
      - .offset:         52
        .size:           4
        .value_kind:     by_value
      - .offset:         56
        .size:           4
        .value_kind:     by_value
      - .offset:         60
        .size:           4
        .value_kind:     by_value
      - .offset:         64
        .size:           4
        .value_kind:     by_value
      - .offset:         68
        .size:           4
        .value_kind:     by_value
      - .offset:         72
        .size:           4
        .value_kind:     by_value
      - .offset:         76
        .size:           4
        .value_kind:     by_value
      - .offset:         80
        .size:           4
        .value_kind:     by_value
      - .offset:         84
        .size:           4
        .value_kind:     by_value
      - .offset:         88
        .size:           4
        .value_kind:     by_value
      - .offset:         92
        .size:           4
        .value_kind:     by_value
      - .offset:         96
        .size:           4
        .value_kind:     hidden_block_count_x
      - .offset:         100
        .size:           4
        .value_kind:     hidden_block_count_y
      - .offset:         104
        .size:           4
        .value_kind:     hidden_block_count_z
      - .offset:         108
        .size:           2
        .value_kind:     hidden_group_size_x
      - .offset:         110
        .size:           2
        .value_kind:     hidden_group_size_y
      - .offset:         112
        .size:           2
        .value_kind:     hidden_group_size_z
      - .offset:         114
        .size:           2
        .value_kind:     hidden_remainder_x
      - .offset:         116
        .size:           2
        .value_kind:     hidden_remainder_y
      - .offset:         118
        .size:           2
        .value_kind:     hidden_remainder_z
      - .offset:         136
        .size:           8
        .value_kind:     hidden_global_offset_x
      - .offset:         144
        .size:           8
        .value_kind:     hidden_global_offset_y
      - .offset:         152
        .size:           8
        .value_kind:     hidden_global_offset_z
      - .offset:         160
        .size:           2
        .value_kind:     hidden_grid_dims
      - .offset:         216
        .size:           4
        .value_kind:     hidden_dynamic_lds_size
    .group_segment_fixed_size: 256
    .kernarg_segment_align: 8
    .kernarg_segment_size: 352
    .language:       OpenCL C
    .language_version:
      - 2
      - 0
    .max_flat_workgroup_size: 192
    .name:           _ZL9mul_mat_fI15__hip_bfloat162Li64ELi3ELi3ELb1EEvPKT_PKfPKiPfiiiiiiiiiiiiiiii
    .private_segment_fixed_size: 0
    .sgpr_count:     97
    .sgpr_spill_count: 0
    .symbol:         _ZL9mul_mat_fI15__hip_bfloat162Li64ELi3ELi3ELb1EEvPKT_PKfPKiPfiiiiiiiiiiiiiiii.kd
    .uniform_work_group_size: 1
    .uses_dynamic_stack: false
    .vgpr_count:     104
    .vgpr_spill_count: 0
    .wavefront_size: 64
  - .agpr_count:     20
    .args:
      - .actual_access:  read_only
        .address_space:  global
        .offset:         0
        .size:           8
        .value_kind:     global_buffer
      - .actual_access:  read_only
        .address_space:  global
        .offset:         8
        .size:           8
        .value_kind:     global_buffer
      - .actual_access:  read_only
        .address_space:  global
        .offset:         16
        .size:           8
        .value_kind:     global_buffer
      - .actual_access:  write_only
        .address_space:  global
        .offset:         24
        .size:           8
        .value_kind:     global_buffer
      - .offset:         32
        .size:           4
        .value_kind:     by_value
      - .offset:         36
        .size:           4
        .value_kind:     by_value
      - .offset:         40
        .size:           4
        .value_kind:     by_value
      - .offset:         44
        .size:           4
        .value_kind:     by_value
      - .offset:         48
        .size:           4
        .value_kind:     by_value
      - .offset:         52
        .size:           4
        .value_kind:     by_value
      - .offset:         56
        .size:           4
        .value_kind:     by_value
      - .offset:         60
        .size:           4
        .value_kind:     by_value
      - .offset:         64
        .size:           4
        .value_kind:     by_value
      - .offset:         68
        .size:           4
        .value_kind:     by_value
      - .offset:         72
        .size:           4
        .value_kind:     by_value
      - .offset:         76
        .size:           4
        .value_kind:     by_value
      - .offset:         80
        .size:           4
        .value_kind:     by_value
      - .offset:         84
        .size:           4
        .value_kind:     by_value
      - .offset:         88
        .size:           4
        .value_kind:     by_value
      - .offset:         92
        .size:           4
        .value_kind:     by_value
    .group_segment_fixed_size: 0
    .kernarg_segment_align: 8
    .kernarg_segment_size: 96
    .language:       OpenCL C
    .language_version:
      - 2
      - 0
    .max_flat_workgroup_size: 192
    .name:           _ZL9mul_mat_fI15__hip_bfloat162Li64ELi3ELi3ELb0EEvPKT_PKfPKiPfiiiiiiiiiiiiiiii
    .private_segment_fixed_size: 0
    .sgpr_count:     93
    .sgpr_spill_count: 0
    .symbol:         _ZL9mul_mat_fI15__hip_bfloat162Li64ELi3ELi3ELb0EEvPKT_PKfPKiPfiiiiiiiiiiiiiiii.kd
    .uniform_work_group_size: 1
    .uses_dynamic_stack: false
    .vgpr_count:     124
    .vgpr_spill_count: 0
    .wavefront_size: 64
  - .agpr_count:     16
    .args:
      - .actual_access:  read_only
        .address_space:  global
        .offset:         0
        .size:           8
        .value_kind:     global_buffer
      - .actual_access:  read_only
        .address_space:  global
        .offset:         8
        .size:           8
        .value_kind:     global_buffer
      - .actual_access:  read_only
        .address_space:  global
        .offset:         16
        .size:           8
        .value_kind:     global_buffer
      - .actual_access:  read_only
        .address_space:  global
        .offset:         24
        .size:           8
        .value_kind:     global_buffer
      - .actual_access:  read_only
        .address_space:  global
        .offset:         32
        .size:           8
        .value_kind:     global_buffer
      - .actual_access:  write_only
        .address_space:  global
        .offset:         40
        .size:           8
        .value_kind:     global_buffer
      - .offset:         48
        .size:           4
        .value_kind:     by_value
      - .offset:         52
        .size:           4
        .value_kind:     by_value
      - .offset:         56
        .size:           4
        .value_kind:     by_value
      - .offset:         60
        .size:           4
        .value_kind:     by_value
      - .offset:         64
        .size:           4
        .value_kind:     by_value
      - .offset:         68
        .size:           4
        .value_kind:     by_value
      - .offset:         72
        .size:           4
        .value_kind:     by_value
      - .offset:         76
        .size:           4
        .value_kind:     by_value
      - .offset:         80
        .size:           4
        .value_kind:     by_value
      - .offset:         84
        .size:           4
        .value_kind:     by_value
      - .offset:         88
        .size:           4
        .value_kind:     by_value
      - .offset:         92
        .size:           4
        .value_kind:     by_value
      - .offset:         96
        .size:           4
        .value_kind:     by_value
      - .offset:         100
        .size:           4
        .value_kind:     by_value
      - .offset:         104
        .size:           12
        .value_kind:     by_value
      - .offset:         116
        .size:           12
        .value_kind:     by_value
    .group_segment_fixed_size: 0
    .kernarg_segment_align: 8
    .kernarg_segment_size: 128
    .language:       OpenCL C
    .language_version:
      - 2
      - 0
    .max_flat_workgroup_size: 256
    .name:           _ZL13mul_mat_f_idsI15__hip_bfloat162Li64ELi3ELi4EEvPKT_PKfPKiS7_S7_Pfiiiiiiiiiiiiii15HIP_vector_typeIjLj3EESA_
    .private_segment_fixed_size: 0
    .sgpr_count:     106
    .sgpr_spill_count: 6
    .symbol:         _ZL13mul_mat_f_idsI15__hip_bfloat162Li64ELi3ELi4EEvPKT_PKfPKiS7_S7_Pfiiiiiiiiiiiiii15HIP_vector_typeIjLj3EESA_.kd
    .uniform_work_group_size: 1
    .uses_dynamic_stack: false
    .vgpr_count:     100
    .vgpr_spill_count: 0
    .wavefront_size: 64
  - .agpr_count:     16
    .args:
      - .actual_access:  read_only
        .address_space:  global
        .offset:         0
        .size:           8
        .value_kind:     global_buffer
      - .actual_access:  read_only
        .address_space:  global
        .offset:         8
        .size:           8
        .value_kind:     global_buffer
      - .actual_access:  read_only
        .address_space:  global
        .offset:         16
        .size:           8
        .value_kind:     global_buffer
      - .actual_access:  write_only
        .address_space:  global
        .offset:         24
        .size:           8
        .value_kind:     global_buffer
      - .offset:         32
        .size:           4
        .value_kind:     by_value
      - .offset:         36
        .size:           4
        .value_kind:     by_value
      - .offset:         40
        .size:           4
        .value_kind:     by_value
      - .offset:         44
        .size:           4
        .value_kind:     by_value
      - .offset:         48
        .size:           4
        .value_kind:     by_value
      - .offset:         52
        .size:           4
        .value_kind:     by_value
      - .offset:         56
        .size:           4
        .value_kind:     by_value
      - .offset:         60
        .size:           4
        .value_kind:     by_value
      - .offset:         64
        .size:           4
        .value_kind:     by_value
      - .offset:         68
        .size:           4
        .value_kind:     by_value
      - .offset:         72
        .size:           4
        .value_kind:     by_value
      - .offset:         76
        .size:           4
        .value_kind:     by_value
      - .offset:         80
        .size:           4
        .value_kind:     by_value
      - .offset:         84
        .size:           4
        .value_kind:     by_value
      - .offset:         88
        .size:           4
        .value_kind:     by_value
      - .offset:         92
        .size:           4
        .value_kind:     by_value
      - .offset:         96
        .size:           4
        .value_kind:     hidden_block_count_x
      - .offset:         100
        .size:           4
        .value_kind:     hidden_block_count_y
      - .offset:         104
        .size:           4
        .value_kind:     hidden_block_count_z
      - .offset:         108
        .size:           2
        .value_kind:     hidden_group_size_x
      - .offset:         110
        .size:           2
        .value_kind:     hidden_group_size_y
      - .offset:         112
        .size:           2
        .value_kind:     hidden_group_size_z
      - .offset:         114
        .size:           2
        .value_kind:     hidden_remainder_x
      - .offset:         116
        .size:           2
        .value_kind:     hidden_remainder_y
      - .offset:         118
        .size:           2
        .value_kind:     hidden_remainder_z
      - .offset:         136
        .size:           8
        .value_kind:     hidden_global_offset_x
      - .offset:         144
        .size:           8
        .value_kind:     hidden_global_offset_y
      - .offset:         152
        .size:           8
        .value_kind:     hidden_global_offset_z
      - .offset:         160
        .size:           2
        .value_kind:     hidden_grid_dims
      - .offset:         216
        .size:           4
        .value_kind:     hidden_dynamic_lds_size
    .group_segment_fixed_size: 256
    .kernarg_segment_align: 8
    .kernarg_segment_size: 352
    .language:       OpenCL C
    .language_version:
      - 2
      - 0
    .max_flat_workgroup_size: 256
    .name:           _ZL9mul_mat_fI15__hip_bfloat162Li64ELi3ELi4ELb1EEvPKT_PKfPKiPfiiiiiiiiiiiiiiii
    .private_segment_fixed_size: 0
    .sgpr_count:     95
    .sgpr_spill_count: 0
    .symbol:         _ZL9mul_mat_fI15__hip_bfloat162Li64ELi3ELi4ELb1EEvPKT_PKfPKiPfiiiiiiiiiiiiiiii.kd
    .uniform_work_group_size: 1
    .uses_dynamic_stack: false
    .vgpr_count:     104
    .vgpr_spill_count: 0
    .wavefront_size: 64
  - .agpr_count:     20
    .args:
      - .actual_access:  read_only
        .address_space:  global
        .offset:         0
        .size:           8
        .value_kind:     global_buffer
      - .actual_access:  read_only
        .address_space:  global
        .offset:         8
        .size:           8
        .value_kind:     global_buffer
      - .actual_access:  read_only
        .address_space:  global
        .offset:         16
        .size:           8
        .value_kind:     global_buffer
      - .actual_access:  write_only
        .address_space:  global
        .offset:         24
        .size:           8
        .value_kind:     global_buffer
      - .offset:         32
        .size:           4
        .value_kind:     by_value
      - .offset:         36
        .size:           4
        .value_kind:     by_value
      - .offset:         40
        .size:           4
        .value_kind:     by_value
      - .offset:         44
        .size:           4
        .value_kind:     by_value
      - .offset:         48
        .size:           4
        .value_kind:     by_value
      - .offset:         52
        .size:           4
        .value_kind:     by_value
      - .offset:         56
        .size:           4
        .value_kind:     by_value
      - .offset:         60
        .size:           4
        .value_kind:     by_value
      - .offset:         64
        .size:           4
        .value_kind:     by_value
      - .offset:         68
        .size:           4
        .value_kind:     by_value
      - .offset:         72
        .size:           4
        .value_kind:     by_value
      - .offset:         76
        .size:           4
        .value_kind:     by_value
      - .offset:         80
        .size:           4
        .value_kind:     by_value
      - .offset:         84
        .size:           4
        .value_kind:     by_value
      - .offset:         88
        .size:           4
        .value_kind:     by_value
      - .offset:         92
        .size:           4
        .value_kind:     by_value
    .group_segment_fixed_size: 0
    .kernarg_segment_align: 8
    .kernarg_segment_size: 96
    .language:       OpenCL C
    .language_version:
      - 2
      - 0
    .max_flat_workgroup_size: 256
    .name:           _ZL9mul_mat_fI15__hip_bfloat162Li64ELi3ELi4ELb0EEvPKT_PKfPKiPfiiiiiiiiiiiiiiii
    .private_segment_fixed_size: 0
    .sgpr_count:     93
    .sgpr_spill_count: 0
    .symbol:         _ZL9mul_mat_fI15__hip_bfloat162Li64ELi3ELi4ELb0EEvPKT_PKfPKiPfiiiiiiiiiiiiiiii.kd
    .uniform_work_group_size: 1
    .uses_dynamic_stack: false
    .vgpr_count:     124
    .vgpr_spill_count: 0
    .wavefront_size: 64
  - .agpr_count:     0
    .args:
      - .actual_access:  read_only
        .address_space:  global
        .offset:         0
        .size:           8
        .value_kind:     global_buffer
      - .actual_access:  read_only
        .address_space:  global
        .offset:         8
        .size:           8
        .value_kind:     global_buffer
      - .actual_access:  read_only
        .address_space:  global
        .offset:         16
        .size:           8
        .value_kind:     global_buffer
      - .actual_access:  read_only
        .address_space:  global
        .offset:         24
        .size:           8
        .value_kind:     global_buffer
      - .actual_access:  read_only
        .address_space:  global
        .offset:         32
        .size:           8
        .value_kind:     global_buffer
      - .actual_access:  write_only
        .address_space:  global
        .offset:         40
        .size:           8
        .value_kind:     global_buffer
      - .offset:         48
        .size:           4
        .value_kind:     by_value
      - .offset:         52
        .size:           4
        .value_kind:     by_value
      - .offset:         56
        .size:           4
        .value_kind:     by_value
      - .offset:         60
        .size:           4
        .value_kind:     by_value
      - .offset:         64
        .size:           4
        .value_kind:     by_value
      - .offset:         68
        .size:           4
        .value_kind:     by_value
      - .offset:         72
        .size:           4
        .value_kind:     by_value
      - .offset:         76
        .size:           4
        .value_kind:     by_value
      - .offset:         80
        .size:           4
        .value_kind:     by_value
      - .offset:         84
        .size:           4
        .value_kind:     by_value
      - .offset:         88
        .size:           4
        .value_kind:     by_value
      - .offset:         92
        .size:           4
        .value_kind:     by_value
      - .offset:         96
        .size:           4
        .value_kind:     by_value
      - .offset:         100
        .size:           4
        .value_kind:     by_value
      - .offset:         104
        .size:           12
        .value_kind:     by_value
      - .offset:         116
        .size:           12
        .value_kind:     by_value
    .group_segment_fixed_size: 0
    .kernarg_segment_align: 8
    .kernarg_segment_size: 128
    .language:       OpenCL C
    .language_version:
      - 2
      - 0
    .max_flat_workgroup_size: 320
    .name:           _ZL13mul_mat_f_idsI15__hip_bfloat162Li64ELi3ELi5EEvPKT_PKfPKiS7_S7_Pfiiiiiiiiiiiiii15HIP_vector_typeIjLj3EESA_
    .private_segment_fixed_size: 0
    .sgpr_count:     106
    .sgpr_spill_count: 6
    .symbol:         _ZL13mul_mat_f_idsI15__hip_bfloat162Li64ELi3ELi5EEvPKT_PKfPKiS7_S7_Pfiiiiiiiiiiiiii15HIP_vector_typeIjLj3EESA_.kd
    .uniform_work_group_size: 1
    .uses_dynamic_stack: false
    .vgpr_count:     102
    .vgpr_spill_count: 0
    .wavefront_size: 64
  - .agpr_count:     0
    .args:
      - .actual_access:  read_only
        .address_space:  global
        .offset:         0
        .size:           8
        .value_kind:     global_buffer
      - .actual_access:  read_only
        .address_space:  global
        .offset:         8
        .size:           8
        .value_kind:     global_buffer
      - .actual_access:  read_only
        .address_space:  global
        .offset:         16
        .size:           8
        .value_kind:     global_buffer
      - .actual_access:  write_only
        .address_space:  global
        .offset:         24
        .size:           8
        .value_kind:     global_buffer
      - .offset:         32
        .size:           4
        .value_kind:     by_value
      - .offset:         36
        .size:           4
        .value_kind:     by_value
      - .offset:         40
        .size:           4
        .value_kind:     by_value
      - .offset:         44
        .size:           4
        .value_kind:     by_value
      - .offset:         48
        .size:           4
        .value_kind:     by_value
      - .offset:         52
        .size:           4
        .value_kind:     by_value
      - .offset:         56
        .size:           4
        .value_kind:     by_value
      - .offset:         60
        .size:           4
        .value_kind:     by_value
      - .offset:         64
        .size:           4
        .value_kind:     by_value
      - .offset:         68
        .size:           4
        .value_kind:     by_value
      - .offset:         72
        .size:           4
        .value_kind:     by_value
      - .offset:         76
        .size:           4
        .value_kind:     by_value
      - .offset:         80
        .size:           4
        .value_kind:     by_value
      - .offset:         84
        .size:           4
        .value_kind:     by_value
      - .offset:         88
        .size:           4
        .value_kind:     by_value
      - .offset:         92
        .size:           4
        .value_kind:     by_value
      - .offset:         96
        .size:           4
        .value_kind:     hidden_block_count_x
      - .offset:         100
        .size:           4
        .value_kind:     hidden_block_count_y
      - .offset:         104
        .size:           4
        .value_kind:     hidden_block_count_z
      - .offset:         108
        .size:           2
        .value_kind:     hidden_group_size_x
      - .offset:         110
        .size:           2
        .value_kind:     hidden_group_size_y
      - .offset:         112
        .size:           2
        .value_kind:     hidden_group_size_z
      - .offset:         114
        .size:           2
        .value_kind:     hidden_remainder_x
      - .offset:         116
        .size:           2
        .value_kind:     hidden_remainder_y
      - .offset:         118
        .size:           2
        .value_kind:     hidden_remainder_z
      - .offset:         136
        .size:           8
        .value_kind:     hidden_global_offset_x
      - .offset:         144
        .size:           8
        .value_kind:     hidden_global_offset_y
      - .offset:         152
        .size:           8
        .value_kind:     hidden_global_offset_z
      - .offset:         160
        .size:           2
        .value_kind:     hidden_grid_dims
      - .offset:         216
        .size:           4
        .value_kind:     hidden_dynamic_lds_size
    .group_segment_fixed_size: 256
    .kernarg_segment_align: 8
    .kernarg_segment_size: 352
    .language:       OpenCL C
    .language_version:
      - 2
      - 0
    .max_flat_workgroup_size: 320
    .name:           _ZL9mul_mat_fI15__hip_bfloat162Li64ELi3ELi5ELb1EEvPKT_PKfPKiPfiiiiiiiiiiiiiiii
    .private_segment_fixed_size: 0
    .sgpr_count:     97
    .sgpr_spill_count: 0
    .symbol:         _ZL9mul_mat_fI15__hip_bfloat162Li64ELi3ELi5ELb1EEvPKT_PKfPKiPfiiiiiiiiiiiiiiii.kd
    .uniform_work_group_size: 1
    .uses_dynamic_stack: false
    .vgpr_count:     108
    .vgpr_spill_count: 0
    .wavefront_size: 64
  - .agpr_count:     0
    .args:
      - .actual_access:  read_only
        .address_space:  global
        .offset:         0
        .size:           8
        .value_kind:     global_buffer
      - .actual_access:  read_only
        .address_space:  global
        .offset:         8
        .size:           8
        .value_kind:     global_buffer
      - .actual_access:  read_only
        .address_space:  global
        .offset:         16
        .size:           8
        .value_kind:     global_buffer
      - .actual_access:  write_only
        .address_space:  global
        .offset:         24
        .size:           8
        .value_kind:     global_buffer
      - .offset:         32
        .size:           4
        .value_kind:     by_value
      - .offset:         36
        .size:           4
        .value_kind:     by_value
      - .offset:         40
        .size:           4
        .value_kind:     by_value
      - .offset:         44
        .size:           4
        .value_kind:     by_value
      - .offset:         48
        .size:           4
        .value_kind:     by_value
      - .offset:         52
        .size:           4
        .value_kind:     by_value
      - .offset:         56
        .size:           4
        .value_kind:     by_value
      - .offset:         60
        .size:           4
        .value_kind:     by_value
      - .offset:         64
        .size:           4
        .value_kind:     by_value
      - .offset:         68
        .size:           4
        .value_kind:     by_value
      - .offset:         72
        .size:           4
        .value_kind:     by_value
      - .offset:         76
        .size:           4
        .value_kind:     by_value
      - .offset:         80
        .size:           4
        .value_kind:     by_value
      - .offset:         84
        .size:           4
        .value_kind:     by_value
      - .offset:         88
        .size:           4
        .value_kind:     by_value
      - .offset:         92
        .size:           4
        .value_kind:     by_value
    .group_segment_fixed_size: 0
    .kernarg_segment_align: 8
    .kernarg_segment_size: 96
    .language:       OpenCL C
    .language_version:
      - 2
      - 0
    .max_flat_workgroup_size: 320
    .name:           _ZL9mul_mat_fI15__hip_bfloat162Li64ELi3ELi5ELb0EEvPKT_PKfPKiPfiiiiiiiiiiiiiiii
    .private_segment_fixed_size: 0
    .sgpr_count:     93
    .sgpr_spill_count: 0
    .symbol:         _ZL9mul_mat_fI15__hip_bfloat162Li64ELi3ELi5ELb0EEvPKT_PKfPKiPfiiiiiiiiiiiiiiii.kd
    .uniform_work_group_size: 1
    .uses_dynamic_stack: false
    .vgpr_count:     107
    .vgpr_spill_count: 0
    .wavefront_size: 64
  - .agpr_count:     0
    .args:
      - .actual_access:  read_only
        .address_space:  global
        .offset:         0
        .size:           8
        .value_kind:     global_buffer
      - .actual_access:  read_only
        .address_space:  global
        .offset:         8
        .size:           8
        .value_kind:     global_buffer
      - .actual_access:  read_only
        .address_space:  global
        .offset:         16
        .size:           8
        .value_kind:     global_buffer
      - .actual_access:  read_only
        .address_space:  global
        .offset:         24
        .size:           8
        .value_kind:     global_buffer
      - .actual_access:  read_only
        .address_space:  global
        .offset:         32
        .size:           8
        .value_kind:     global_buffer
      - .actual_access:  write_only
        .address_space:  global
        .offset:         40
        .size:           8
        .value_kind:     global_buffer
      - .offset:         48
        .size:           4
        .value_kind:     by_value
      - .offset:         52
        .size:           4
        .value_kind:     by_value
      - .offset:         56
        .size:           4
        .value_kind:     by_value
      - .offset:         60
        .size:           4
        .value_kind:     by_value
      - .offset:         64
        .size:           4
        .value_kind:     by_value
      - .offset:         68
        .size:           4
        .value_kind:     by_value
      - .offset:         72
        .size:           4
        .value_kind:     by_value
      - .offset:         76
        .size:           4
        .value_kind:     by_value
      - .offset:         80
        .size:           4
        .value_kind:     by_value
      - .offset:         84
        .size:           4
        .value_kind:     by_value
      - .offset:         88
        .size:           4
        .value_kind:     by_value
      - .offset:         92
        .size:           4
        .value_kind:     by_value
      - .offset:         96
        .size:           4
        .value_kind:     by_value
      - .offset:         100
        .size:           4
        .value_kind:     by_value
      - .offset:         104
        .size:           12
        .value_kind:     by_value
      - .offset:         116
        .size:           12
        .value_kind:     by_value
    .group_segment_fixed_size: 0
    .kernarg_segment_align: 8
    .kernarg_segment_size: 128
    .language:       OpenCL C
    .language_version:
      - 2
      - 0
    .max_flat_workgroup_size: 384
    .name:           _ZL13mul_mat_f_idsI15__hip_bfloat162Li64ELi3ELi6EEvPKT_PKfPKiS7_S7_Pfiiiiiiiiiiiiii15HIP_vector_typeIjLj3EESA_
    .private_segment_fixed_size: 0
    .sgpr_count:     106
    .sgpr_spill_count: 6
    .symbol:         _ZL13mul_mat_f_idsI15__hip_bfloat162Li64ELi3ELi6EEvPKT_PKfPKiS7_S7_Pfiiiiiiiiiiiiii15HIP_vector_typeIjLj3EESA_.kd
    .uniform_work_group_size: 1
    .uses_dynamic_stack: false
    .vgpr_count:     102
    .vgpr_spill_count: 0
    .wavefront_size: 64
  - .agpr_count:     0
    .args:
      - .actual_access:  read_only
        .address_space:  global
        .offset:         0
        .size:           8
        .value_kind:     global_buffer
      - .actual_access:  read_only
        .address_space:  global
        .offset:         8
        .size:           8
        .value_kind:     global_buffer
      - .actual_access:  read_only
        .address_space:  global
        .offset:         16
        .size:           8
        .value_kind:     global_buffer
      - .actual_access:  write_only
        .address_space:  global
        .offset:         24
        .size:           8
        .value_kind:     global_buffer
      - .offset:         32
        .size:           4
        .value_kind:     by_value
      - .offset:         36
        .size:           4
        .value_kind:     by_value
      - .offset:         40
        .size:           4
        .value_kind:     by_value
      - .offset:         44
        .size:           4
        .value_kind:     by_value
      - .offset:         48
        .size:           4
        .value_kind:     by_value
      - .offset:         52
        .size:           4
        .value_kind:     by_value
      - .offset:         56
        .size:           4
        .value_kind:     by_value
      - .offset:         60
        .size:           4
        .value_kind:     by_value
      - .offset:         64
        .size:           4
        .value_kind:     by_value
      - .offset:         68
        .size:           4
        .value_kind:     by_value
      - .offset:         72
        .size:           4
        .value_kind:     by_value
      - .offset:         76
        .size:           4
        .value_kind:     by_value
      - .offset:         80
        .size:           4
        .value_kind:     by_value
      - .offset:         84
        .size:           4
        .value_kind:     by_value
      - .offset:         88
        .size:           4
        .value_kind:     by_value
      - .offset:         92
        .size:           4
        .value_kind:     by_value
      - .offset:         96
        .size:           4
        .value_kind:     hidden_block_count_x
      - .offset:         100
        .size:           4
        .value_kind:     hidden_block_count_y
      - .offset:         104
        .size:           4
        .value_kind:     hidden_block_count_z
      - .offset:         108
        .size:           2
        .value_kind:     hidden_group_size_x
      - .offset:         110
        .size:           2
        .value_kind:     hidden_group_size_y
      - .offset:         112
        .size:           2
        .value_kind:     hidden_group_size_z
      - .offset:         114
        .size:           2
        .value_kind:     hidden_remainder_x
      - .offset:         116
        .size:           2
        .value_kind:     hidden_remainder_y
      - .offset:         118
        .size:           2
        .value_kind:     hidden_remainder_z
      - .offset:         136
        .size:           8
        .value_kind:     hidden_global_offset_x
      - .offset:         144
        .size:           8
        .value_kind:     hidden_global_offset_y
      - .offset:         152
        .size:           8
        .value_kind:     hidden_global_offset_z
      - .offset:         160
        .size:           2
        .value_kind:     hidden_grid_dims
      - .offset:         216
        .size:           4
        .value_kind:     hidden_dynamic_lds_size
    .group_segment_fixed_size: 256
    .kernarg_segment_align: 8
    .kernarg_segment_size: 352
    .language:       OpenCL C
    .language_version:
      - 2
      - 0
    .max_flat_workgroup_size: 384
    .name:           _ZL9mul_mat_fI15__hip_bfloat162Li64ELi3ELi6ELb1EEvPKT_PKfPKiPfiiiiiiiiiiiiiiii
    .private_segment_fixed_size: 0
    .sgpr_count:     97
    .sgpr_spill_count: 0
    .symbol:         _ZL9mul_mat_fI15__hip_bfloat162Li64ELi3ELi6ELb1EEvPKT_PKfPKiPfiiiiiiiiiiiiiiii.kd
    .uniform_work_group_size: 1
    .uses_dynamic_stack: false
    .vgpr_count:     108
    .vgpr_spill_count: 0
    .wavefront_size: 64
  - .agpr_count:     0
    .args:
      - .actual_access:  read_only
        .address_space:  global
        .offset:         0
        .size:           8
        .value_kind:     global_buffer
      - .actual_access:  read_only
        .address_space:  global
        .offset:         8
        .size:           8
        .value_kind:     global_buffer
      - .actual_access:  read_only
        .address_space:  global
        .offset:         16
        .size:           8
        .value_kind:     global_buffer
      - .actual_access:  write_only
        .address_space:  global
        .offset:         24
        .size:           8
        .value_kind:     global_buffer
      - .offset:         32
        .size:           4
        .value_kind:     by_value
      - .offset:         36
        .size:           4
        .value_kind:     by_value
      - .offset:         40
        .size:           4
        .value_kind:     by_value
      - .offset:         44
        .size:           4
        .value_kind:     by_value
      - .offset:         48
        .size:           4
        .value_kind:     by_value
      - .offset:         52
        .size:           4
        .value_kind:     by_value
      - .offset:         56
        .size:           4
        .value_kind:     by_value
      - .offset:         60
        .size:           4
        .value_kind:     by_value
      - .offset:         64
        .size:           4
        .value_kind:     by_value
      - .offset:         68
        .size:           4
        .value_kind:     by_value
      - .offset:         72
        .size:           4
        .value_kind:     by_value
      - .offset:         76
        .size:           4
        .value_kind:     by_value
      - .offset:         80
        .size:           4
        .value_kind:     by_value
      - .offset:         84
        .size:           4
        .value_kind:     by_value
      - .offset:         88
        .size:           4
        .value_kind:     by_value
      - .offset:         92
        .size:           4
        .value_kind:     by_value
    .group_segment_fixed_size: 0
    .kernarg_segment_align: 8
    .kernarg_segment_size: 96
    .language:       OpenCL C
    .language_version:
      - 2
      - 0
    .max_flat_workgroup_size: 384
    .name:           _ZL9mul_mat_fI15__hip_bfloat162Li64ELi3ELi6ELb0EEvPKT_PKfPKiPfiiiiiiiiiiiiiiii
    .private_segment_fixed_size: 0
    .sgpr_count:     93
    .sgpr_spill_count: 0
    .symbol:         _ZL9mul_mat_fI15__hip_bfloat162Li64ELi3ELi6ELb0EEvPKT_PKfPKiPfiiiiiiiiiiiiiiii.kd
    .uniform_work_group_size: 1
    .uses_dynamic_stack: false
    .vgpr_count:     107
    .vgpr_spill_count: 0
    .wavefront_size: 64
  - .agpr_count:     0
    .args:
      - .actual_access:  read_only
        .address_space:  global
        .offset:         0
        .size:           8
        .value_kind:     global_buffer
      - .actual_access:  read_only
        .address_space:  global
        .offset:         8
        .size:           8
        .value_kind:     global_buffer
      - .actual_access:  read_only
        .address_space:  global
        .offset:         16
        .size:           8
        .value_kind:     global_buffer
      - .actual_access:  read_only
        .address_space:  global
        .offset:         24
        .size:           8
        .value_kind:     global_buffer
      - .actual_access:  read_only
        .address_space:  global
        .offset:         32
        .size:           8
        .value_kind:     global_buffer
      - .actual_access:  write_only
        .address_space:  global
        .offset:         40
        .size:           8
        .value_kind:     global_buffer
      - .offset:         48
        .size:           4
        .value_kind:     by_value
      - .offset:         52
        .size:           4
        .value_kind:     by_value
      - .offset:         56
        .size:           4
        .value_kind:     by_value
      - .offset:         60
        .size:           4
        .value_kind:     by_value
      - .offset:         64
        .size:           4
        .value_kind:     by_value
      - .offset:         68
        .size:           4
        .value_kind:     by_value
      - .offset:         72
        .size:           4
        .value_kind:     by_value
      - .offset:         76
        .size:           4
        .value_kind:     by_value
      - .offset:         80
        .size:           4
        .value_kind:     by_value
      - .offset:         84
        .size:           4
        .value_kind:     by_value
      - .offset:         88
        .size:           4
        .value_kind:     by_value
      - .offset:         92
        .size:           4
        .value_kind:     by_value
      - .offset:         96
        .size:           4
        .value_kind:     by_value
      - .offset:         100
        .size:           4
        .value_kind:     by_value
      - .offset:         104
        .size:           12
        .value_kind:     by_value
      - .offset:         116
        .size:           12
        .value_kind:     by_value
    .group_segment_fixed_size: 0
    .kernarg_segment_align: 8
    .kernarg_segment_size: 128
    .language:       OpenCL C
    .language_version:
      - 2
      - 0
    .max_flat_workgroup_size: 448
    .name:           _ZL13mul_mat_f_idsI15__hip_bfloat162Li64ELi3ELi7EEvPKT_PKfPKiS7_S7_Pfiiiiiiiiiiiiii15HIP_vector_typeIjLj3EESA_
    .private_segment_fixed_size: 0
    .sgpr_count:     106
    .sgpr_spill_count: 6
    .symbol:         _ZL13mul_mat_f_idsI15__hip_bfloat162Li64ELi3ELi7EEvPKT_PKfPKiS7_S7_Pfiiiiiiiiiiiiii15HIP_vector_typeIjLj3EESA_.kd
    .uniform_work_group_size: 1
    .uses_dynamic_stack: false
    .vgpr_count:     102
    .vgpr_spill_count: 0
    .wavefront_size: 64
  - .agpr_count:     0
    .args:
      - .actual_access:  read_only
        .address_space:  global
        .offset:         0
        .size:           8
        .value_kind:     global_buffer
      - .actual_access:  read_only
        .address_space:  global
        .offset:         8
        .size:           8
        .value_kind:     global_buffer
      - .actual_access:  read_only
        .address_space:  global
        .offset:         16
        .size:           8
        .value_kind:     global_buffer
      - .actual_access:  write_only
        .address_space:  global
        .offset:         24
        .size:           8
        .value_kind:     global_buffer
      - .offset:         32
        .size:           4
        .value_kind:     by_value
      - .offset:         36
        .size:           4
        .value_kind:     by_value
      - .offset:         40
        .size:           4
        .value_kind:     by_value
      - .offset:         44
        .size:           4
        .value_kind:     by_value
      - .offset:         48
        .size:           4
        .value_kind:     by_value
      - .offset:         52
        .size:           4
        .value_kind:     by_value
      - .offset:         56
        .size:           4
        .value_kind:     by_value
      - .offset:         60
        .size:           4
        .value_kind:     by_value
      - .offset:         64
        .size:           4
        .value_kind:     by_value
      - .offset:         68
        .size:           4
        .value_kind:     by_value
      - .offset:         72
        .size:           4
        .value_kind:     by_value
      - .offset:         76
        .size:           4
        .value_kind:     by_value
      - .offset:         80
        .size:           4
        .value_kind:     by_value
      - .offset:         84
        .size:           4
        .value_kind:     by_value
      - .offset:         88
        .size:           4
        .value_kind:     by_value
      - .offset:         92
        .size:           4
        .value_kind:     by_value
      - .offset:         96
        .size:           4
        .value_kind:     hidden_block_count_x
      - .offset:         100
        .size:           4
        .value_kind:     hidden_block_count_y
      - .offset:         104
        .size:           4
        .value_kind:     hidden_block_count_z
      - .offset:         108
        .size:           2
        .value_kind:     hidden_group_size_x
      - .offset:         110
        .size:           2
        .value_kind:     hidden_group_size_y
      - .offset:         112
        .size:           2
        .value_kind:     hidden_group_size_z
      - .offset:         114
        .size:           2
        .value_kind:     hidden_remainder_x
      - .offset:         116
        .size:           2
        .value_kind:     hidden_remainder_y
      - .offset:         118
        .size:           2
        .value_kind:     hidden_remainder_z
      - .offset:         136
        .size:           8
        .value_kind:     hidden_global_offset_x
      - .offset:         144
        .size:           8
        .value_kind:     hidden_global_offset_y
      - .offset:         152
        .size:           8
        .value_kind:     hidden_global_offset_z
      - .offset:         160
        .size:           2
        .value_kind:     hidden_grid_dims
      - .offset:         216
        .size:           4
        .value_kind:     hidden_dynamic_lds_size
    .group_segment_fixed_size: 256
    .kernarg_segment_align: 8
    .kernarg_segment_size: 352
    .language:       OpenCL C
    .language_version:
      - 2
      - 0
    .max_flat_workgroup_size: 448
    .name:           _ZL9mul_mat_fI15__hip_bfloat162Li64ELi3ELi7ELb1EEvPKT_PKfPKiPfiiiiiiiiiiiiiiii
    .private_segment_fixed_size: 0
    .sgpr_count:     97
    .sgpr_spill_count: 0
    .symbol:         _ZL9mul_mat_fI15__hip_bfloat162Li64ELi3ELi7ELb1EEvPKT_PKfPKiPfiiiiiiiiiiiiiiii.kd
    .uniform_work_group_size: 1
    .uses_dynamic_stack: false
    .vgpr_count:     108
    .vgpr_spill_count: 0
    .wavefront_size: 64
  - .agpr_count:     0
    .args:
      - .actual_access:  read_only
        .address_space:  global
        .offset:         0
        .size:           8
        .value_kind:     global_buffer
      - .actual_access:  read_only
        .address_space:  global
        .offset:         8
        .size:           8
        .value_kind:     global_buffer
      - .actual_access:  read_only
        .address_space:  global
        .offset:         16
        .size:           8
        .value_kind:     global_buffer
      - .actual_access:  write_only
        .address_space:  global
        .offset:         24
        .size:           8
        .value_kind:     global_buffer
      - .offset:         32
        .size:           4
        .value_kind:     by_value
      - .offset:         36
        .size:           4
        .value_kind:     by_value
      - .offset:         40
        .size:           4
        .value_kind:     by_value
      - .offset:         44
        .size:           4
        .value_kind:     by_value
      - .offset:         48
        .size:           4
        .value_kind:     by_value
      - .offset:         52
        .size:           4
        .value_kind:     by_value
      - .offset:         56
        .size:           4
        .value_kind:     by_value
      - .offset:         60
        .size:           4
        .value_kind:     by_value
      - .offset:         64
        .size:           4
        .value_kind:     by_value
      - .offset:         68
        .size:           4
        .value_kind:     by_value
      - .offset:         72
        .size:           4
        .value_kind:     by_value
      - .offset:         76
        .size:           4
        .value_kind:     by_value
      - .offset:         80
        .size:           4
        .value_kind:     by_value
      - .offset:         84
        .size:           4
        .value_kind:     by_value
      - .offset:         88
        .size:           4
        .value_kind:     by_value
      - .offset:         92
        .size:           4
        .value_kind:     by_value
    .group_segment_fixed_size: 0
    .kernarg_segment_align: 8
    .kernarg_segment_size: 96
    .language:       OpenCL C
    .language_version:
      - 2
      - 0
    .max_flat_workgroup_size: 448
    .name:           _ZL9mul_mat_fI15__hip_bfloat162Li64ELi3ELi7ELb0EEvPKT_PKfPKiPfiiiiiiiiiiiiiiii
    .private_segment_fixed_size: 0
    .sgpr_count:     93
    .sgpr_spill_count: 0
    .symbol:         _ZL9mul_mat_fI15__hip_bfloat162Li64ELi3ELi7ELb0EEvPKT_PKfPKiPfiiiiiiiiiiiiiiii.kd
    .uniform_work_group_size: 1
    .uses_dynamic_stack: false
    .vgpr_count:     107
    .vgpr_spill_count: 0
    .wavefront_size: 64
  - .agpr_count:     0
    .args:
      - .actual_access:  read_only
        .address_space:  global
        .offset:         0
        .size:           8
        .value_kind:     global_buffer
      - .actual_access:  read_only
        .address_space:  global
        .offset:         8
        .size:           8
        .value_kind:     global_buffer
      - .actual_access:  read_only
        .address_space:  global
        .offset:         16
        .size:           8
        .value_kind:     global_buffer
      - .actual_access:  read_only
        .address_space:  global
        .offset:         24
        .size:           8
        .value_kind:     global_buffer
      - .actual_access:  read_only
        .address_space:  global
        .offset:         32
        .size:           8
        .value_kind:     global_buffer
      - .actual_access:  write_only
        .address_space:  global
        .offset:         40
        .size:           8
        .value_kind:     global_buffer
      - .offset:         48
        .size:           4
        .value_kind:     by_value
      - .offset:         52
        .size:           4
        .value_kind:     by_value
      - .offset:         56
        .size:           4
        .value_kind:     by_value
      - .offset:         60
        .size:           4
        .value_kind:     by_value
      - .offset:         64
        .size:           4
        .value_kind:     by_value
      - .offset:         68
        .size:           4
        .value_kind:     by_value
      - .offset:         72
        .size:           4
        .value_kind:     by_value
      - .offset:         76
        .size:           4
        .value_kind:     by_value
      - .offset:         80
        .size:           4
        .value_kind:     by_value
      - .offset:         84
        .size:           4
        .value_kind:     by_value
      - .offset:         88
        .size:           4
        .value_kind:     by_value
      - .offset:         92
        .size:           4
        .value_kind:     by_value
      - .offset:         96
        .size:           4
        .value_kind:     by_value
      - .offset:         100
        .size:           4
        .value_kind:     by_value
      - .offset:         104
        .size:           12
        .value_kind:     by_value
      - .offset:         116
        .size:           12
        .value_kind:     by_value
    .group_segment_fixed_size: 0
    .kernarg_segment_align: 8
    .kernarg_segment_size: 128
    .language:       OpenCL C
    .language_version:
      - 2
      - 0
    .max_flat_workgroup_size: 512
    .name:           _ZL13mul_mat_f_idsI15__hip_bfloat162Li64ELi3ELi8EEvPKT_PKfPKiS7_S7_Pfiiiiiiiiiiiiii15HIP_vector_typeIjLj3EESA_
    .private_segment_fixed_size: 0
    .sgpr_count:     106
    .sgpr_spill_count: 6
    .symbol:         _ZL13mul_mat_f_idsI15__hip_bfloat162Li64ELi3ELi8EEvPKT_PKfPKiS7_S7_Pfiiiiiiiiiiiiii15HIP_vector_typeIjLj3EESA_.kd
    .uniform_work_group_size: 1
    .uses_dynamic_stack: false
    .vgpr_count:     102
    .vgpr_spill_count: 0
    .wavefront_size: 64
  - .agpr_count:     0
    .args:
      - .actual_access:  read_only
        .address_space:  global
        .offset:         0
        .size:           8
        .value_kind:     global_buffer
      - .actual_access:  read_only
        .address_space:  global
        .offset:         8
        .size:           8
        .value_kind:     global_buffer
      - .actual_access:  read_only
        .address_space:  global
        .offset:         16
        .size:           8
        .value_kind:     global_buffer
      - .actual_access:  write_only
        .address_space:  global
        .offset:         24
        .size:           8
        .value_kind:     global_buffer
      - .offset:         32
        .size:           4
        .value_kind:     by_value
      - .offset:         36
        .size:           4
        .value_kind:     by_value
      - .offset:         40
        .size:           4
        .value_kind:     by_value
      - .offset:         44
        .size:           4
        .value_kind:     by_value
      - .offset:         48
        .size:           4
        .value_kind:     by_value
      - .offset:         52
        .size:           4
        .value_kind:     by_value
      - .offset:         56
        .size:           4
        .value_kind:     by_value
      - .offset:         60
        .size:           4
        .value_kind:     by_value
      - .offset:         64
        .size:           4
        .value_kind:     by_value
      - .offset:         68
        .size:           4
        .value_kind:     by_value
      - .offset:         72
        .size:           4
        .value_kind:     by_value
      - .offset:         76
        .size:           4
        .value_kind:     by_value
      - .offset:         80
        .size:           4
        .value_kind:     by_value
      - .offset:         84
        .size:           4
        .value_kind:     by_value
      - .offset:         88
        .size:           4
        .value_kind:     by_value
      - .offset:         92
        .size:           4
        .value_kind:     by_value
      - .offset:         96
        .size:           4
        .value_kind:     hidden_block_count_x
      - .offset:         100
        .size:           4
        .value_kind:     hidden_block_count_y
      - .offset:         104
        .size:           4
        .value_kind:     hidden_block_count_z
      - .offset:         108
        .size:           2
        .value_kind:     hidden_group_size_x
      - .offset:         110
        .size:           2
        .value_kind:     hidden_group_size_y
      - .offset:         112
        .size:           2
        .value_kind:     hidden_group_size_z
      - .offset:         114
        .size:           2
        .value_kind:     hidden_remainder_x
      - .offset:         116
        .size:           2
        .value_kind:     hidden_remainder_y
      - .offset:         118
        .size:           2
        .value_kind:     hidden_remainder_z
      - .offset:         136
        .size:           8
        .value_kind:     hidden_global_offset_x
      - .offset:         144
        .size:           8
        .value_kind:     hidden_global_offset_y
      - .offset:         152
        .size:           8
        .value_kind:     hidden_global_offset_z
      - .offset:         160
        .size:           2
        .value_kind:     hidden_grid_dims
      - .offset:         216
        .size:           4
        .value_kind:     hidden_dynamic_lds_size
    .group_segment_fixed_size: 256
    .kernarg_segment_align: 8
    .kernarg_segment_size: 352
    .language:       OpenCL C
    .language_version:
      - 2
      - 0
    .max_flat_workgroup_size: 512
    .name:           _ZL9mul_mat_fI15__hip_bfloat162Li64ELi3ELi8ELb1EEvPKT_PKfPKiPfiiiiiiiiiiiiiiii
    .private_segment_fixed_size: 0
    .sgpr_count:     95
    .sgpr_spill_count: 0
    .symbol:         _ZL9mul_mat_fI15__hip_bfloat162Li64ELi3ELi8ELb1EEvPKT_PKfPKiPfiiiiiiiiiiiiiiii.kd
    .uniform_work_group_size: 1
    .uses_dynamic_stack: false
    .vgpr_count:     111
    .vgpr_spill_count: 0
    .wavefront_size: 64
  - .agpr_count:     0
    .args:
      - .actual_access:  read_only
        .address_space:  global
        .offset:         0
        .size:           8
        .value_kind:     global_buffer
      - .actual_access:  read_only
        .address_space:  global
        .offset:         8
        .size:           8
        .value_kind:     global_buffer
      - .actual_access:  read_only
        .address_space:  global
        .offset:         16
        .size:           8
        .value_kind:     global_buffer
      - .actual_access:  write_only
        .address_space:  global
        .offset:         24
        .size:           8
        .value_kind:     global_buffer
      - .offset:         32
        .size:           4
        .value_kind:     by_value
      - .offset:         36
        .size:           4
        .value_kind:     by_value
      - .offset:         40
        .size:           4
        .value_kind:     by_value
      - .offset:         44
        .size:           4
        .value_kind:     by_value
      - .offset:         48
        .size:           4
        .value_kind:     by_value
      - .offset:         52
        .size:           4
        .value_kind:     by_value
      - .offset:         56
        .size:           4
        .value_kind:     by_value
      - .offset:         60
        .size:           4
        .value_kind:     by_value
      - .offset:         64
        .size:           4
        .value_kind:     by_value
      - .offset:         68
        .size:           4
        .value_kind:     by_value
      - .offset:         72
        .size:           4
        .value_kind:     by_value
      - .offset:         76
        .size:           4
        .value_kind:     by_value
      - .offset:         80
        .size:           4
        .value_kind:     by_value
      - .offset:         84
        .size:           4
        .value_kind:     by_value
      - .offset:         88
        .size:           4
        .value_kind:     by_value
      - .offset:         92
        .size:           4
        .value_kind:     by_value
    .group_segment_fixed_size: 0
    .kernarg_segment_align: 8
    .kernarg_segment_size: 96
    .language:       OpenCL C
    .language_version:
      - 2
      - 0
    .max_flat_workgroup_size: 512
    .name:           _ZL9mul_mat_fI15__hip_bfloat162Li64ELi3ELi8ELb0EEvPKT_PKfPKiPfiiiiiiiiiiiiiiii
    .private_segment_fixed_size: 0
    .sgpr_count:     93
    .sgpr_spill_count: 0
    .symbol:         _ZL9mul_mat_fI15__hip_bfloat162Li64ELi3ELi8ELb0EEvPKT_PKfPKiPfiiiiiiiiiiiiiiii.kd
    .uniform_work_group_size: 1
    .uses_dynamic_stack: false
    .vgpr_count:     107
    .vgpr_spill_count: 0
    .wavefront_size: 64
amdhsa.target:   amdgcn-amd-amdhsa--gfx950
amdhsa.version:
  - 1
  - 2
...

	.end_amdgpu_metadata
